;; amdgpu-corpus repo=pytorch/pytorch kind=compiled arch=gfx1250 opt=O3
	.amdgcn_target "amdgcn-amd-amdhsa--gfx1250"
	.amdhsa_code_object_version 6
	.section	.text._ZN2at6native12_GLOBAL__N_127reflection_pad2d_out_kernelIhEEvPKT_PS3_lliiiiiii,"axG",@progbits,_ZN2at6native12_GLOBAL__N_127reflection_pad2d_out_kernelIhEEvPKT_PS3_lliiiiiii,comdat
	.globl	_ZN2at6native12_GLOBAL__N_127reflection_pad2d_out_kernelIhEEvPKT_PS3_lliiiiiii ; -- Begin function _ZN2at6native12_GLOBAL__N_127reflection_pad2d_out_kernelIhEEvPKT_PS3_lliiiiiii
	.p2align	8
	.type	_ZN2at6native12_GLOBAL__N_127reflection_pad2d_out_kernelIhEEvPKT_PS3_lliiiiiii,@function
_ZN2at6native12_GLOBAL__N_127reflection_pad2d_out_kernelIhEEvPKT_PS3_lliiiiiii: ; @_ZN2at6native12_GLOBAL__N_127reflection_pad2d_out_kernelIhEEvPKT_PS3_lliiiiiii
; %bb.0:
	s_clause 0x2
	s_load_b32 s2, s[0:1], 0x4c
	s_load_b128 s[28:31], s[0:1], 0x20
	s_load_b256 s[4:11], s[0:1], 0x0
	s_bfe_u32 s3, ttmp6, 0x4000c
	s_and_b32 s12, ttmp6, 15
	s_add_co_i32 s3, s3, 1
	s_getreg_b32 s15, hwreg(HW_REG_IB_STS2, 6, 4)
	s_mul_i32 s3, ttmp9, s3
	v_mov_b32_e32 v1, 0
	s_add_co_i32 s12, s12, s3
	s_wait_kmcnt 0x0
	s_and_b32 s13, s2, 0xffff
	s_cmp_eq_u32 s15, 0
	s_mov_b32 s18, s30
	s_cselect_b32 s12, ttmp9, s12
	s_ashr_i32 s19, s30, 31
	v_mad_u32 v0, s12, s13, v0
	s_ashr_i32 s23, s28, 31
	s_mov_b32 s22, s28
	s_mov_b32 s2, s31
	s_ashr_i32 s3, s31, 31
	s_add_nc_u64 s[20:21], s[8:9], s[18:19]
	s_add_nc_u64 s[24:25], s[10:11], s[22:23]
	s_ashr_i32 s13, s29, 31
	s_mov_b32 s12, s29
	s_add_nc_u64 s[2:3], s[20:21], s[2:3]
	s_add_nc_u64 s[16:17], s[24:25], s[12:13]
	s_delay_alu instid0(SALU_CYCLE_1) | instskip(NEXT) | instid1(SALU_CYCLE_1)
	s_mul_u64 s[12:13], s[2:3], s[16:17]
	v_cmp_gt_i64_e32 vcc_lo, s[12:13], v[0:1]
	s_and_saveexec_b32 s12, vcc_lo
	s_cbranch_execz .LBB0_5
; %bb.1:
	s_load_b96 s[12:14], s[0:1], 0x30
	s_wait_xcnt 0x0
	s_and_b64 s[0:1], s[2:3], 0xffffffff00000000
	s_delay_alu instid0(SALU_CYCLE_1)
	s_cmp_lg_u64 s[0:1], 0
	s_cbranch_scc0 .LBB0_6
; %bb.2:
	s_ashr_i32 s26, s3, 31
	v_add_nc_u64_e32 v[2:3], 0, v[0:1]
	s_mov_b32 s27, s26
	v_mov_b32_e32 v5, 0
	s_add_nc_u64 s[0:1], s[2:3], s[26:27]
	s_delay_alu instid0(SALU_CYCLE_1) | instskip(NEXT) | instid1(VALU_DEP_2)
	s_xor_b64 s[28:29], s[0:1], s[26:27]
	v_mov_b32_e32 v4, v2
	s_cvt_f32_u32 s0, s28
	s_cvt_f32_u32 s1, s29
	s_sub_nc_u64 s[34:35], 0, s[28:29]
	s_delay_alu instid0(SALU_CYCLE_2) | instskip(NEXT) | instid1(SALU_CYCLE_3)
	s_fmamk_f32 s0, s1, 0x4f800000, s0
	v_s_rcp_f32 s0, s0
	s_delay_alu instid0(TRANS32_DEP_1) | instskip(NEXT) | instid1(SALU_CYCLE_3)
	s_mul_f32 s0, s0, 0x5f7ffffc
	s_mul_f32 s1, s0, 0x2f800000
	s_delay_alu instid0(SALU_CYCLE_3) | instskip(NEXT) | instid1(SALU_CYCLE_3)
	s_trunc_f32 s1, s1
	s_fmamk_f32 s0, s1, 0xcf800000, s0
	s_cvt_u32_f32 s31, s1
	s_mov_b32 s1, 0
	s_delay_alu instid0(SALU_CYCLE_1) | instskip(NEXT) | instid1(SALU_CYCLE_3)
	s_cvt_u32_f32 s30, s0
	s_mul_u64 s[36:37], s[34:35], s[30:31]
	s_delay_alu instid0(SALU_CYCLE_1)
	s_mul_hi_u32 s39, s30, s37
	s_mul_i32 s38, s30, s37
	s_mul_hi_u32 s0, s30, s36
	s_mul_i32 s33, s31, s36
	s_add_nc_u64 s[38:39], s[0:1], s[38:39]
	s_mul_hi_u32 s27, s31, s36
	s_mul_hi_u32 s40, s31, s37
	s_add_co_u32 s0, s38, s33
	s_add_co_ci_u32 s0, s39, s27
	s_mul_i32 s36, s31, s37
	s_add_co_ci_u32 s37, s40, 0
	s_delay_alu instid0(SALU_CYCLE_1) | instskip(NEXT) | instid1(SALU_CYCLE_1)
	s_add_nc_u64 s[36:37], s[0:1], s[36:37]
	s_add_co_u32 s30, s30, s36
	s_cselect_b32 s0, -1, 0
	s_delay_alu instid0(SALU_CYCLE_1) | instskip(SKIP_1) | instid1(SALU_CYCLE_1)
	s_cmp_lg_u32 s0, 0
	s_add_co_ci_u32 s31, s31, s37
	s_mul_u64 s[34:35], s[34:35], s[30:31]
	s_delay_alu instid0(SALU_CYCLE_1)
	s_mul_hi_u32 s37, s30, s35
	s_mul_i32 s36, s30, s35
	s_mul_hi_u32 s0, s30, s34
	s_mul_i32 s33, s31, s34
	s_add_nc_u64 s[36:37], s[0:1], s[36:37]
	s_mul_hi_u32 s27, s31, s34
	s_mul_hi_u32 s38, s31, s35
	s_add_co_u32 s0, s36, s33
	s_add_co_ci_u32 s0, s37, s27
	s_mul_i32 s34, s31, s35
	s_add_co_ci_u32 s35, s38, 0
	s_delay_alu instid0(SALU_CYCLE_1) | instskip(NEXT) | instid1(SALU_CYCLE_1)
	s_add_nc_u64 s[34:35], s[0:1], s[34:35]
	s_add_co_u32 s30, s30, s34
	s_cselect_b32 s0, -1, 0
	s_delay_alu instid0(SALU_CYCLE_1)
	s_cmp_lg_u32 s0, 0
	s_add_co_ci_u32 s0, s31, s35
	s_mov_b64 s[34:35], 0xffffffff
	v_nop
	v_mul_u64_e32 v[6:7], s[0:1], v[4:5]
	v_mul_hi_u32 v4, v2, s30
	s_and_b64 s[30:31], s[30:31], s[34:35]
	s_delay_alu instid0(VALU_DEP_1) | instskip(SKIP_1) | instid1(VALU_DEP_1)
	v_add_nc_u64_e32 v[6:7], v[4:5], v[6:7]
	v_mov_b32_e32 v4, v3
	v_mul_u64_e32 v[8:9], s[30:31], v[4:5]
	v_mul_u64_e32 v[10:11], s[0:1], v[4:5]
	s_delay_alu instid0(VALU_DEP_2) | instskip(NEXT) | instid1(VALU_DEP_3)
	v_add_co_u32 v4, vcc_lo, v6, v8
	v_add_co_ci_u32_e32 v4, vcc_lo, v7, v9, vcc_lo
	s_delay_alu instid0(VALU_DEP_3) | instskip(NEXT) | instid1(VALU_DEP_1)
	v_add_co_ci_u32_e32 v11, vcc_lo, 0, v11, vcc_lo
	v_add_nc_u64_e32 v[4:5], v[4:5], v[10:11]
	s_delay_alu instid0(VALU_DEP_1) | instskip(NEXT) | instid1(VALU_DEP_1)
	v_mul_u64_e32 v[6:7], s[28:29], v[4:5]
	v_sub_nc_u32_e32 v8, v3, v7
	s_delay_alu instid0(VALU_DEP_2) | instskip(NEXT) | instid1(VALU_DEP_1)
	v_sub_co_u32 v2, vcc_lo, v2, v6
	v_sub_co_ci_u32_e64 v7, null, v3, v7, vcc_lo
	s_delay_alu instid0(VALU_DEP_3) | instskip(NEXT) | instid1(VALU_DEP_3)
	v_subrev_co_ci_u32_e64 v6, null, s29, v8, vcc_lo
	v_sub_co_u32 v10, s0, v2, s28
	v_cmp_le_u32_e32 vcc_lo, s28, v2
	s_delay_alu instid0(VALU_DEP_3) | instskip(NEXT) | instid1(VALU_DEP_3)
	v_subrev_co_ci_u32_e64 v6, null, 0, v6, s0
	v_cmp_le_u32_e64 s0, s28, v10
	v_add_nc_u64_e32 v[8:9], 2, v[4:5]
	v_cndmask_b32_e64 v12, 0, -1, vcc_lo
	s_delay_alu instid0(VALU_DEP_4) | instskip(SKIP_3) | instid1(VALU_DEP_1)
	v_cmp_eq_u32_e32 vcc_lo, s29, v6
	v_add_nc_u64_e32 v[2:3], 1, v[4:5]
	v_cndmask_b32_e64 v10, 0, -1, s0
	v_cmp_le_u32_e64 s0, s29, v6
	v_cndmask_b32_e64 v11, 0, -1, s0
	v_cmp_eq_u32_e64 s0, s29, v7
	s_delay_alu instid0(VALU_DEP_2) | instskip(SKIP_2) | instid1(VALU_DEP_3)
	v_cndmask_b32_e32 v6, v11, v10, vcc_lo
	v_cmp_le_u32_e32 vcc_lo, s29, v7
	v_cndmask_b32_e64 v10, 0, -1, vcc_lo
	v_cmp_ne_u32_e32 vcc_lo, 0, v6
	s_delay_alu instid0(VALU_DEP_2) | instskip(SKIP_1) | instid1(VALU_DEP_2)
	v_dual_cndmask_b32 v6, v10, v12, s0 :: v_dual_cndmask_b32 v3, v3, v9, vcc_lo
	v_cndmask_b32_e32 v2, v2, v8, vcc_lo
	v_cmp_ne_u32_e32 vcc_lo, 0, v6
	s_delay_alu instid0(VALU_DEP_2) | instskip(SKIP_1) | instid1(VALU_DEP_2)
	v_dual_cndmask_b32 v5, v5, v3 :: v_dual_cndmask_b32 v4, v4, v2
	v_dual_mov_b32 v3, s26 :: v_dual_mov_b32 v2, s26
	v_xor_b32_e32 v5, s26, v5
	s_delay_alu instid0(VALU_DEP_3) | instskip(NEXT) | instid1(VALU_DEP_1)
	v_xor_b32_e32 v4, s26, v4
	v_sub_nc_u64_e32 v[2:3], v[4:5], v[2:3]
	s_cbranch_execnz .LBB0_4
.LBB0_3:
	v_cvt_f32_u32_e32 v2, s2
	s_sub_co_i32 s0, 0, s2
	s_delay_alu instid0(VALU_DEP_1) | instskip(SKIP_1) | instid1(TRANS32_DEP_1)
	v_rcp_iflag_f32_e32 v2, v2
	v_nop
	v_mul_f32_e32 v2, 0x4f7ffffe, v2
	s_delay_alu instid0(VALU_DEP_1) | instskip(NEXT) | instid1(VALU_DEP_1)
	v_cvt_u32_f32_e32 v2, v2
	v_mul_lo_u32 v3, s0, v2
	s_delay_alu instid0(VALU_DEP_1) | instskip(NEXT) | instid1(VALU_DEP_1)
	v_mul_hi_u32 v3, v2, v3
	v_add_nc_u32_e32 v2, v2, v3
	s_delay_alu instid0(VALU_DEP_1) | instskip(NEXT) | instid1(VALU_DEP_1)
	v_mul_hi_u32 v2, v0, v2
	v_mul_lo_u32 v3, v2, s2
	s_delay_alu instid0(VALU_DEP_1) | instskip(NEXT) | instid1(VALU_DEP_1)
	v_dual_add_nc_u32 v4, 1, v2 :: v_dual_sub_nc_u32 v3, v0, v3
	v_subrev_nc_u32_e32 v5, s2, v3
	v_cmp_le_u32_e32 vcc_lo, s2, v3
	s_delay_alu instid0(VALU_DEP_2) | instskip(NEXT) | instid1(VALU_DEP_1)
	v_dual_cndmask_b32 v3, v3, v5 :: v_dual_cndmask_b32 v2, v2, v4
	v_cmp_le_u32_e32 vcc_lo, s2, v3
	s_delay_alu instid0(VALU_DEP_2) | instskip(NEXT) | instid1(VALU_DEP_1)
	v_dual_mov_b32 v3, 0 :: v_dual_add_nc_u32 v4, 1, v2
	v_cndmask_b32_e32 v2, v2, v4, vcc_lo
.LBB0_4:
	s_delay_alu instid0(VALU_DEP_1)
	v_mul_u64_e32 v[4:5], s[2:3], v[2:3]
	v_max_i64 v[6:7], s[22:23], 0
	v_sub_nc_u64_e64 v[10:11], v[2:3], s[24:25]
	s_sub_nc_u64 s[0:1], 0, s[22:23]
	s_sub_nc_u64 s[26:27], 0, s[18:19]
	v_max_i64 v[16:17], s[0:1], 0
	v_max_i64 v[12:13], s[26:27], 0
	s_bfe_u32 s29, ttmp6, 0x40010
	s_bfe_u32 s1, ttmp6, 0x40014
	v_add_nc_u64_e32 v[18:19], 1, v[10:11]
	v_not_b32_e32 v11, v11
	v_not_b32_e32 v10, v10
	s_and_b32 s28, ttmp7, 0xffff
	s_add_co_i32 s29, s29, 1
	s_lshr_b32 s26, ttmp7, 16
	s_add_co_i32 s1, s1, 1
	v_max_i64 v[10:11], v[18:19], v[10:11]
	s_bfe_u32 s30, ttmp6, 0x40004
	s_mul_i32 s0, s28, s29
	s_mul_i32 s1, s26, s1
	s_bfe_u32 s27, ttmp6, 0x40008
	s_add_co_i32 s30, s30, s0
	s_add_co_i32 s27, s27, s1
	s_cmp_eq_u32 s15, 0
	s_mov_b32 s1, 0
	s_cselect_b32 s0, s26, s27
	s_cselect_b32 s15, s28, s30
	s_wait_kmcnt 0x0
	s_add_co_i32 s0, s13, s0
	s_add_co_i32 s12, s12, s15
	s_mul_i32 s0, s0, s14
	s_delay_alu instid0(SALU_CYCLE_1)
	s_add_co_i32 s0, s12, s0
	v_sub_nc_u64_e32 v[0:1], v[0:1], v[4:5]
	v_max_i64 v[4:5], s[18:19], 0
	v_not_b32_e32 v6, v6
	v_not_b32_e32 v7, v7
	s_mul_u64 s[10:11], s[10:11], s[0:1]
	s_delay_alu instid0(VALU_DEP_4) | instskip(SKIP_2) | instid1(VALU_DEP_2)
	v_sub_nc_u64_e64 v[8:9], v[0:1], s[20:21]
	v_sub_nc_u64_e64 v[20:21], v[0:1], s[18:19]
	s_add_nc_u64 s[18:19], s[20:21], s[18:19]
	v_add_nc_u64_e32 v[14:15], 1, v[8:9]
	v_not_b32_e32 v9, v9
	v_not_b32_e32 v8, v8
	s_delay_alu instid0(VALU_DEP_4) | instskip(SKIP_1) | instid1(VALU_DEP_3)
	v_sub_nc_u64_e32 v[18:19], 0, v[20:21]
	v_add_nc_u64_e32 v[10:11], v[2:3], v[10:11]
	v_max_i64 v[8:9], v[14:15], v[8:9]
	v_sub_nc_u64_e64 v[14:15], v[2:3], s[22:23]
	s_add_nc_u64 s[22:23], s[24:25], s[22:23]
	s_delay_alu instid0(VALU_DEP_4) | instskip(SKIP_2) | instid1(VALU_DEP_4)
	v_max_i64 v[18:19], v[20:21], v[18:19]
	v_add_nc_u64_e32 v[6:7], s[22:23], v[6:7]
	v_mad_nc_u64_u32 v[2:3], s16, s0, v[2:3]
	v_sub_nc_u64_e32 v[22:23], 0, v[14:15]
	s_delay_alu instid0(VALU_DEP_3) | instskip(SKIP_2) | instid1(VALU_DEP_4)
	v_add_nc_u64_e32 v[6:7], v[6:7], v[16:17]
	v_not_b32_e32 v4, v4
	v_not_b32_e32 v5, v5
	v_max_i64 v[14:15], v[14:15], v[22:23]
	v_mad_u32 v3, s17, s0, v3
	s_delay_alu instid0(VALU_DEP_3) | instskip(SKIP_1) | instid1(VALU_DEP_2)
	v_add_nc_u64_e32 v[4:5], s[18:19], v[4:5]
	v_add_nc_u64_e32 v[6:7], s[10:11], v[6:7]
	;; [unrolled: 1-line block ×3, first 2 shown]
	s_delay_alu instid0(VALU_DEP_2) | instskip(SKIP_1) | instid1(VALU_DEP_1)
	v_sub_nc_u64_e32 v[6:7], v[6:7], v[10:11]
	v_add_nc_u64_e32 v[8:9], v[0:1], v[8:9]
	v_sub_nc_u64_e32 v[4:5], v[4:5], v[8:9]
	s_delay_alu instid0(VALU_DEP_1) | instskip(NEXT) | instid1(VALU_DEP_4)
	v_add_nc_u64_e32 v[4:5], s[4:5], v[4:5]
	v_add_nc_u64_e32 v[6:7], v[6:7], v[14:15]
	s_delay_alu instid0(VALU_DEP_2) | instskip(NEXT) | instid1(VALU_DEP_1)
	v_add_nc_u64_e32 v[4:5], v[4:5], v[18:19]
	v_mad_nc_u64_u32 v[4:5], v6, s8, v[4:5]
	s_delay_alu instid0(VALU_DEP_1) | instskip(NEXT) | instid1(VALU_DEP_1)
	v_mad_u32 v5, v7, s8, v5
	v_mad_u32 v5, v6, s9, v5
	global_load_u8 v6, v[4:5], off
	s_wait_xcnt 0x0
	v_mad_nc_u64_u32 v[4:5], v2, s2, s[6:7]
	s_delay_alu instid0(VALU_DEP_1) | instskip(NEXT) | instid1(VALU_DEP_1)
	v_mad_u32 v3, v3, s2, v5
	v_mad_u32 v5, v2, s3, v3
	s_delay_alu instid0(VALU_DEP_1)
	v_add_nc_u64_e32 v[0:1], v[4:5], v[0:1]
	s_wait_loadcnt 0x0
	global_store_b8 v[0:1], v6, off
.LBB0_5:
	s_endpgm
.LBB0_6:
                                        ; implicit-def: $vgpr2_vgpr3
	s_branch .LBB0_3
	.section	.rodata,"a",@progbits
	.p2align	6, 0x0
	.amdhsa_kernel _ZN2at6native12_GLOBAL__N_127reflection_pad2d_out_kernelIhEEvPKT_PS3_lliiiiiii
		.amdhsa_group_segment_fixed_size 0
		.amdhsa_private_segment_fixed_size 0
		.amdhsa_kernarg_size 320
		.amdhsa_user_sgpr_count 2
		.amdhsa_user_sgpr_dispatch_ptr 0
		.amdhsa_user_sgpr_queue_ptr 0
		.amdhsa_user_sgpr_kernarg_segment_ptr 1
		.amdhsa_user_sgpr_dispatch_id 0
		.amdhsa_user_sgpr_kernarg_preload_length 0
		.amdhsa_user_sgpr_kernarg_preload_offset 0
		.amdhsa_user_sgpr_private_segment_size 0
		.amdhsa_wavefront_size32 1
		.amdhsa_uses_dynamic_stack 0
		.amdhsa_enable_private_segment 0
		.amdhsa_system_sgpr_workgroup_id_x 1
		.amdhsa_system_sgpr_workgroup_id_y 1
		.amdhsa_system_sgpr_workgroup_id_z 1
		.amdhsa_system_sgpr_workgroup_info 0
		.amdhsa_system_vgpr_workitem_id 0
		.amdhsa_next_free_vgpr 24
		.amdhsa_next_free_sgpr 41
		.amdhsa_named_barrier_count 0
		.amdhsa_reserve_vcc 1
		.amdhsa_float_round_mode_32 0
		.amdhsa_float_round_mode_16_64 0
		.amdhsa_float_denorm_mode_32 3
		.amdhsa_float_denorm_mode_16_64 3
		.amdhsa_fp16_overflow 0
		.amdhsa_memory_ordered 1
		.amdhsa_forward_progress 1
		.amdhsa_inst_pref_size 11
		.amdhsa_round_robin_scheduling 0
		.amdhsa_exception_fp_ieee_invalid_op 0
		.amdhsa_exception_fp_denorm_src 0
		.amdhsa_exception_fp_ieee_div_zero 0
		.amdhsa_exception_fp_ieee_overflow 0
		.amdhsa_exception_fp_ieee_underflow 0
		.amdhsa_exception_fp_ieee_inexact 0
		.amdhsa_exception_int_div_zero 0
	.end_amdhsa_kernel
	.section	.text._ZN2at6native12_GLOBAL__N_127reflection_pad2d_out_kernelIhEEvPKT_PS3_lliiiiiii,"axG",@progbits,_ZN2at6native12_GLOBAL__N_127reflection_pad2d_out_kernelIhEEvPKT_PS3_lliiiiiii,comdat
.Lfunc_end0:
	.size	_ZN2at6native12_GLOBAL__N_127reflection_pad2d_out_kernelIhEEvPKT_PS3_lliiiiiii, .Lfunc_end0-_ZN2at6native12_GLOBAL__N_127reflection_pad2d_out_kernelIhEEvPKT_PS3_lliiiiiii
                                        ; -- End function
	.set _ZN2at6native12_GLOBAL__N_127reflection_pad2d_out_kernelIhEEvPKT_PS3_lliiiiiii.num_vgpr, 24
	.set _ZN2at6native12_GLOBAL__N_127reflection_pad2d_out_kernelIhEEvPKT_PS3_lliiiiiii.num_agpr, 0
	.set _ZN2at6native12_GLOBAL__N_127reflection_pad2d_out_kernelIhEEvPKT_PS3_lliiiiiii.numbered_sgpr, 41
	.set _ZN2at6native12_GLOBAL__N_127reflection_pad2d_out_kernelIhEEvPKT_PS3_lliiiiiii.num_named_barrier, 0
	.set _ZN2at6native12_GLOBAL__N_127reflection_pad2d_out_kernelIhEEvPKT_PS3_lliiiiiii.private_seg_size, 0
	.set _ZN2at6native12_GLOBAL__N_127reflection_pad2d_out_kernelIhEEvPKT_PS3_lliiiiiii.uses_vcc, 1
	.set _ZN2at6native12_GLOBAL__N_127reflection_pad2d_out_kernelIhEEvPKT_PS3_lliiiiiii.uses_flat_scratch, 0
	.set _ZN2at6native12_GLOBAL__N_127reflection_pad2d_out_kernelIhEEvPKT_PS3_lliiiiiii.has_dyn_sized_stack, 0
	.set _ZN2at6native12_GLOBAL__N_127reflection_pad2d_out_kernelIhEEvPKT_PS3_lliiiiiii.has_recursion, 0
	.set _ZN2at6native12_GLOBAL__N_127reflection_pad2d_out_kernelIhEEvPKT_PS3_lliiiiiii.has_indirect_call, 0
	.section	.AMDGPU.csdata,"",@progbits
; Kernel info:
; codeLenInByte = 1384
; TotalNumSgprs: 43
; NumVgprs: 24
; ScratchSize: 0
; MemoryBound: 0
; FloatMode: 240
; IeeeMode: 1
; LDSByteSize: 0 bytes/workgroup (compile time only)
; SGPRBlocks: 0
; VGPRBlocks: 1
; NumSGPRsForWavesPerEU: 43
; NumVGPRsForWavesPerEU: 24
; NamedBarCnt: 0
; Occupancy: 16
; WaveLimiterHint : 0
; COMPUTE_PGM_RSRC2:SCRATCH_EN: 0
; COMPUTE_PGM_RSRC2:USER_SGPR: 2
; COMPUTE_PGM_RSRC2:TRAP_HANDLER: 0
; COMPUTE_PGM_RSRC2:TGID_X_EN: 1
; COMPUTE_PGM_RSRC2:TGID_Y_EN: 1
; COMPUTE_PGM_RSRC2:TGID_Z_EN: 1
; COMPUTE_PGM_RSRC2:TIDIG_COMP_CNT: 0
	.section	.text._ZN2at6native12_GLOBAL__N_127reflection_pad2d_out_kernelIaEEvPKT_PS3_lliiiiiii,"axG",@progbits,_ZN2at6native12_GLOBAL__N_127reflection_pad2d_out_kernelIaEEvPKT_PS3_lliiiiiii,comdat
	.globl	_ZN2at6native12_GLOBAL__N_127reflection_pad2d_out_kernelIaEEvPKT_PS3_lliiiiiii ; -- Begin function _ZN2at6native12_GLOBAL__N_127reflection_pad2d_out_kernelIaEEvPKT_PS3_lliiiiiii
	.p2align	8
	.type	_ZN2at6native12_GLOBAL__N_127reflection_pad2d_out_kernelIaEEvPKT_PS3_lliiiiiii,@function
_ZN2at6native12_GLOBAL__N_127reflection_pad2d_out_kernelIaEEvPKT_PS3_lliiiiiii: ; @_ZN2at6native12_GLOBAL__N_127reflection_pad2d_out_kernelIaEEvPKT_PS3_lliiiiiii
; %bb.0:
	s_clause 0x2
	s_load_b32 s2, s[0:1], 0x4c
	s_load_b128 s[28:31], s[0:1], 0x20
	s_load_b256 s[4:11], s[0:1], 0x0
	s_bfe_u32 s3, ttmp6, 0x4000c
	s_and_b32 s12, ttmp6, 15
	s_add_co_i32 s3, s3, 1
	s_getreg_b32 s15, hwreg(HW_REG_IB_STS2, 6, 4)
	s_mul_i32 s3, ttmp9, s3
	v_mov_b32_e32 v1, 0
	s_add_co_i32 s12, s12, s3
	s_wait_kmcnt 0x0
	s_and_b32 s13, s2, 0xffff
	s_cmp_eq_u32 s15, 0
	s_mov_b32 s18, s30
	s_cselect_b32 s12, ttmp9, s12
	s_ashr_i32 s19, s30, 31
	v_mad_u32 v0, s12, s13, v0
	s_ashr_i32 s23, s28, 31
	s_mov_b32 s22, s28
	s_mov_b32 s2, s31
	s_ashr_i32 s3, s31, 31
	s_add_nc_u64 s[20:21], s[8:9], s[18:19]
	s_add_nc_u64 s[24:25], s[10:11], s[22:23]
	s_ashr_i32 s13, s29, 31
	s_mov_b32 s12, s29
	s_add_nc_u64 s[2:3], s[20:21], s[2:3]
	s_add_nc_u64 s[16:17], s[24:25], s[12:13]
	s_delay_alu instid0(SALU_CYCLE_1) | instskip(NEXT) | instid1(SALU_CYCLE_1)
	s_mul_u64 s[12:13], s[2:3], s[16:17]
	v_cmp_gt_i64_e32 vcc_lo, s[12:13], v[0:1]
	s_and_saveexec_b32 s12, vcc_lo
	s_cbranch_execz .LBB1_5
; %bb.1:
	s_load_b96 s[12:14], s[0:1], 0x30
	s_wait_xcnt 0x0
	s_and_b64 s[0:1], s[2:3], 0xffffffff00000000
	s_delay_alu instid0(SALU_CYCLE_1)
	s_cmp_lg_u64 s[0:1], 0
	s_cbranch_scc0 .LBB1_6
; %bb.2:
	s_ashr_i32 s26, s3, 31
	v_add_nc_u64_e32 v[2:3], 0, v[0:1]
	s_mov_b32 s27, s26
	v_mov_b32_e32 v5, 0
	s_add_nc_u64 s[0:1], s[2:3], s[26:27]
	s_delay_alu instid0(SALU_CYCLE_1) | instskip(NEXT) | instid1(VALU_DEP_2)
	s_xor_b64 s[28:29], s[0:1], s[26:27]
	v_mov_b32_e32 v4, v2
	s_cvt_f32_u32 s0, s28
	s_cvt_f32_u32 s1, s29
	s_sub_nc_u64 s[34:35], 0, s[28:29]
	s_delay_alu instid0(SALU_CYCLE_2) | instskip(NEXT) | instid1(SALU_CYCLE_3)
	s_fmamk_f32 s0, s1, 0x4f800000, s0
	v_s_rcp_f32 s0, s0
	s_delay_alu instid0(TRANS32_DEP_1) | instskip(NEXT) | instid1(SALU_CYCLE_3)
	s_mul_f32 s0, s0, 0x5f7ffffc
	s_mul_f32 s1, s0, 0x2f800000
	s_delay_alu instid0(SALU_CYCLE_3) | instskip(NEXT) | instid1(SALU_CYCLE_3)
	s_trunc_f32 s1, s1
	s_fmamk_f32 s0, s1, 0xcf800000, s0
	s_cvt_u32_f32 s31, s1
	s_mov_b32 s1, 0
	s_delay_alu instid0(SALU_CYCLE_1) | instskip(NEXT) | instid1(SALU_CYCLE_3)
	s_cvt_u32_f32 s30, s0
	s_mul_u64 s[36:37], s[34:35], s[30:31]
	s_delay_alu instid0(SALU_CYCLE_1)
	s_mul_hi_u32 s39, s30, s37
	s_mul_i32 s38, s30, s37
	s_mul_hi_u32 s0, s30, s36
	s_mul_i32 s33, s31, s36
	s_add_nc_u64 s[38:39], s[0:1], s[38:39]
	s_mul_hi_u32 s27, s31, s36
	s_mul_hi_u32 s40, s31, s37
	s_add_co_u32 s0, s38, s33
	s_add_co_ci_u32 s0, s39, s27
	s_mul_i32 s36, s31, s37
	s_add_co_ci_u32 s37, s40, 0
	s_delay_alu instid0(SALU_CYCLE_1) | instskip(NEXT) | instid1(SALU_CYCLE_1)
	s_add_nc_u64 s[36:37], s[0:1], s[36:37]
	s_add_co_u32 s30, s30, s36
	s_cselect_b32 s0, -1, 0
	s_delay_alu instid0(SALU_CYCLE_1) | instskip(SKIP_1) | instid1(SALU_CYCLE_1)
	s_cmp_lg_u32 s0, 0
	s_add_co_ci_u32 s31, s31, s37
	s_mul_u64 s[34:35], s[34:35], s[30:31]
	s_delay_alu instid0(SALU_CYCLE_1)
	s_mul_hi_u32 s37, s30, s35
	s_mul_i32 s36, s30, s35
	s_mul_hi_u32 s0, s30, s34
	s_mul_i32 s33, s31, s34
	s_add_nc_u64 s[36:37], s[0:1], s[36:37]
	s_mul_hi_u32 s27, s31, s34
	s_mul_hi_u32 s38, s31, s35
	s_add_co_u32 s0, s36, s33
	s_add_co_ci_u32 s0, s37, s27
	s_mul_i32 s34, s31, s35
	s_add_co_ci_u32 s35, s38, 0
	s_delay_alu instid0(SALU_CYCLE_1) | instskip(NEXT) | instid1(SALU_CYCLE_1)
	s_add_nc_u64 s[34:35], s[0:1], s[34:35]
	s_add_co_u32 s30, s30, s34
	s_cselect_b32 s0, -1, 0
	s_delay_alu instid0(SALU_CYCLE_1)
	s_cmp_lg_u32 s0, 0
	s_add_co_ci_u32 s0, s31, s35
	s_mov_b64 s[34:35], 0xffffffff
	v_nop
	v_mul_u64_e32 v[6:7], s[0:1], v[4:5]
	v_mul_hi_u32 v4, v2, s30
	s_and_b64 s[30:31], s[30:31], s[34:35]
	s_delay_alu instid0(VALU_DEP_1) | instskip(SKIP_1) | instid1(VALU_DEP_1)
	v_add_nc_u64_e32 v[6:7], v[4:5], v[6:7]
	v_mov_b32_e32 v4, v3
	v_mul_u64_e32 v[8:9], s[30:31], v[4:5]
	v_mul_u64_e32 v[10:11], s[0:1], v[4:5]
	s_delay_alu instid0(VALU_DEP_2) | instskip(NEXT) | instid1(VALU_DEP_3)
	v_add_co_u32 v4, vcc_lo, v6, v8
	v_add_co_ci_u32_e32 v4, vcc_lo, v7, v9, vcc_lo
	s_delay_alu instid0(VALU_DEP_3) | instskip(NEXT) | instid1(VALU_DEP_1)
	v_add_co_ci_u32_e32 v11, vcc_lo, 0, v11, vcc_lo
	v_add_nc_u64_e32 v[4:5], v[4:5], v[10:11]
	s_delay_alu instid0(VALU_DEP_1) | instskip(NEXT) | instid1(VALU_DEP_1)
	v_mul_u64_e32 v[6:7], s[28:29], v[4:5]
	v_sub_nc_u32_e32 v8, v3, v7
	s_delay_alu instid0(VALU_DEP_2) | instskip(NEXT) | instid1(VALU_DEP_1)
	v_sub_co_u32 v2, vcc_lo, v2, v6
	v_sub_co_ci_u32_e64 v7, null, v3, v7, vcc_lo
	s_delay_alu instid0(VALU_DEP_3) | instskip(NEXT) | instid1(VALU_DEP_3)
	v_subrev_co_ci_u32_e64 v6, null, s29, v8, vcc_lo
	v_sub_co_u32 v10, s0, v2, s28
	v_cmp_le_u32_e32 vcc_lo, s28, v2
	s_delay_alu instid0(VALU_DEP_3) | instskip(NEXT) | instid1(VALU_DEP_3)
	v_subrev_co_ci_u32_e64 v6, null, 0, v6, s0
	v_cmp_le_u32_e64 s0, s28, v10
	v_add_nc_u64_e32 v[8:9], 2, v[4:5]
	v_cndmask_b32_e64 v12, 0, -1, vcc_lo
	s_delay_alu instid0(VALU_DEP_4) | instskip(SKIP_3) | instid1(VALU_DEP_1)
	v_cmp_eq_u32_e32 vcc_lo, s29, v6
	v_add_nc_u64_e32 v[2:3], 1, v[4:5]
	v_cndmask_b32_e64 v10, 0, -1, s0
	v_cmp_le_u32_e64 s0, s29, v6
	v_cndmask_b32_e64 v11, 0, -1, s0
	v_cmp_eq_u32_e64 s0, s29, v7
	s_delay_alu instid0(VALU_DEP_2) | instskip(SKIP_2) | instid1(VALU_DEP_3)
	v_cndmask_b32_e32 v6, v11, v10, vcc_lo
	v_cmp_le_u32_e32 vcc_lo, s29, v7
	v_cndmask_b32_e64 v10, 0, -1, vcc_lo
	v_cmp_ne_u32_e32 vcc_lo, 0, v6
	s_delay_alu instid0(VALU_DEP_2) | instskip(SKIP_1) | instid1(VALU_DEP_2)
	v_dual_cndmask_b32 v6, v10, v12, s0 :: v_dual_cndmask_b32 v3, v3, v9, vcc_lo
	v_cndmask_b32_e32 v2, v2, v8, vcc_lo
	v_cmp_ne_u32_e32 vcc_lo, 0, v6
	s_delay_alu instid0(VALU_DEP_2) | instskip(SKIP_1) | instid1(VALU_DEP_2)
	v_dual_cndmask_b32 v5, v5, v3 :: v_dual_cndmask_b32 v4, v4, v2
	v_dual_mov_b32 v3, s26 :: v_dual_mov_b32 v2, s26
	v_xor_b32_e32 v5, s26, v5
	s_delay_alu instid0(VALU_DEP_3) | instskip(NEXT) | instid1(VALU_DEP_1)
	v_xor_b32_e32 v4, s26, v4
	v_sub_nc_u64_e32 v[2:3], v[4:5], v[2:3]
	s_cbranch_execnz .LBB1_4
.LBB1_3:
	v_cvt_f32_u32_e32 v2, s2
	s_sub_co_i32 s0, 0, s2
	s_delay_alu instid0(VALU_DEP_1) | instskip(SKIP_1) | instid1(TRANS32_DEP_1)
	v_rcp_iflag_f32_e32 v2, v2
	v_nop
	v_mul_f32_e32 v2, 0x4f7ffffe, v2
	s_delay_alu instid0(VALU_DEP_1) | instskip(NEXT) | instid1(VALU_DEP_1)
	v_cvt_u32_f32_e32 v2, v2
	v_mul_lo_u32 v3, s0, v2
	s_delay_alu instid0(VALU_DEP_1) | instskip(NEXT) | instid1(VALU_DEP_1)
	v_mul_hi_u32 v3, v2, v3
	v_add_nc_u32_e32 v2, v2, v3
	s_delay_alu instid0(VALU_DEP_1) | instskip(NEXT) | instid1(VALU_DEP_1)
	v_mul_hi_u32 v2, v0, v2
	v_mul_lo_u32 v3, v2, s2
	s_delay_alu instid0(VALU_DEP_1) | instskip(NEXT) | instid1(VALU_DEP_1)
	v_dual_add_nc_u32 v4, 1, v2 :: v_dual_sub_nc_u32 v3, v0, v3
	v_subrev_nc_u32_e32 v5, s2, v3
	v_cmp_le_u32_e32 vcc_lo, s2, v3
	s_delay_alu instid0(VALU_DEP_2) | instskip(NEXT) | instid1(VALU_DEP_1)
	v_dual_cndmask_b32 v3, v3, v5 :: v_dual_cndmask_b32 v2, v2, v4
	v_cmp_le_u32_e32 vcc_lo, s2, v3
	s_delay_alu instid0(VALU_DEP_2) | instskip(NEXT) | instid1(VALU_DEP_1)
	v_dual_mov_b32 v3, 0 :: v_dual_add_nc_u32 v4, 1, v2
	v_cndmask_b32_e32 v2, v2, v4, vcc_lo
.LBB1_4:
	s_delay_alu instid0(VALU_DEP_1)
	v_mul_u64_e32 v[4:5], s[2:3], v[2:3]
	v_max_i64 v[6:7], s[22:23], 0
	v_sub_nc_u64_e64 v[10:11], v[2:3], s[24:25]
	s_sub_nc_u64 s[0:1], 0, s[22:23]
	s_sub_nc_u64 s[26:27], 0, s[18:19]
	v_max_i64 v[16:17], s[0:1], 0
	v_max_i64 v[12:13], s[26:27], 0
	s_bfe_u32 s29, ttmp6, 0x40010
	s_bfe_u32 s1, ttmp6, 0x40014
	v_add_nc_u64_e32 v[18:19], 1, v[10:11]
	v_not_b32_e32 v11, v11
	v_not_b32_e32 v10, v10
	s_and_b32 s28, ttmp7, 0xffff
	s_add_co_i32 s29, s29, 1
	s_lshr_b32 s26, ttmp7, 16
	s_add_co_i32 s1, s1, 1
	v_max_i64 v[10:11], v[18:19], v[10:11]
	s_bfe_u32 s30, ttmp6, 0x40004
	s_mul_i32 s0, s28, s29
	s_mul_i32 s1, s26, s1
	s_bfe_u32 s27, ttmp6, 0x40008
	s_add_co_i32 s30, s30, s0
	s_add_co_i32 s27, s27, s1
	s_cmp_eq_u32 s15, 0
	s_mov_b32 s1, 0
	s_cselect_b32 s0, s26, s27
	s_cselect_b32 s15, s28, s30
	s_wait_kmcnt 0x0
	s_add_co_i32 s0, s13, s0
	s_add_co_i32 s12, s12, s15
	s_mul_i32 s0, s0, s14
	s_delay_alu instid0(SALU_CYCLE_1)
	s_add_co_i32 s0, s12, s0
	v_sub_nc_u64_e32 v[0:1], v[0:1], v[4:5]
	v_max_i64 v[4:5], s[18:19], 0
	v_not_b32_e32 v6, v6
	v_not_b32_e32 v7, v7
	s_mul_u64 s[10:11], s[10:11], s[0:1]
	s_delay_alu instid0(VALU_DEP_4) | instskip(SKIP_2) | instid1(VALU_DEP_2)
	v_sub_nc_u64_e64 v[8:9], v[0:1], s[20:21]
	v_sub_nc_u64_e64 v[20:21], v[0:1], s[18:19]
	s_add_nc_u64 s[18:19], s[20:21], s[18:19]
	v_add_nc_u64_e32 v[14:15], 1, v[8:9]
	v_not_b32_e32 v9, v9
	v_not_b32_e32 v8, v8
	s_delay_alu instid0(VALU_DEP_4) | instskip(SKIP_1) | instid1(VALU_DEP_3)
	v_sub_nc_u64_e32 v[18:19], 0, v[20:21]
	v_add_nc_u64_e32 v[10:11], v[2:3], v[10:11]
	v_max_i64 v[8:9], v[14:15], v[8:9]
	v_sub_nc_u64_e64 v[14:15], v[2:3], s[22:23]
	s_add_nc_u64 s[22:23], s[24:25], s[22:23]
	s_delay_alu instid0(VALU_DEP_4) | instskip(SKIP_2) | instid1(VALU_DEP_4)
	v_max_i64 v[18:19], v[20:21], v[18:19]
	v_add_nc_u64_e32 v[6:7], s[22:23], v[6:7]
	v_mad_nc_u64_u32 v[2:3], s16, s0, v[2:3]
	v_sub_nc_u64_e32 v[22:23], 0, v[14:15]
	s_delay_alu instid0(VALU_DEP_3) | instskip(SKIP_2) | instid1(VALU_DEP_4)
	v_add_nc_u64_e32 v[6:7], v[6:7], v[16:17]
	v_not_b32_e32 v4, v4
	v_not_b32_e32 v5, v5
	v_max_i64 v[14:15], v[14:15], v[22:23]
	v_mad_u32 v3, s17, s0, v3
	s_delay_alu instid0(VALU_DEP_3) | instskip(SKIP_1) | instid1(VALU_DEP_2)
	v_add_nc_u64_e32 v[4:5], s[18:19], v[4:5]
	v_add_nc_u64_e32 v[6:7], s[10:11], v[6:7]
	;; [unrolled: 1-line block ×3, first 2 shown]
	s_delay_alu instid0(VALU_DEP_2) | instskip(SKIP_1) | instid1(VALU_DEP_1)
	v_sub_nc_u64_e32 v[6:7], v[6:7], v[10:11]
	v_add_nc_u64_e32 v[8:9], v[0:1], v[8:9]
	v_sub_nc_u64_e32 v[4:5], v[4:5], v[8:9]
	s_delay_alu instid0(VALU_DEP_1) | instskip(NEXT) | instid1(VALU_DEP_4)
	v_add_nc_u64_e32 v[4:5], s[4:5], v[4:5]
	v_add_nc_u64_e32 v[6:7], v[6:7], v[14:15]
	s_delay_alu instid0(VALU_DEP_2) | instskip(NEXT) | instid1(VALU_DEP_1)
	v_add_nc_u64_e32 v[4:5], v[4:5], v[18:19]
	v_mad_nc_u64_u32 v[4:5], v6, s8, v[4:5]
	s_delay_alu instid0(VALU_DEP_1) | instskip(NEXT) | instid1(VALU_DEP_1)
	v_mad_u32 v5, v7, s8, v5
	v_mad_u32 v5, v6, s9, v5
	global_load_u8 v6, v[4:5], off
	s_wait_xcnt 0x0
	v_mad_nc_u64_u32 v[4:5], v2, s2, s[6:7]
	s_delay_alu instid0(VALU_DEP_1) | instskip(NEXT) | instid1(VALU_DEP_1)
	v_mad_u32 v3, v3, s2, v5
	v_mad_u32 v5, v2, s3, v3
	s_delay_alu instid0(VALU_DEP_1)
	v_add_nc_u64_e32 v[0:1], v[4:5], v[0:1]
	s_wait_loadcnt 0x0
	global_store_b8 v[0:1], v6, off
.LBB1_5:
	s_endpgm
.LBB1_6:
                                        ; implicit-def: $vgpr2_vgpr3
	s_branch .LBB1_3
	.section	.rodata,"a",@progbits
	.p2align	6, 0x0
	.amdhsa_kernel _ZN2at6native12_GLOBAL__N_127reflection_pad2d_out_kernelIaEEvPKT_PS3_lliiiiiii
		.amdhsa_group_segment_fixed_size 0
		.amdhsa_private_segment_fixed_size 0
		.amdhsa_kernarg_size 320
		.amdhsa_user_sgpr_count 2
		.amdhsa_user_sgpr_dispatch_ptr 0
		.amdhsa_user_sgpr_queue_ptr 0
		.amdhsa_user_sgpr_kernarg_segment_ptr 1
		.amdhsa_user_sgpr_dispatch_id 0
		.amdhsa_user_sgpr_kernarg_preload_length 0
		.amdhsa_user_sgpr_kernarg_preload_offset 0
		.amdhsa_user_sgpr_private_segment_size 0
		.amdhsa_wavefront_size32 1
		.amdhsa_uses_dynamic_stack 0
		.amdhsa_enable_private_segment 0
		.amdhsa_system_sgpr_workgroup_id_x 1
		.amdhsa_system_sgpr_workgroup_id_y 1
		.amdhsa_system_sgpr_workgroup_id_z 1
		.amdhsa_system_sgpr_workgroup_info 0
		.amdhsa_system_vgpr_workitem_id 0
		.amdhsa_next_free_vgpr 24
		.amdhsa_next_free_sgpr 41
		.amdhsa_named_barrier_count 0
		.amdhsa_reserve_vcc 1
		.amdhsa_float_round_mode_32 0
		.amdhsa_float_round_mode_16_64 0
		.amdhsa_float_denorm_mode_32 3
		.amdhsa_float_denorm_mode_16_64 3
		.amdhsa_fp16_overflow 0
		.amdhsa_memory_ordered 1
		.amdhsa_forward_progress 1
		.amdhsa_inst_pref_size 11
		.amdhsa_round_robin_scheduling 0
		.amdhsa_exception_fp_ieee_invalid_op 0
		.amdhsa_exception_fp_denorm_src 0
		.amdhsa_exception_fp_ieee_div_zero 0
		.amdhsa_exception_fp_ieee_overflow 0
		.amdhsa_exception_fp_ieee_underflow 0
		.amdhsa_exception_fp_ieee_inexact 0
		.amdhsa_exception_int_div_zero 0
	.end_amdhsa_kernel
	.section	.text._ZN2at6native12_GLOBAL__N_127reflection_pad2d_out_kernelIaEEvPKT_PS3_lliiiiiii,"axG",@progbits,_ZN2at6native12_GLOBAL__N_127reflection_pad2d_out_kernelIaEEvPKT_PS3_lliiiiiii,comdat
.Lfunc_end1:
	.size	_ZN2at6native12_GLOBAL__N_127reflection_pad2d_out_kernelIaEEvPKT_PS3_lliiiiiii, .Lfunc_end1-_ZN2at6native12_GLOBAL__N_127reflection_pad2d_out_kernelIaEEvPKT_PS3_lliiiiiii
                                        ; -- End function
	.set _ZN2at6native12_GLOBAL__N_127reflection_pad2d_out_kernelIaEEvPKT_PS3_lliiiiiii.num_vgpr, 24
	.set _ZN2at6native12_GLOBAL__N_127reflection_pad2d_out_kernelIaEEvPKT_PS3_lliiiiiii.num_agpr, 0
	.set _ZN2at6native12_GLOBAL__N_127reflection_pad2d_out_kernelIaEEvPKT_PS3_lliiiiiii.numbered_sgpr, 41
	.set _ZN2at6native12_GLOBAL__N_127reflection_pad2d_out_kernelIaEEvPKT_PS3_lliiiiiii.num_named_barrier, 0
	.set _ZN2at6native12_GLOBAL__N_127reflection_pad2d_out_kernelIaEEvPKT_PS3_lliiiiiii.private_seg_size, 0
	.set _ZN2at6native12_GLOBAL__N_127reflection_pad2d_out_kernelIaEEvPKT_PS3_lliiiiiii.uses_vcc, 1
	.set _ZN2at6native12_GLOBAL__N_127reflection_pad2d_out_kernelIaEEvPKT_PS3_lliiiiiii.uses_flat_scratch, 0
	.set _ZN2at6native12_GLOBAL__N_127reflection_pad2d_out_kernelIaEEvPKT_PS3_lliiiiiii.has_dyn_sized_stack, 0
	.set _ZN2at6native12_GLOBAL__N_127reflection_pad2d_out_kernelIaEEvPKT_PS3_lliiiiiii.has_recursion, 0
	.set _ZN2at6native12_GLOBAL__N_127reflection_pad2d_out_kernelIaEEvPKT_PS3_lliiiiiii.has_indirect_call, 0
	.section	.AMDGPU.csdata,"",@progbits
; Kernel info:
; codeLenInByte = 1384
; TotalNumSgprs: 43
; NumVgprs: 24
; ScratchSize: 0
; MemoryBound: 0
; FloatMode: 240
; IeeeMode: 1
; LDSByteSize: 0 bytes/workgroup (compile time only)
; SGPRBlocks: 0
; VGPRBlocks: 1
; NumSGPRsForWavesPerEU: 43
; NumVGPRsForWavesPerEU: 24
; NamedBarCnt: 0
; Occupancy: 16
; WaveLimiterHint : 0
; COMPUTE_PGM_RSRC2:SCRATCH_EN: 0
; COMPUTE_PGM_RSRC2:USER_SGPR: 2
; COMPUTE_PGM_RSRC2:TRAP_HANDLER: 0
; COMPUTE_PGM_RSRC2:TGID_X_EN: 1
; COMPUTE_PGM_RSRC2:TGID_Y_EN: 1
; COMPUTE_PGM_RSRC2:TGID_Z_EN: 1
; COMPUTE_PGM_RSRC2:TIDIG_COMP_CNT: 0
	.section	.text._ZN2at6native12_GLOBAL__N_127reflection_pad2d_out_kernelIiEEvPKT_PS3_lliiiiiii,"axG",@progbits,_ZN2at6native12_GLOBAL__N_127reflection_pad2d_out_kernelIiEEvPKT_PS3_lliiiiiii,comdat
	.globl	_ZN2at6native12_GLOBAL__N_127reflection_pad2d_out_kernelIiEEvPKT_PS3_lliiiiiii ; -- Begin function _ZN2at6native12_GLOBAL__N_127reflection_pad2d_out_kernelIiEEvPKT_PS3_lliiiiiii
	.p2align	8
	.type	_ZN2at6native12_GLOBAL__N_127reflection_pad2d_out_kernelIiEEvPKT_PS3_lliiiiiii,@function
_ZN2at6native12_GLOBAL__N_127reflection_pad2d_out_kernelIiEEvPKT_PS3_lliiiiiii: ; @_ZN2at6native12_GLOBAL__N_127reflection_pad2d_out_kernelIiEEvPKT_PS3_lliiiiiii
; %bb.0:
	s_clause 0x2
	s_load_b32 s2, s[0:1], 0x4c
	s_load_b128 s[20:23], s[0:1], 0x20
	s_load_b256 s[4:11], s[0:1], 0x0
	s_bfe_u32 s3, ttmp6, 0x4000c
	s_and_b32 s12, ttmp6, 15
	s_add_co_i32 s3, s3, 1
	s_getreg_b32 s15, hwreg(HW_REG_IB_STS2, 6, 4)
	s_mul_i32 s3, ttmp9, s3
	v_mov_b32_e32 v1, 0
	s_add_co_i32 s3, s12, s3
	s_wait_kmcnt 0x0
	s_and_b32 s14, s2, 0xffff
	s_cmp_eq_u32 s15, 0
	s_mov_b32 s2, s22
	s_cselect_b32 s16, ttmp9, s3
	s_ashr_i32 s3, s22, 31
	v_mad_u32 v0, s16, s14, v0
	s_mov_b32 s12, s23
	s_ashr_i32 s13, s23, 31
	s_add_nc_u64 s[18:19], s[8:9], s[2:3]
	s_ashr_i32 s23, s20, 31
	s_mov_b32 s22, s20
	s_add_nc_u64 s[16:17], s[18:19], s[12:13]
	s_add_nc_u64 s[24:25], s[10:11], s[22:23]
	s_ashr_i32 s13, s21, 31
	s_mov_b32 s12, s21
	s_delay_alu instid0(SALU_CYCLE_1) | instskip(NEXT) | instid1(SALU_CYCLE_1)
	s_add_nc_u64 s[20:21], s[24:25], s[12:13]
	s_mul_u64 s[12:13], s[16:17], s[20:21]
	s_delay_alu instid0(SALU_CYCLE_1)
	v_cmp_gt_i64_e32 vcc_lo, s[12:13], v[0:1]
	s_and_saveexec_b32 s12, vcc_lo
	s_cbranch_execz .LBB2_5
; %bb.1:
	s_load_b96 s[12:14], s[0:1], 0x30
	s_wait_xcnt 0x0
	s_and_b64 s[0:1], s[16:17], 0xffffffff00000000
	s_delay_alu instid0(SALU_CYCLE_1)
	s_cmp_lg_u64 s[0:1], 0
	s_cbranch_scc0 .LBB2_6
; %bb.2:
	s_ashr_i32 s26, s17, 31
	v_add_nc_u64_e32 v[2:3], 0, v[0:1]
	s_mov_b32 s27, s26
	v_mov_b32_e32 v5, 0
	s_add_nc_u64 s[0:1], s[16:17], s[26:27]
	s_delay_alu instid0(SALU_CYCLE_1) | instskip(NEXT) | instid1(VALU_DEP_2)
	s_xor_b64 s[28:29], s[0:1], s[26:27]
	v_mov_b32_e32 v4, v2
	s_cvt_f32_u32 s0, s28
	s_cvt_f32_u32 s1, s29
	s_sub_nc_u64 s[34:35], 0, s[28:29]
	s_delay_alu instid0(SALU_CYCLE_2) | instskip(NEXT) | instid1(SALU_CYCLE_3)
	s_fmamk_f32 s0, s1, 0x4f800000, s0
	v_s_rcp_f32 s0, s0
	s_delay_alu instid0(TRANS32_DEP_1) | instskip(NEXT) | instid1(SALU_CYCLE_3)
	s_mul_f32 s0, s0, 0x5f7ffffc
	s_mul_f32 s1, s0, 0x2f800000
	s_delay_alu instid0(SALU_CYCLE_3) | instskip(NEXT) | instid1(SALU_CYCLE_3)
	s_trunc_f32 s1, s1
	s_fmamk_f32 s0, s1, 0xcf800000, s0
	s_cvt_u32_f32 s31, s1
	s_mov_b32 s1, 0
	s_delay_alu instid0(SALU_CYCLE_1) | instskip(NEXT) | instid1(SALU_CYCLE_3)
	s_cvt_u32_f32 s30, s0
	s_mul_u64 s[36:37], s[34:35], s[30:31]
	s_delay_alu instid0(SALU_CYCLE_1)
	s_mul_hi_u32 s39, s30, s37
	s_mul_i32 s38, s30, s37
	s_mul_hi_u32 s0, s30, s36
	s_mul_i32 s33, s31, s36
	s_add_nc_u64 s[38:39], s[0:1], s[38:39]
	s_mul_hi_u32 s27, s31, s36
	s_mul_hi_u32 s40, s31, s37
	s_add_co_u32 s0, s38, s33
	s_add_co_ci_u32 s0, s39, s27
	s_mul_i32 s36, s31, s37
	s_add_co_ci_u32 s37, s40, 0
	s_delay_alu instid0(SALU_CYCLE_1) | instskip(NEXT) | instid1(SALU_CYCLE_1)
	s_add_nc_u64 s[36:37], s[0:1], s[36:37]
	s_add_co_u32 s30, s30, s36
	s_cselect_b32 s0, -1, 0
	s_delay_alu instid0(SALU_CYCLE_1) | instskip(SKIP_1) | instid1(SALU_CYCLE_1)
	s_cmp_lg_u32 s0, 0
	s_add_co_ci_u32 s31, s31, s37
	s_mul_u64 s[34:35], s[34:35], s[30:31]
	s_delay_alu instid0(SALU_CYCLE_1)
	s_mul_hi_u32 s37, s30, s35
	s_mul_i32 s36, s30, s35
	s_mul_hi_u32 s0, s30, s34
	s_mul_i32 s33, s31, s34
	s_add_nc_u64 s[36:37], s[0:1], s[36:37]
	s_mul_hi_u32 s27, s31, s34
	s_mul_hi_u32 s38, s31, s35
	s_add_co_u32 s0, s36, s33
	s_add_co_ci_u32 s0, s37, s27
	s_mul_i32 s34, s31, s35
	s_add_co_ci_u32 s35, s38, 0
	s_delay_alu instid0(SALU_CYCLE_1) | instskip(NEXT) | instid1(SALU_CYCLE_1)
	s_add_nc_u64 s[34:35], s[0:1], s[34:35]
	s_add_co_u32 s30, s30, s34
	s_cselect_b32 s0, -1, 0
	s_delay_alu instid0(SALU_CYCLE_1)
	s_cmp_lg_u32 s0, 0
	s_add_co_ci_u32 s0, s31, s35
	s_mov_b64 s[34:35], 0xffffffff
	v_nop
	v_mul_u64_e32 v[6:7], s[0:1], v[4:5]
	v_mul_hi_u32 v4, v2, s30
	s_and_b64 s[30:31], s[30:31], s[34:35]
	s_delay_alu instid0(VALU_DEP_1) | instskip(SKIP_1) | instid1(VALU_DEP_1)
	v_add_nc_u64_e32 v[6:7], v[4:5], v[6:7]
	v_mov_b32_e32 v4, v3
	v_mul_u64_e32 v[8:9], s[30:31], v[4:5]
	v_mul_u64_e32 v[10:11], s[0:1], v[4:5]
	s_delay_alu instid0(VALU_DEP_2) | instskip(NEXT) | instid1(VALU_DEP_3)
	v_add_co_u32 v4, vcc_lo, v6, v8
	v_add_co_ci_u32_e32 v4, vcc_lo, v7, v9, vcc_lo
	s_delay_alu instid0(VALU_DEP_3) | instskip(NEXT) | instid1(VALU_DEP_1)
	v_add_co_ci_u32_e32 v11, vcc_lo, 0, v11, vcc_lo
	v_add_nc_u64_e32 v[4:5], v[4:5], v[10:11]
	s_delay_alu instid0(VALU_DEP_1) | instskip(NEXT) | instid1(VALU_DEP_1)
	v_mul_u64_e32 v[6:7], s[28:29], v[4:5]
	v_sub_nc_u32_e32 v8, v3, v7
	s_delay_alu instid0(VALU_DEP_2) | instskip(NEXT) | instid1(VALU_DEP_1)
	v_sub_co_u32 v2, vcc_lo, v2, v6
	v_sub_co_ci_u32_e64 v7, null, v3, v7, vcc_lo
	s_delay_alu instid0(VALU_DEP_3) | instskip(NEXT) | instid1(VALU_DEP_3)
	v_subrev_co_ci_u32_e64 v6, null, s29, v8, vcc_lo
	v_sub_co_u32 v10, s0, v2, s28
	v_cmp_le_u32_e32 vcc_lo, s28, v2
	s_delay_alu instid0(VALU_DEP_3) | instskip(NEXT) | instid1(VALU_DEP_3)
	v_subrev_co_ci_u32_e64 v6, null, 0, v6, s0
	v_cmp_le_u32_e64 s0, s28, v10
	v_add_nc_u64_e32 v[8:9], 2, v[4:5]
	v_cndmask_b32_e64 v12, 0, -1, vcc_lo
	s_delay_alu instid0(VALU_DEP_4) | instskip(SKIP_3) | instid1(VALU_DEP_1)
	v_cmp_eq_u32_e32 vcc_lo, s29, v6
	v_add_nc_u64_e32 v[2:3], 1, v[4:5]
	v_cndmask_b32_e64 v10, 0, -1, s0
	v_cmp_le_u32_e64 s0, s29, v6
	v_cndmask_b32_e64 v11, 0, -1, s0
	v_cmp_eq_u32_e64 s0, s29, v7
	s_delay_alu instid0(VALU_DEP_2) | instskip(SKIP_2) | instid1(VALU_DEP_3)
	v_cndmask_b32_e32 v6, v11, v10, vcc_lo
	v_cmp_le_u32_e32 vcc_lo, s29, v7
	v_cndmask_b32_e64 v10, 0, -1, vcc_lo
	v_cmp_ne_u32_e32 vcc_lo, 0, v6
	s_delay_alu instid0(VALU_DEP_2) | instskip(SKIP_1) | instid1(VALU_DEP_2)
	v_dual_cndmask_b32 v6, v10, v12, s0 :: v_dual_cndmask_b32 v3, v3, v9, vcc_lo
	v_cndmask_b32_e32 v2, v2, v8, vcc_lo
	v_cmp_ne_u32_e32 vcc_lo, 0, v6
	s_delay_alu instid0(VALU_DEP_2) | instskip(SKIP_1) | instid1(VALU_DEP_2)
	v_dual_cndmask_b32 v5, v5, v3 :: v_dual_cndmask_b32 v4, v4, v2
	v_dual_mov_b32 v3, s26 :: v_dual_mov_b32 v2, s26
	v_xor_b32_e32 v5, s26, v5
	s_delay_alu instid0(VALU_DEP_3) | instskip(NEXT) | instid1(VALU_DEP_1)
	v_xor_b32_e32 v4, s26, v4
	v_sub_nc_u64_e32 v[2:3], v[4:5], v[2:3]
	s_cbranch_execnz .LBB2_4
.LBB2_3:
	v_cvt_f32_u32_e32 v2, s16
	s_sub_co_i32 s0, 0, s16
	s_delay_alu instid0(VALU_DEP_1) | instskip(SKIP_1) | instid1(TRANS32_DEP_1)
	v_rcp_iflag_f32_e32 v2, v2
	v_nop
	v_mul_f32_e32 v2, 0x4f7ffffe, v2
	s_delay_alu instid0(VALU_DEP_1) | instskip(NEXT) | instid1(VALU_DEP_1)
	v_cvt_u32_f32_e32 v2, v2
	v_mul_lo_u32 v3, s0, v2
	s_delay_alu instid0(VALU_DEP_1) | instskip(NEXT) | instid1(VALU_DEP_1)
	v_mul_hi_u32 v3, v2, v3
	v_add_nc_u32_e32 v2, v2, v3
	s_delay_alu instid0(VALU_DEP_1) | instskip(NEXT) | instid1(VALU_DEP_1)
	v_mul_hi_u32 v2, v0, v2
	v_mul_lo_u32 v3, v2, s16
	s_delay_alu instid0(VALU_DEP_1) | instskip(NEXT) | instid1(VALU_DEP_1)
	v_dual_add_nc_u32 v4, 1, v2 :: v_dual_sub_nc_u32 v3, v0, v3
	v_subrev_nc_u32_e32 v5, s16, v3
	v_cmp_le_u32_e32 vcc_lo, s16, v3
	s_delay_alu instid0(VALU_DEP_2) | instskip(NEXT) | instid1(VALU_DEP_1)
	v_dual_cndmask_b32 v3, v3, v5 :: v_dual_cndmask_b32 v2, v2, v4
	v_cmp_le_u32_e32 vcc_lo, s16, v3
	s_delay_alu instid0(VALU_DEP_2) | instskip(NEXT) | instid1(VALU_DEP_1)
	v_dual_mov_b32 v3, 0 :: v_dual_add_nc_u32 v4, 1, v2
	v_cndmask_b32_e32 v2, v2, v4, vcc_lo
.LBB2_4:
	s_delay_alu instid0(VALU_DEP_1)
	v_mul_u64_e32 v[4:5], s[16:17], v[2:3]
	v_max_i64 v[6:7], s[22:23], 0
	v_sub_nc_u64_e64 v[8:9], v[2:3], s[24:25]
	s_sub_nc_u64 s[0:1], 0, s[22:23]
	v_sub_nc_u64_e64 v[14:15], v[2:3], s[22:23]
	v_max_i64 v[10:11], s[0:1], 0
	s_bfe_u32 s29, ttmp6, 0x40010
	s_bfe_u32 s1, ttmp6, 0x40014
	s_and_b32 s28, ttmp7, 0xffff
	v_add_nc_u64_e32 v[12:13], 1, v[8:9]
	v_not_b32_e32 v9, v9
	v_not_b32_e32 v8, v8
	v_sub_nc_u64_e32 v[16:17], 0, v[14:15]
	s_lshr_b32 s30, ttmp7, 16
	s_add_co_i32 s29, s29, 1
	s_add_co_i32 s1, s1, 1
	v_max_i64 v[8:9], v[12:13], v[8:9]
	s_bfe_u32 s0, ttmp6, 0x40004
	s_bfe_u32 s31, ttmp6, 0x40008
	s_mul_i32 s29, s28, s29
	s_mul_i32 s1, s30, s1
	s_add_co_i32 s29, s0, s29
	s_add_co_i32 s31, s31, s1
	s_add_nc_u64 s[0:1], s[24:25], s[22:23]
	v_max_i64 v[12:13], s[2:3], 0
	s_cmp_eq_u32 s15, 0
	s_sub_nc_u64 s[26:27], 0, s[2:3]
	s_cselect_b32 s15, s30, s31
	s_cselect_b32 s22, s28, s29
	v_sub_nc_u64_e32 v[0:1], v[0:1], v[4:5]
	v_not_b32_e32 v6, v6
	v_not_b32_e32 v7, v7
	v_max_i64 v[4:5], v[14:15], v[16:17]
	s_delay_alu instid0(VALU_DEP_2)
	v_add_nc_u64_e32 v[6:7], s[0:1], v[6:7]
	v_sub_nc_u64_e64 v[14:15], v[0:1], s[18:19]
	s_wait_kmcnt 0x0
	s_add_co_i32 s1, s13, s15
	s_add_co_i32 s0, s12, s22
	s_mul_i32 s12, s1, s14
	s_mov_b32 s1, 0
	s_add_co_i32 s0, s0, s12
	v_add_nc_u64_e32 v[6:7], v[6:7], v[10:11]
	v_add_nc_u64_e32 v[16:17], 1, v[14:15]
	v_not_b32_e32 v15, v15
	v_not_b32_e32 v14, v14
	s_mul_u64 s[10:11], s[10:11], s[0:1]
	v_add_nc_u64_e32 v[8:9], v[2:3], v[8:9]
	v_mad_nc_u64_u32 v[2:3], s20, s0, v[2:3]
	v_add_nc_u64_e32 v[6:7], s[10:11], v[6:7]
	v_max_i64 v[10:11], v[16:17], v[14:15]
	v_max_i64 v[14:15], s[26:27], 0
	v_sub_nc_u64_e64 v[16:17], v[0:1], s[2:3]
	s_add_nc_u64 s[2:3], s[18:19], s[2:3]
	s_delay_alu instid0(VALU_DEP_4) | instskip(NEXT) | instid1(VALU_DEP_2)
	v_sub_nc_u64_e32 v[6:7], v[6:7], v[8:9]
	v_sub_nc_u64_e32 v[8:9], 0, v[16:17]
	v_mad_u32 v3, s21, s0, v3
	s_delay_alu instid0(VALU_DEP_3) | instskip(SKIP_3) | instid1(VALU_DEP_2)
	v_add_nc_u64_e32 v[4:5], v[6:7], v[4:5]
	v_not_b32_e32 v6, v12
	v_not_b32_e32 v7, v13
	v_max_i64 v[8:9], v[16:17], v[8:9]
	v_add_nc_u64_e32 v[6:7], s[2:3], v[6:7]
	v_mul_u64_e32 v[4:5], s[8:9], v[4:5]
	v_mul_u64_e32 v[2:3], s[16:17], v[2:3]
	v_add_nc_u64_e32 v[10:11], v[0:1], v[10:11]
	s_delay_alu instid0(VALU_DEP_4) | instskip(NEXT) | instid1(VALU_DEP_1)
	v_add_nc_u64_e32 v[6:7], v[6:7], v[14:15]
	v_sub_nc_u64_e32 v[6:7], v[6:7], v[10:11]
	s_delay_alu instid0(VALU_DEP_1) | instskip(NEXT) | instid1(VALU_DEP_1)
	v_lshl_add_u64 v[6:7], v[6:7], 2, s[4:5]
	v_lshl_add_u64 v[6:7], v[8:9], 2, v[6:7]
	;; [unrolled: 1-line block ×3, first 2 shown]
	s_delay_alu instid0(VALU_DEP_2) | instskip(NEXT) | instid1(VALU_DEP_2)
	v_lshl_add_u64 v[4:5], v[4:5], 2, v[6:7]
	v_lshl_add_u64 v[0:1], v[0:1], 2, v[2:3]
	global_load_b32 v4, v[4:5], off
	s_wait_loadcnt 0x0
	global_store_b32 v[0:1], v4, off
.LBB2_5:
	s_endpgm
.LBB2_6:
                                        ; implicit-def: $vgpr2_vgpr3
	s_branch .LBB2_3
	.section	.rodata,"a",@progbits
	.p2align	6, 0x0
	.amdhsa_kernel _ZN2at6native12_GLOBAL__N_127reflection_pad2d_out_kernelIiEEvPKT_PS3_lliiiiiii
		.amdhsa_group_segment_fixed_size 0
		.amdhsa_private_segment_fixed_size 0
		.amdhsa_kernarg_size 320
		.amdhsa_user_sgpr_count 2
		.amdhsa_user_sgpr_dispatch_ptr 0
		.amdhsa_user_sgpr_queue_ptr 0
		.amdhsa_user_sgpr_kernarg_segment_ptr 1
		.amdhsa_user_sgpr_dispatch_id 0
		.amdhsa_user_sgpr_kernarg_preload_length 0
		.amdhsa_user_sgpr_kernarg_preload_offset 0
		.amdhsa_user_sgpr_private_segment_size 0
		.amdhsa_wavefront_size32 1
		.amdhsa_uses_dynamic_stack 0
		.amdhsa_enable_private_segment 0
		.amdhsa_system_sgpr_workgroup_id_x 1
		.amdhsa_system_sgpr_workgroup_id_y 1
		.amdhsa_system_sgpr_workgroup_id_z 1
		.amdhsa_system_sgpr_workgroup_info 0
		.amdhsa_system_vgpr_workitem_id 0
		.amdhsa_next_free_vgpr 18
		.amdhsa_next_free_sgpr 41
		.amdhsa_named_barrier_count 0
		.amdhsa_reserve_vcc 1
		.amdhsa_float_round_mode_32 0
		.amdhsa_float_round_mode_16_64 0
		.amdhsa_float_denorm_mode_32 3
		.amdhsa_float_denorm_mode_16_64 3
		.amdhsa_fp16_overflow 0
		.amdhsa_memory_ordered 1
		.amdhsa_forward_progress 1
		.amdhsa_inst_pref_size 11
		.amdhsa_round_robin_scheduling 0
		.amdhsa_exception_fp_ieee_invalid_op 0
		.amdhsa_exception_fp_denorm_src 0
		.amdhsa_exception_fp_ieee_div_zero 0
		.amdhsa_exception_fp_ieee_overflow 0
		.amdhsa_exception_fp_ieee_underflow 0
		.amdhsa_exception_fp_ieee_inexact 0
		.amdhsa_exception_int_div_zero 0
	.end_amdhsa_kernel
	.section	.text._ZN2at6native12_GLOBAL__N_127reflection_pad2d_out_kernelIiEEvPKT_PS3_lliiiiiii,"axG",@progbits,_ZN2at6native12_GLOBAL__N_127reflection_pad2d_out_kernelIiEEvPKT_PS3_lliiiiiii,comdat
.Lfunc_end2:
	.size	_ZN2at6native12_GLOBAL__N_127reflection_pad2d_out_kernelIiEEvPKT_PS3_lliiiiiii, .Lfunc_end2-_ZN2at6native12_GLOBAL__N_127reflection_pad2d_out_kernelIiEEvPKT_PS3_lliiiiiii
                                        ; -- End function
	.set _ZN2at6native12_GLOBAL__N_127reflection_pad2d_out_kernelIiEEvPKT_PS3_lliiiiiii.num_vgpr, 18
	.set _ZN2at6native12_GLOBAL__N_127reflection_pad2d_out_kernelIiEEvPKT_PS3_lliiiiiii.num_agpr, 0
	.set _ZN2at6native12_GLOBAL__N_127reflection_pad2d_out_kernelIiEEvPKT_PS3_lliiiiiii.numbered_sgpr, 41
	.set _ZN2at6native12_GLOBAL__N_127reflection_pad2d_out_kernelIiEEvPKT_PS3_lliiiiiii.num_named_barrier, 0
	.set _ZN2at6native12_GLOBAL__N_127reflection_pad2d_out_kernelIiEEvPKT_PS3_lliiiiiii.private_seg_size, 0
	.set _ZN2at6native12_GLOBAL__N_127reflection_pad2d_out_kernelIiEEvPKT_PS3_lliiiiiii.uses_vcc, 1
	.set _ZN2at6native12_GLOBAL__N_127reflection_pad2d_out_kernelIiEEvPKT_PS3_lliiiiiii.uses_flat_scratch, 0
	.set _ZN2at6native12_GLOBAL__N_127reflection_pad2d_out_kernelIiEEvPKT_PS3_lliiiiiii.has_dyn_sized_stack, 0
	.set _ZN2at6native12_GLOBAL__N_127reflection_pad2d_out_kernelIiEEvPKT_PS3_lliiiiiii.has_recursion, 0
	.set _ZN2at6native12_GLOBAL__N_127reflection_pad2d_out_kernelIiEEvPKT_PS3_lliiiiiii.has_indirect_call, 0
	.section	.AMDGPU.csdata,"",@progbits
; Kernel info:
; codeLenInByte = 1348
; TotalNumSgprs: 43
; NumVgprs: 18
; ScratchSize: 0
; MemoryBound: 0
; FloatMode: 240
; IeeeMode: 1
; LDSByteSize: 0 bytes/workgroup (compile time only)
; SGPRBlocks: 0
; VGPRBlocks: 1
; NumSGPRsForWavesPerEU: 43
; NumVGPRsForWavesPerEU: 18
; NamedBarCnt: 0
; Occupancy: 16
; WaveLimiterHint : 0
; COMPUTE_PGM_RSRC2:SCRATCH_EN: 0
; COMPUTE_PGM_RSRC2:USER_SGPR: 2
; COMPUTE_PGM_RSRC2:TRAP_HANDLER: 0
; COMPUTE_PGM_RSRC2:TGID_X_EN: 1
; COMPUTE_PGM_RSRC2:TGID_Y_EN: 1
; COMPUTE_PGM_RSRC2:TGID_Z_EN: 1
; COMPUTE_PGM_RSRC2:TIDIG_COMP_CNT: 0
	.section	.text._ZN2at6native12_GLOBAL__N_127reflection_pad2d_out_kernelIlEEvPKT_PS3_lliiiiiii,"axG",@progbits,_ZN2at6native12_GLOBAL__N_127reflection_pad2d_out_kernelIlEEvPKT_PS3_lliiiiiii,comdat
	.globl	_ZN2at6native12_GLOBAL__N_127reflection_pad2d_out_kernelIlEEvPKT_PS3_lliiiiiii ; -- Begin function _ZN2at6native12_GLOBAL__N_127reflection_pad2d_out_kernelIlEEvPKT_PS3_lliiiiiii
	.p2align	8
	.type	_ZN2at6native12_GLOBAL__N_127reflection_pad2d_out_kernelIlEEvPKT_PS3_lliiiiiii,@function
_ZN2at6native12_GLOBAL__N_127reflection_pad2d_out_kernelIlEEvPKT_PS3_lliiiiiii: ; @_ZN2at6native12_GLOBAL__N_127reflection_pad2d_out_kernelIlEEvPKT_PS3_lliiiiiii
; %bb.0:
	s_clause 0x2
	s_load_b32 s2, s[0:1], 0x4c
	s_load_b128 s[20:23], s[0:1], 0x20
	s_load_b256 s[4:11], s[0:1], 0x0
	s_bfe_u32 s3, ttmp6, 0x4000c
	s_and_b32 s12, ttmp6, 15
	s_add_co_i32 s3, s3, 1
	s_getreg_b32 s15, hwreg(HW_REG_IB_STS2, 6, 4)
	s_mul_i32 s3, ttmp9, s3
	v_mov_b32_e32 v1, 0
	s_add_co_i32 s3, s12, s3
	s_wait_kmcnt 0x0
	s_and_b32 s14, s2, 0xffff
	s_cmp_eq_u32 s15, 0
	s_mov_b32 s2, s22
	s_cselect_b32 s16, ttmp9, s3
	s_ashr_i32 s3, s22, 31
	v_mad_u32 v0, s16, s14, v0
	s_mov_b32 s12, s23
	s_ashr_i32 s13, s23, 31
	s_add_nc_u64 s[18:19], s[8:9], s[2:3]
	s_ashr_i32 s23, s20, 31
	s_mov_b32 s22, s20
	s_add_nc_u64 s[16:17], s[18:19], s[12:13]
	s_add_nc_u64 s[24:25], s[10:11], s[22:23]
	s_ashr_i32 s13, s21, 31
	s_mov_b32 s12, s21
	s_delay_alu instid0(SALU_CYCLE_1) | instskip(NEXT) | instid1(SALU_CYCLE_1)
	s_add_nc_u64 s[20:21], s[24:25], s[12:13]
	s_mul_u64 s[12:13], s[16:17], s[20:21]
	s_delay_alu instid0(SALU_CYCLE_1)
	v_cmp_gt_i64_e32 vcc_lo, s[12:13], v[0:1]
	s_and_saveexec_b32 s12, vcc_lo
	s_cbranch_execz .LBB3_5
; %bb.1:
	s_load_b96 s[12:14], s[0:1], 0x30
	s_wait_xcnt 0x0
	s_and_b64 s[0:1], s[16:17], 0xffffffff00000000
	s_delay_alu instid0(SALU_CYCLE_1)
	s_cmp_lg_u64 s[0:1], 0
	s_cbranch_scc0 .LBB3_6
; %bb.2:
	s_ashr_i32 s26, s17, 31
	v_add_nc_u64_e32 v[2:3], 0, v[0:1]
	s_mov_b32 s27, s26
	v_mov_b32_e32 v5, 0
	s_add_nc_u64 s[0:1], s[16:17], s[26:27]
	s_delay_alu instid0(SALU_CYCLE_1) | instskip(NEXT) | instid1(VALU_DEP_2)
	s_xor_b64 s[28:29], s[0:1], s[26:27]
	v_mov_b32_e32 v4, v2
	s_cvt_f32_u32 s0, s28
	s_cvt_f32_u32 s1, s29
	s_sub_nc_u64 s[34:35], 0, s[28:29]
	s_delay_alu instid0(SALU_CYCLE_2) | instskip(NEXT) | instid1(SALU_CYCLE_3)
	s_fmamk_f32 s0, s1, 0x4f800000, s0
	v_s_rcp_f32 s0, s0
	s_delay_alu instid0(TRANS32_DEP_1) | instskip(NEXT) | instid1(SALU_CYCLE_3)
	s_mul_f32 s0, s0, 0x5f7ffffc
	s_mul_f32 s1, s0, 0x2f800000
	s_delay_alu instid0(SALU_CYCLE_3) | instskip(NEXT) | instid1(SALU_CYCLE_3)
	s_trunc_f32 s1, s1
	s_fmamk_f32 s0, s1, 0xcf800000, s0
	s_cvt_u32_f32 s31, s1
	s_mov_b32 s1, 0
	s_delay_alu instid0(SALU_CYCLE_1) | instskip(NEXT) | instid1(SALU_CYCLE_3)
	s_cvt_u32_f32 s30, s0
	s_mul_u64 s[36:37], s[34:35], s[30:31]
	s_delay_alu instid0(SALU_CYCLE_1)
	s_mul_hi_u32 s39, s30, s37
	s_mul_i32 s38, s30, s37
	s_mul_hi_u32 s0, s30, s36
	s_mul_i32 s33, s31, s36
	s_add_nc_u64 s[38:39], s[0:1], s[38:39]
	s_mul_hi_u32 s27, s31, s36
	s_mul_hi_u32 s40, s31, s37
	s_add_co_u32 s0, s38, s33
	s_add_co_ci_u32 s0, s39, s27
	s_mul_i32 s36, s31, s37
	s_add_co_ci_u32 s37, s40, 0
	s_delay_alu instid0(SALU_CYCLE_1) | instskip(NEXT) | instid1(SALU_CYCLE_1)
	s_add_nc_u64 s[36:37], s[0:1], s[36:37]
	s_add_co_u32 s30, s30, s36
	s_cselect_b32 s0, -1, 0
	s_delay_alu instid0(SALU_CYCLE_1) | instskip(SKIP_1) | instid1(SALU_CYCLE_1)
	s_cmp_lg_u32 s0, 0
	s_add_co_ci_u32 s31, s31, s37
	s_mul_u64 s[34:35], s[34:35], s[30:31]
	s_delay_alu instid0(SALU_CYCLE_1)
	s_mul_hi_u32 s37, s30, s35
	s_mul_i32 s36, s30, s35
	s_mul_hi_u32 s0, s30, s34
	s_mul_i32 s33, s31, s34
	s_add_nc_u64 s[36:37], s[0:1], s[36:37]
	s_mul_hi_u32 s27, s31, s34
	s_mul_hi_u32 s38, s31, s35
	s_add_co_u32 s0, s36, s33
	s_add_co_ci_u32 s0, s37, s27
	s_mul_i32 s34, s31, s35
	s_add_co_ci_u32 s35, s38, 0
	s_delay_alu instid0(SALU_CYCLE_1) | instskip(NEXT) | instid1(SALU_CYCLE_1)
	s_add_nc_u64 s[34:35], s[0:1], s[34:35]
	s_add_co_u32 s30, s30, s34
	s_cselect_b32 s0, -1, 0
	s_delay_alu instid0(SALU_CYCLE_1)
	s_cmp_lg_u32 s0, 0
	s_add_co_ci_u32 s0, s31, s35
	s_mov_b64 s[34:35], 0xffffffff
	v_nop
	v_mul_u64_e32 v[6:7], s[0:1], v[4:5]
	v_mul_hi_u32 v4, v2, s30
	s_and_b64 s[30:31], s[30:31], s[34:35]
	s_delay_alu instid0(VALU_DEP_1) | instskip(SKIP_1) | instid1(VALU_DEP_1)
	v_add_nc_u64_e32 v[6:7], v[4:5], v[6:7]
	v_mov_b32_e32 v4, v3
	v_mul_u64_e32 v[8:9], s[30:31], v[4:5]
	v_mul_u64_e32 v[10:11], s[0:1], v[4:5]
	s_delay_alu instid0(VALU_DEP_2) | instskip(NEXT) | instid1(VALU_DEP_3)
	v_add_co_u32 v4, vcc_lo, v6, v8
	v_add_co_ci_u32_e32 v4, vcc_lo, v7, v9, vcc_lo
	s_delay_alu instid0(VALU_DEP_3) | instskip(NEXT) | instid1(VALU_DEP_1)
	v_add_co_ci_u32_e32 v11, vcc_lo, 0, v11, vcc_lo
	v_add_nc_u64_e32 v[4:5], v[4:5], v[10:11]
	s_delay_alu instid0(VALU_DEP_1) | instskip(NEXT) | instid1(VALU_DEP_1)
	v_mul_u64_e32 v[6:7], s[28:29], v[4:5]
	v_sub_nc_u32_e32 v8, v3, v7
	s_delay_alu instid0(VALU_DEP_2) | instskip(NEXT) | instid1(VALU_DEP_1)
	v_sub_co_u32 v2, vcc_lo, v2, v6
	v_sub_co_ci_u32_e64 v7, null, v3, v7, vcc_lo
	s_delay_alu instid0(VALU_DEP_3) | instskip(NEXT) | instid1(VALU_DEP_3)
	v_subrev_co_ci_u32_e64 v6, null, s29, v8, vcc_lo
	v_sub_co_u32 v10, s0, v2, s28
	v_cmp_le_u32_e32 vcc_lo, s28, v2
	s_delay_alu instid0(VALU_DEP_3) | instskip(NEXT) | instid1(VALU_DEP_3)
	v_subrev_co_ci_u32_e64 v6, null, 0, v6, s0
	v_cmp_le_u32_e64 s0, s28, v10
	v_add_nc_u64_e32 v[8:9], 2, v[4:5]
	v_cndmask_b32_e64 v12, 0, -1, vcc_lo
	s_delay_alu instid0(VALU_DEP_4) | instskip(SKIP_3) | instid1(VALU_DEP_1)
	v_cmp_eq_u32_e32 vcc_lo, s29, v6
	v_add_nc_u64_e32 v[2:3], 1, v[4:5]
	v_cndmask_b32_e64 v10, 0, -1, s0
	v_cmp_le_u32_e64 s0, s29, v6
	v_cndmask_b32_e64 v11, 0, -1, s0
	v_cmp_eq_u32_e64 s0, s29, v7
	s_delay_alu instid0(VALU_DEP_2) | instskip(SKIP_2) | instid1(VALU_DEP_3)
	v_cndmask_b32_e32 v6, v11, v10, vcc_lo
	v_cmp_le_u32_e32 vcc_lo, s29, v7
	v_cndmask_b32_e64 v10, 0, -1, vcc_lo
	v_cmp_ne_u32_e32 vcc_lo, 0, v6
	s_delay_alu instid0(VALU_DEP_2) | instskip(SKIP_1) | instid1(VALU_DEP_2)
	v_dual_cndmask_b32 v6, v10, v12, s0 :: v_dual_cndmask_b32 v3, v3, v9, vcc_lo
	v_cndmask_b32_e32 v2, v2, v8, vcc_lo
	v_cmp_ne_u32_e32 vcc_lo, 0, v6
	s_delay_alu instid0(VALU_DEP_2) | instskip(SKIP_1) | instid1(VALU_DEP_2)
	v_dual_cndmask_b32 v5, v5, v3 :: v_dual_cndmask_b32 v4, v4, v2
	v_dual_mov_b32 v3, s26 :: v_dual_mov_b32 v2, s26
	v_xor_b32_e32 v5, s26, v5
	s_delay_alu instid0(VALU_DEP_3) | instskip(NEXT) | instid1(VALU_DEP_1)
	v_xor_b32_e32 v4, s26, v4
	v_sub_nc_u64_e32 v[2:3], v[4:5], v[2:3]
	s_cbranch_execnz .LBB3_4
.LBB3_3:
	v_cvt_f32_u32_e32 v2, s16
	s_sub_co_i32 s0, 0, s16
	s_delay_alu instid0(VALU_DEP_1) | instskip(SKIP_1) | instid1(TRANS32_DEP_1)
	v_rcp_iflag_f32_e32 v2, v2
	v_nop
	v_mul_f32_e32 v2, 0x4f7ffffe, v2
	s_delay_alu instid0(VALU_DEP_1) | instskip(NEXT) | instid1(VALU_DEP_1)
	v_cvt_u32_f32_e32 v2, v2
	v_mul_lo_u32 v3, s0, v2
	s_delay_alu instid0(VALU_DEP_1) | instskip(NEXT) | instid1(VALU_DEP_1)
	v_mul_hi_u32 v3, v2, v3
	v_add_nc_u32_e32 v2, v2, v3
	s_delay_alu instid0(VALU_DEP_1) | instskip(NEXT) | instid1(VALU_DEP_1)
	v_mul_hi_u32 v2, v0, v2
	v_mul_lo_u32 v3, v2, s16
	s_delay_alu instid0(VALU_DEP_1) | instskip(NEXT) | instid1(VALU_DEP_1)
	v_dual_add_nc_u32 v4, 1, v2 :: v_dual_sub_nc_u32 v3, v0, v3
	v_subrev_nc_u32_e32 v5, s16, v3
	v_cmp_le_u32_e32 vcc_lo, s16, v3
	s_delay_alu instid0(VALU_DEP_2) | instskip(NEXT) | instid1(VALU_DEP_1)
	v_dual_cndmask_b32 v3, v3, v5 :: v_dual_cndmask_b32 v2, v2, v4
	v_cmp_le_u32_e32 vcc_lo, s16, v3
	s_delay_alu instid0(VALU_DEP_2) | instskip(NEXT) | instid1(VALU_DEP_1)
	v_dual_mov_b32 v3, 0 :: v_dual_add_nc_u32 v4, 1, v2
	v_cndmask_b32_e32 v2, v2, v4, vcc_lo
.LBB3_4:
	s_delay_alu instid0(VALU_DEP_1)
	v_mul_u64_e32 v[4:5], s[16:17], v[2:3]
	v_max_i64 v[6:7], s[22:23], 0
	v_sub_nc_u64_e64 v[8:9], v[2:3], s[24:25]
	s_sub_nc_u64 s[0:1], 0, s[22:23]
	v_sub_nc_u64_e64 v[14:15], v[2:3], s[22:23]
	v_max_i64 v[10:11], s[0:1], 0
	s_bfe_u32 s29, ttmp6, 0x40010
	s_bfe_u32 s1, ttmp6, 0x40014
	s_and_b32 s28, ttmp7, 0xffff
	v_add_nc_u64_e32 v[12:13], 1, v[8:9]
	v_not_b32_e32 v9, v9
	v_not_b32_e32 v8, v8
	v_sub_nc_u64_e32 v[16:17], 0, v[14:15]
	s_lshr_b32 s30, ttmp7, 16
	s_add_co_i32 s29, s29, 1
	s_add_co_i32 s1, s1, 1
	v_max_i64 v[8:9], v[12:13], v[8:9]
	s_bfe_u32 s0, ttmp6, 0x40004
	s_bfe_u32 s31, ttmp6, 0x40008
	s_mul_i32 s29, s28, s29
	s_mul_i32 s1, s30, s1
	s_add_co_i32 s29, s0, s29
	s_add_co_i32 s31, s31, s1
	s_add_nc_u64 s[0:1], s[24:25], s[22:23]
	v_max_i64 v[12:13], s[2:3], 0
	s_cmp_eq_u32 s15, 0
	s_sub_nc_u64 s[26:27], 0, s[2:3]
	s_cselect_b32 s15, s30, s31
	s_cselect_b32 s22, s28, s29
	v_sub_nc_u64_e32 v[0:1], v[0:1], v[4:5]
	v_not_b32_e32 v6, v6
	v_not_b32_e32 v7, v7
	v_max_i64 v[4:5], v[14:15], v[16:17]
	s_delay_alu instid0(VALU_DEP_2)
	v_add_nc_u64_e32 v[6:7], s[0:1], v[6:7]
	v_sub_nc_u64_e64 v[14:15], v[0:1], s[18:19]
	s_wait_kmcnt 0x0
	s_add_co_i32 s1, s13, s15
	s_add_co_i32 s0, s12, s22
	s_mul_i32 s12, s1, s14
	s_mov_b32 s1, 0
	s_add_co_i32 s0, s0, s12
	v_add_nc_u64_e32 v[6:7], v[6:7], v[10:11]
	v_add_nc_u64_e32 v[16:17], 1, v[14:15]
	v_not_b32_e32 v15, v15
	v_not_b32_e32 v14, v14
	s_mul_u64 s[10:11], s[10:11], s[0:1]
	v_add_nc_u64_e32 v[8:9], v[2:3], v[8:9]
	v_mad_nc_u64_u32 v[2:3], s20, s0, v[2:3]
	v_add_nc_u64_e32 v[6:7], s[10:11], v[6:7]
	v_max_i64 v[10:11], v[16:17], v[14:15]
	v_max_i64 v[14:15], s[26:27], 0
	v_sub_nc_u64_e64 v[16:17], v[0:1], s[2:3]
	s_add_nc_u64 s[2:3], s[18:19], s[2:3]
	s_delay_alu instid0(VALU_DEP_4) | instskip(NEXT) | instid1(VALU_DEP_2)
	v_sub_nc_u64_e32 v[6:7], v[6:7], v[8:9]
	v_sub_nc_u64_e32 v[8:9], 0, v[16:17]
	v_mad_u32 v3, s21, s0, v3
	s_delay_alu instid0(VALU_DEP_3) | instskip(SKIP_3) | instid1(VALU_DEP_2)
	v_add_nc_u64_e32 v[4:5], v[6:7], v[4:5]
	v_not_b32_e32 v6, v12
	v_not_b32_e32 v7, v13
	v_max_i64 v[8:9], v[16:17], v[8:9]
	v_add_nc_u64_e32 v[6:7], s[2:3], v[6:7]
	v_mul_u64_e32 v[4:5], s[8:9], v[4:5]
	v_mul_u64_e32 v[2:3], s[16:17], v[2:3]
	v_add_nc_u64_e32 v[10:11], v[0:1], v[10:11]
	s_delay_alu instid0(VALU_DEP_4) | instskip(NEXT) | instid1(VALU_DEP_1)
	v_add_nc_u64_e32 v[6:7], v[6:7], v[14:15]
	v_sub_nc_u64_e32 v[6:7], v[6:7], v[10:11]
	s_delay_alu instid0(VALU_DEP_1) | instskip(NEXT) | instid1(VALU_DEP_1)
	v_lshl_add_u64 v[6:7], v[6:7], 3, s[4:5]
	v_lshl_add_u64 v[6:7], v[8:9], 3, v[6:7]
	;; [unrolled: 1-line block ×3, first 2 shown]
	s_delay_alu instid0(VALU_DEP_2) | instskip(NEXT) | instid1(VALU_DEP_2)
	v_lshl_add_u64 v[4:5], v[4:5], 3, v[6:7]
	v_lshl_add_u64 v[0:1], v[0:1], 3, v[2:3]
	global_load_b64 v[4:5], v[4:5], off
	s_wait_loadcnt 0x0
	global_store_b64 v[0:1], v[4:5], off
.LBB3_5:
	s_endpgm
.LBB3_6:
                                        ; implicit-def: $vgpr2_vgpr3
	s_branch .LBB3_3
	.section	.rodata,"a",@progbits
	.p2align	6, 0x0
	.amdhsa_kernel _ZN2at6native12_GLOBAL__N_127reflection_pad2d_out_kernelIlEEvPKT_PS3_lliiiiiii
		.amdhsa_group_segment_fixed_size 0
		.amdhsa_private_segment_fixed_size 0
		.amdhsa_kernarg_size 320
		.amdhsa_user_sgpr_count 2
		.amdhsa_user_sgpr_dispatch_ptr 0
		.amdhsa_user_sgpr_queue_ptr 0
		.amdhsa_user_sgpr_kernarg_segment_ptr 1
		.amdhsa_user_sgpr_dispatch_id 0
		.amdhsa_user_sgpr_kernarg_preload_length 0
		.amdhsa_user_sgpr_kernarg_preload_offset 0
		.amdhsa_user_sgpr_private_segment_size 0
		.amdhsa_wavefront_size32 1
		.amdhsa_uses_dynamic_stack 0
		.amdhsa_enable_private_segment 0
		.amdhsa_system_sgpr_workgroup_id_x 1
		.amdhsa_system_sgpr_workgroup_id_y 1
		.amdhsa_system_sgpr_workgroup_id_z 1
		.amdhsa_system_sgpr_workgroup_info 0
		.amdhsa_system_vgpr_workitem_id 0
		.amdhsa_next_free_vgpr 18
		.amdhsa_next_free_sgpr 41
		.amdhsa_named_barrier_count 0
		.amdhsa_reserve_vcc 1
		.amdhsa_float_round_mode_32 0
		.amdhsa_float_round_mode_16_64 0
		.amdhsa_float_denorm_mode_32 3
		.amdhsa_float_denorm_mode_16_64 3
		.amdhsa_fp16_overflow 0
		.amdhsa_memory_ordered 1
		.amdhsa_forward_progress 1
		.amdhsa_inst_pref_size 11
		.amdhsa_round_robin_scheduling 0
		.amdhsa_exception_fp_ieee_invalid_op 0
		.amdhsa_exception_fp_denorm_src 0
		.amdhsa_exception_fp_ieee_div_zero 0
		.amdhsa_exception_fp_ieee_overflow 0
		.amdhsa_exception_fp_ieee_underflow 0
		.amdhsa_exception_fp_ieee_inexact 0
		.amdhsa_exception_int_div_zero 0
	.end_amdhsa_kernel
	.section	.text._ZN2at6native12_GLOBAL__N_127reflection_pad2d_out_kernelIlEEvPKT_PS3_lliiiiiii,"axG",@progbits,_ZN2at6native12_GLOBAL__N_127reflection_pad2d_out_kernelIlEEvPKT_PS3_lliiiiiii,comdat
.Lfunc_end3:
	.size	_ZN2at6native12_GLOBAL__N_127reflection_pad2d_out_kernelIlEEvPKT_PS3_lliiiiiii, .Lfunc_end3-_ZN2at6native12_GLOBAL__N_127reflection_pad2d_out_kernelIlEEvPKT_PS3_lliiiiiii
                                        ; -- End function
	.set _ZN2at6native12_GLOBAL__N_127reflection_pad2d_out_kernelIlEEvPKT_PS3_lliiiiiii.num_vgpr, 18
	.set _ZN2at6native12_GLOBAL__N_127reflection_pad2d_out_kernelIlEEvPKT_PS3_lliiiiiii.num_agpr, 0
	.set _ZN2at6native12_GLOBAL__N_127reflection_pad2d_out_kernelIlEEvPKT_PS3_lliiiiiii.numbered_sgpr, 41
	.set _ZN2at6native12_GLOBAL__N_127reflection_pad2d_out_kernelIlEEvPKT_PS3_lliiiiiii.num_named_barrier, 0
	.set _ZN2at6native12_GLOBAL__N_127reflection_pad2d_out_kernelIlEEvPKT_PS3_lliiiiiii.private_seg_size, 0
	.set _ZN2at6native12_GLOBAL__N_127reflection_pad2d_out_kernelIlEEvPKT_PS3_lliiiiiii.uses_vcc, 1
	.set _ZN2at6native12_GLOBAL__N_127reflection_pad2d_out_kernelIlEEvPKT_PS3_lliiiiiii.uses_flat_scratch, 0
	.set _ZN2at6native12_GLOBAL__N_127reflection_pad2d_out_kernelIlEEvPKT_PS3_lliiiiiii.has_dyn_sized_stack, 0
	.set _ZN2at6native12_GLOBAL__N_127reflection_pad2d_out_kernelIlEEvPKT_PS3_lliiiiiii.has_recursion, 0
	.set _ZN2at6native12_GLOBAL__N_127reflection_pad2d_out_kernelIlEEvPKT_PS3_lliiiiiii.has_indirect_call, 0
	.section	.AMDGPU.csdata,"",@progbits
; Kernel info:
; codeLenInByte = 1348
; TotalNumSgprs: 43
; NumVgprs: 18
; ScratchSize: 0
; MemoryBound: 0
; FloatMode: 240
; IeeeMode: 1
; LDSByteSize: 0 bytes/workgroup (compile time only)
; SGPRBlocks: 0
; VGPRBlocks: 1
; NumSGPRsForWavesPerEU: 43
; NumVGPRsForWavesPerEU: 18
; NamedBarCnt: 0
; Occupancy: 16
; WaveLimiterHint : 0
; COMPUTE_PGM_RSRC2:SCRATCH_EN: 0
; COMPUTE_PGM_RSRC2:USER_SGPR: 2
; COMPUTE_PGM_RSRC2:TRAP_HANDLER: 0
; COMPUTE_PGM_RSRC2:TGID_X_EN: 1
; COMPUTE_PGM_RSRC2:TGID_Y_EN: 1
; COMPUTE_PGM_RSRC2:TGID_Z_EN: 1
; COMPUTE_PGM_RSRC2:TIDIG_COMP_CNT: 0
	.section	.text._ZN2at6native12_GLOBAL__N_127reflection_pad2d_out_kernelIsEEvPKT_PS3_lliiiiiii,"axG",@progbits,_ZN2at6native12_GLOBAL__N_127reflection_pad2d_out_kernelIsEEvPKT_PS3_lliiiiiii,comdat
	.globl	_ZN2at6native12_GLOBAL__N_127reflection_pad2d_out_kernelIsEEvPKT_PS3_lliiiiiii ; -- Begin function _ZN2at6native12_GLOBAL__N_127reflection_pad2d_out_kernelIsEEvPKT_PS3_lliiiiiii
	.p2align	8
	.type	_ZN2at6native12_GLOBAL__N_127reflection_pad2d_out_kernelIsEEvPKT_PS3_lliiiiiii,@function
_ZN2at6native12_GLOBAL__N_127reflection_pad2d_out_kernelIsEEvPKT_PS3_lliiiiiii: ; @_ZN2at6native12_GLOBAL__N_127reflection_pad2d_out_kernelIsEEvPKT_PS3_lliiiiiii
; %bb.0:
	s_clause 0x2
	s_load_b32 s2, s[0:1], 0x4c
	s_load_b128 s[20:23], s[0:1], 0x20
	s_load_b256 s[4:11], s[0:1], 0x0
	s_bfe_u32 s3, ttmp6, 0x4000c
	s_and_b32 s12, ttmp6, 15
	s_add_co_i32 s3, s3, 1
	s_getreg_b32 s15, hwreg(HW_REG_IB_STS2, 6, 4)
	s_mul_i32 s3, ttmp9, s3
	v_mov_b32_e32 v1, 0
	s_add_co_i32 s3, s12, s3
	s_wait_kmcnt 0x0
	s_and_b32 s14, s2, 0xffff
	s_cmp_eq_u32 s15, 0
	s_mov_b32 s2, s22
	s_cselect_b32 s16, ttmp9, s3
	s_ashr_i32 s3, s22, 31
	v_mad_u32 v0, s16, s14, v0
	s_mov_b32 s12, s23
	s_ashr_i32 s13, s23, 31
	s_add_nc_u64 s[18:19], s[8:9], s[2:3]
	s_ashr_i32 s23, s20, 31
	s_mov_b32 s22, s20
	s_add_nc_u64 s[16:17], s[18:19], s[12:13]
	s_add_nc_u64 s[24:25], s[10:11], s[22:23]
	s_ashr_i32 s13, s21, 31
	s_mov_b32 s12, s21
	s_delay_alu instid0(SALU_CYCLE_1) | instskip(NEXT) | instid1(SALU_CYCLE_1)
	s_add_nc_u64 s[20:21], s[24:25], s[12:13]
	s_mul_u64 s[12:13], s[16:17], s[20:21]
	s_delay_alu instid0(SALU_CYCLE_1)
	v_cmp_gt_i64_e32 vcc_lo, s[12:13], v[0:1]
	s_and_saveexec_b32 s12, vcc_lo
	s_cbranch_execz .LBB4_5
; %bb.1:
	s_load_b96 s[12:14], s[0:1], 0x30
	s_wait_xcnt 0x0
	s_and_b64 s[0:1], s[16:17], 0xffffffff00000000
	s_delay_alu instid0(SALU_CYCLE_1)
	s_cmp_lg_u64 s[0:1], 0
	s_cbranch_scc0 .LBB4_6
; %bb.2:
	s_ashr_i32 s26, s17, 31
	v_add_nc_u64_e32 v[2:3], 0, v[0:1]
	s_mov_b32 s27, s26
	v_mov_b32_e32 v5, 0
	s_add_nc_u64 s[0:1], s[16:17], s[26:27]
	s_delay_alu instid0(SALU_CYCLE_1) | instskip(NEXT) | instid1(VALU_DEP_2)
	s_xor_b64 s[28:29], s[0:1], s[26:27]
	v_mov_b32_e32 v4, v2
	s_cvt_f32_u32 s0, s28
	s_cvt_f32_u32 s1, s29
	s_sub_nc_u64 s[34:35], 0, s[28:29]
	s_delay_alu instid0(SALU_CYCLE_2) | instskip(NEXT) | instid1(SALU_CYCLE_3)
	s_fmamk_f32 s0, s1, 0x4f800000, s0
	v_s_rcp_f32 s0, s0
	s_delay_alu instid0(TRANS32_DEP_1) | instskip(NEXT) | instid1(SALU_CYCLE_3)
	s_mul_f32 s0, s0, 0x5f7ffffc
	s_mul_f32 s1, s0, 0x2f800000
	s_delay_alu instid0(SALU_CYCLE_3) | instskip(NEXT) | instid1(SALU_CYCLE_3)
	s_trunc_f32 s1, s1
	s_fmamk_f32 s0, s1, 0xcf800000, s0
	s_cvt_u32_f32 s31, s1
	s_mov_b32 s1, 0
	s_delay_alu instid0(SALU_CYCLE_1) | instskip(NEXT) | instid1(SALU_CYCLE_3)
	s_cvt_u32_f32 s30, s0
	s_mul_u64 s[36:37], s[34:35], s[30:31]
	s_delay_alu instid0(SALU_CYCLE_1)
	s_mul_hi_u32 s39, s30, s37
	s_mul_i32 s38, s30, s37
	s_mul_hi_u32 s0, s30, s36
	s_mul_i32 s33, s31, s36
	s_add_nc_u64 s[38:39], s[0:1], s[38:39]
	s_mul_hi_u32 s27, s31, s36
	s_mul_hi_u32 s40, s31, s37
	s_add_co_u32 s0, s38, s33
	s_add_co_ci_u32 s0, s39, s27
	s_mul_i32 s36, s31, s37
	s_add_co_ci_u32 s37, s40, 0
	s_delay_alu instid0(SALU_CYCLE_1) | instskip(NEXT) | instid1(SALU_CYCLE_1)
	s_add_nc_u64 s[36:37], s[0:1], s[36:37]
	s_add_co_u32 s30, s30, s36
	s_cselect_b32 s0, -1, 0
	s_delay_alu instid0(SALU_CYCLE_1) | instskip(SKIP_1) | instid1(SALU_CYCLE_1)
	s_cmp_lg_u32 s0, 0
	s_add_co_ci_u32 s31, s31, s37
	s_mul_u64 s[34:35], s[34:35], s[30:31]
	s_delay_alu instid0(SALU_CYCLE_1)
	s_mul_hi_u32 s37, s30, s35
	s_mul_i32 s36, s30, s35
	s_mul_hi_u32 s0, s30, s34
	s_mul_i32 s33, s31, s34
	s_add_nc_u64 s[36:37], s[0:1], s[36:37]
	s_mul_hi_u32 s27, s31, s34
	s_mul_hi_u32 s38, s31, s35
	s_add_co_u32 s0, s36, s33
	s_add_co_ci_u32 s0, s37, s27
	s_mul_i32 s34, s31, s35
	s_add_co_ci_u32 s35, s38, 0
	s_delay_alu instid0(SALU_CYCLE_1) | instskip(NEXT) | instid1(SALU_CYCLE_1)
	s_add_nc_u64 s[34:35], s[0:1], s[34:35]
	s_add_co_u32 s30, s30, s34
	s_cselect_b32 s0, -1, 0
	s_delay_alu instid0(SALU_CYCLE_1)
	s_cmp_lg_u32 s0, 0
	s_add_co_ci_u32 s0, s31, s35
	s_mov_b64 s[34:35], 0xffffffff
	v_nop
	v_mul_u64_e32 v[6:7], s[0:1], v[4:5]
	v_mul_hi_u32 v4, v2, s30
	s_and_b64 s[30:31], s[30:31], s[34:35]
	s_delay_alu instid0(VALU_DEP_1) | instskip(SKIP_1) | instid1(VALU_DEP_1)
	v_add_nc_u64_e32 v[6:7], v[4:5], v[6:7]
	v_mov_b32_e32 v4, v3
	v_mul_u64_e32 v[8:9], s[30:31], v[4:5]
	v_mul_u64_e32 v[10:11], s[0:1], v[4:5]
	s_delay_alu instid0(VALU_DEP_2) | instskip(NEXT) | instid1(VALU_DEP_3)
	v_add_co_u32 v4, vcc_lo, v6, v8
	v_add_co_ci_u32_e32 v4, vcc_lo, v7, v9, vcc_lo
	s_delay_alu instid0(VALU_DEP_3) | instskip(NEXT) | instid1(VALU_DEP_1)
	v_add_co_ci_u32_e32 v11, vcc_lo, 0, v11, vcc_lo
	v_add_nc_u64_e32 v[4:5], v[4:5], v[10:11]
	s_delay_alu instid0(VALU_DEP_1) | instskip(NEXT) | instid1(VALU_DEP_1)
	v_mul_u64_e32 v[6:7], s[28:29], v[4:5]
	v_sub_nc_u32_e32 v8, v3, v7
	s_delay_alu instid0(VALU_DEP_2) | instskip(NEXT) | instid1(VALU_DEP_1)
	v_sub_co_u32 v2, vcc_lo, v2, v6
	v_sub_co_ci_u32_e64 v7, null, v3, v7, vcc_lo
	s_delay_alu instid0(VALU_DEP_3) | instskip(NEXT) | instid1(VALU_DEP_3)
	v_subrev_co_ci_u32_e64 v6, null, s29, v8, vcc_lo
	v_sub_co_u32 v10, s0, v2, s28
	v_cmp_le_u32_e32 vcc_lo, s28, v2
	s_delay_alu instid0(VALU_DEP_3) | instskip(NEXT) | instid1(VALU_DEP_3)
	v_subrev_co_ci_u32_e64 v6, null, 0, v6, s0
	v_cmp_le_u32_e64 s0, s28, v10
	v_add_nc_u64_e32 v[8:9], 2, v[4:5]
	v_cndmask_b32_e64 v12, 0, -1, vcc_lo
	s_delay_alu instid0(VALU_DEP_4) | instskip(SKIP_3) | instid1(VALU_DEP_1)
	v_cmp_eq_u32_e32 vcc_lo, s29, v6
	v_add_nc_u64_e32 v[2:3], 1, v[4:5]
	v_cndmask_b32_e64 v10, 0, -1, s0
	v_cmp_le_u32_e64 s0, s29, v6
	v_cndmask_b32_e64 v11, 0, -1, s0
	v_cmp_eq_u32_e64 s0, s29, v7
	s_delay_alu instid0(VALU_DEP_2) | instskip(SKIP_2) | instid1(VALU_DEP_3)
	v_cndmask_b32_e32 v6, v11, v10, vcc_lo
	v_cmp_le_u32_e32 vcc_lo, s29, v7
	v_cndmask_b32_e64 v10, 0, -1, vcc_lo
	v_cmp_ne_u32_e32 vcc_lo, 0, v6
	s_delay_alu instid0(VALU_DEP_2) | instskip(SKIP_1) | instid1(VALU_DEP_2)
	v_dual_cndmask_b32 v6, v10, v12, s0 :: v_dual_cndmask_b32 v3, v3, v9, vcc_lo
	v_cndmask_b32_e32 v2, v2, v8, vcc_lo
	v_cmp_ne_u32_e32 vcc_lo, 0, v6
	s_delay_alu instid0(VALU_DEP_2) | instskip(SKIP_1) | instid1(VALU_DEP_2)
	v_dual_cndmask_b32 v5, v5, v3 :: v_dual_cndmask_b32 v4, v4, v2
	v_dual_mov_b32 v3, s26 :: v_dual_mov_b32 v2, s26
	v_xor_b32_e32 v5, s26, v5
	s_delay_alu instid0(VALU_DEP_3) | instskip(NEXT) | instid1(VALU_DEP_1)
	v_xor_b32_e32 v4, s26, v4
	v_sub_nc_u64_e32 v[2:3], v[4:5], v[2:3]
	s_cbranch_execnz .LBB4_4
.LBB4_3:
	v_cvt_f32_u32_e32 v2, s16
	s_sub_co_i32 s0, 0, s16
	s_delay_alu instid0(VALU_DEP_1) | instskip(SKIP_1) | instid1(TRANS32_DEP_1)
	v_rcp_iflag_f32_e32 v2, v2
	v_nop
	v_mul_f32_e32 v2, 0x4f7ffffe, v2
	s_delay_alu instid0(VALU_DEP_1) | instskip(NEXT) | instid1(VALU_DEP_1)
	v_cvt_u32_f32_e32 v2, v2
	v_mul_lo_u32 v3, s0, v2
	s_delay_alu instid0(VALU_DEP_1) | instskip(NEXT) | instid1(VALU_DEP_1)
	v_mul_hi_u32 v3, v2, v3
	v_add_nc_u32_e32 v2, v2, v3
	s_delay_alu instid0(VALU_DEP_1) | instskip(NEXT) | instid1(VALU_DEP_1)
	v_mul_hi_u32 v2, v0, v2
	v_mul_lo_u32 v3, v2, s16
	s_delay_alu instid0(VALU_DEP_1) | instskip(NEXT) | instid1(VALU_DEP_1)
	v_dual_add_nc_u32 v4, 1, v2 :: v_dual_sub_nc_u32 v3, v0, v3
	v_subrev_nc_u32_e32 v5, s16, v3
	v_cmp_le_u32_e32 vcc_lo, s16, v3
	s_delay_alu instid0(VALU_DEP_2) | instskip(NEXT) | instid1(VALU_DEP_1)
	v_dual_cndmask_b32 v3, v3, v5 :: v_dual_cndmask_b32 v2, v2, v4
	v_cmp_le_u32_e32 vcc_lo, s16, v3
	s_delay_alu instid0(VALU_DEP_2) | instskip(NEXT) | instid1(VALU_DEP_1)
	v_dual_mov_b32 v3, 0 :: v_dual_add_nc_u32 v4, 1, v2
	v_cndmask_b32_e32 v2, v2, v4, vcc_lo
.LBB4_4:
	s_delay_alu instid0(VALU_DEP_1)
	v_mul_u64_e32 v[4:5], s[16:17], v[2:3]
	v_max_i64 v[6:7], s[22:23], 0
	v_sub_nc_u64_e64 v[8:9], v[2:3], s[24:25]
	s_sub_nc_u64 s[0:1], 0, s[22:23]
	v_sub_nc_u64_e64 v[14:15], v[2:3], s[22:23]
	v_max_i64 v[10:11], s[0:1], 0
	s_bfe_u32 s29, ttmp6, 0x40010
	s_bfe_u32 s1, ttmp6, 0x40014
	s_and_b32 s28, ttmp7, 0xffff
	v_add_nc_u64_e32 v[12:13], 1, v[8:9]
	v_not_b32_e32 v9, v9
	v_not_b32_e32 v8, v8
	v_sub_nc_u64_e32 v[16:17], 0, v[14:15]
	s_lshr_b32 s30, ttmp7, 16
	s_add_co_i32 s29, s29, 1
	s_add_co_i32 s1, s1, 1
	v_max_i64 v[8:9], v[12:13], v[8:9]
	s_bfe_u32 s0, ttmp6, 0x40004
	s_bfe_u32 s31, ttmp6, 0x40008
	s_mul_i32 s29, s28, s29
	s_mul_i32 s1, s30, s1
	s_add_co_i32 s29, s0, s29
	s_add_co_i32 s31, s31, s1
	s_add_nc_u64 s[0:1], s[24:25], s[22:23]
	v_max_i64 v[12:13], s[2:3], 0
	s_cmp_eq_u32 s15, 0
	s_sub_nc_u64 s[26:27], 0, s[2:3]
	s_cselect_b32 s15, s30, s31
	s_cselect_b32 s22, s28, s29
	v_sub_nc_u64_e32 v[0:1], v[0:1], v[4:5]
	v_not_b32_e32 v6, v6
	v_not_b32_e32 v7, v7
	v_max_i64 v[4:5], v[14:15], v[16:17]
	s_delay_alu instid0(VALU_DEP_2)
	v_add_nc_u64_e32 v[6:7], s[0:1], v[6:7]
	v_sub_nc_u64_e64 v[14:15], v[0:1], s[18:19]
	s_wait_kmcnt 0x0
	s_add_co_i32 s1, s13, s15
	s_add_co_i32 s0, s12, s22
	s_mul_i32 s12, s1, s14
	s_mov_b32 s1, 0
	s_add_co_i32 s0, s0, s12
	v_add_nc_u64_e32 v[6:7], v[6:7], v[10:11]
	v_add_nc_u64_e32 v[16:17], 1, v[14:15]
	v_not_b32_e32 v15, v15
	v_not_b32_e32 v14, v14
	s_mul_u64 s[10:11], s[10:11], s[0:1]
	v_add_nc_u64_e32 v[8:9], v[2:3], v[8:9]
	v_mad_nc_u64_u32 v[2:3], s20, s0, v[2:3]
	v_add_nc_u64_e32 v[6:7], s[10:11], v[6:7]
	v_max_i64 v[10:11], v[16:17], v[14:15]
	v_max_i64 v[14:15], s[26:27], 0
	v_sub_nc_u64_e64 v[16:17], v[0:1], s[2:3]
	s_add_nc_u64 s[2:3], s[18:19], s[2:3]
	s_delay_alu instid0(VALU_DEP_4) | instskip(NEXT) | instid1(VALU_DEP_2)
	v_sub_nc_u64_e32 v[6:7], v[6:7], v[8:9]
	v_sub_nc_u64_e32 v[8:9], 0, v[16:17]
	v_mad_u32 v3, s21, s0, v3
	s_delay_alu instid0(VALU_DEP_3) | instskip(SKIP_3) | instid1(VALU_DEP_2)
	v_add_nc_u64_e32 v[4:5], v[6:7], v[4:5]
	v_not_b32_e32 v6, v12
	v_not_b32_e32 v7, v13
	v_max_i64 v[8:9], v[16:17], v[8:9]
	v_add_nc_u64_e32 v[6:7], s[2:3], v[6:7]
	v_mul_u64_e32 v[4:5], s[8:9], v[4:5]
	v_mul_u64_e32 v[2:3], s[16:17], v[2:3]
	v_add_nc_u64_e32 v[10:11], v[0:1], v[10:11]
	s_delay_alu instid0(VALU_DEP_4) | instskip(NEXT) | instid1(VALU_DEP_1)
	v_add_nc_u64_e32 v[6:7], v[6:7], v[14:15]
	v_sub_nc_u64_e32 v[6:7], v[6:7], v[10:11]
	s_delay_alu instid0(VALU_DEP_1) | instskip(NEXT) | instid1(VALU_DEP_1)
	v_lshl_add_u64 v[6:7], v[6:7], 1, s[4:5]
	v_lshl_add_u64 v[6:7], v[8:9], 1, v[6:7]
	;; [unrolled: 1-line block ×3, first 2 shown]
	s_delay_alu instid0(VALU_DEP_2) | instskip(NEXT) | instid1(VALU_DEP_2)
	v_lshl_add_u64 v[4:5], v[4:5], 1, v[6:7]
	v_lshl_add_u64 v[0:1], v[0:1], 1, v[2:3]
	global_load_u16 v4, v[4:5], off
	s_wait_loadcnt 0x0
	global_store_b16 v[0:1], v4, off
.LBB4_5:
	s_endpgm
.LBB4_6:
                                        ; implicit-def: $vgpr2_vgpr3
	s_branch .LBB4_3
	.section	.rodata,"a",@progbits
	.p2align	6, 0x0
	.amdhsa_kernel _ZN2at6native12_GLOBAL__N_127reflection_pad2d_out_kernelIsEEvPKT_PS3_lliiiiiii
		.amdhsa_group_segment_fixed_size 0
		.amdhsa_private_segment_fixed_size 0
		.amdhsa_kernarg_size 320
		.amdhsa_user_sgpr_count 2
		.amdhsa_user_sgpr_dispatch_ptr 0
		.amdhsa_user_sgpr_queue_ptr 0
		.amdhsa_user_sgpr_kernarg_segment_ptr 1
		.amdhsa_user_sgpr_dispatch_id 0
		.amdhsa_user_sgpr_kernarg_preload_length 0
		.amdhsa_user_sgpr_kernarg_preload_offset 0
		.amdhsa_user_sgpr_private_segment_size 0
		.amdhsa_wavefront_size32 1
		.amdhsa_uses_dynamic_stack 0
		.amdhsa_enable_private_segment 0
		.amdhsa_system_sgpr_workgroup_id_x 1
		.amdhsa_system_sgpr_workgroup_id_y 1
		.amdhsa_system_sgpr_workgroup_id_z 1
		.amdhsa_system_sgpr_workgroup_info 0
		.amdhsa_system_vgpr_workitem_id 0
		.amdhsa_next_free_vgpr 18
		.amdhsa_next_free_sgpr 41
		.amdhsa_named_barrier_count 0
		.amdhsa_reserve_vcc 1
		.amdhsa_float_round_mode_32 0
		.amdhsa_float_round_mode_16_64 0
		.amdhsa_float_denorm_mode_32 3
		.amdhsa_float_denorm_mode_16_64 3
		.amdhsa_fp16_overflow 0
		.amdhsa_memory_ordered 1
		.amdhsa_forward_progress 1
		.amdhsa_inst_pref_size 11
		.amdhsa_round_robin_scheduling 0
		.amdhsa_exception_fp_ieee_invalid_op 0
		.amdhsa_exception_fp_denorm_src 0
		.amdhsa_exception_fp_ieee_div_zero 0
		.amdhsa_exception_fp_ieee_overflow 0
		.amdhsa_exception_fp_ieee_underflow 0
		.amdhsa_exception_fp_ieee_inexact 0
		.amdhsa_exception_int_div_zero 0
	.end_amdhsa_kernel
	.section	.text._ZN2at6native12_GLOBAL__N_127reflection_pad2d_out_kernelIsEEvPKT_PS3_lliiiiiii,"axG",@progbits,_ZN2at6native12_GLOBAL__N_127reflection_pad2d_out_kernelIsEEvPKT_PS3_lliiiiiii,comdat
.Lfunc_end4:
	.size	_ZN2at6native12_GLOBAL__N_127reflection_pad2d_out_kernelIsEEvPKT_PS3_lliiiiiii, .Lfunc_end4-_ZN2at6native12_GLOBAL__N_127reflection_pad2d_out_kernelIsEEvPKT_PS3_lliiiiiii
                                        ; -- End function
	.set _ZN2at6native12_GLOBAL__N_127reflection_pad2d_out_kernelIsEEvPKT_PS3_lliiiiiii.num_vgpr, 18
	.set _ZN2at6native12_GLOBAL__N_127reflection_pad2d_out_kernelIsEEvPKT_PS3_lliiiiiii.num_agpr, 0
	.set _ZN2at6native12_GLOBAL__N_127reflection_pad2d_out_kernelIsEEvPKT_PS3_lliiiiiii.numbered_sgpr, 41
	.set _ZN2at6native12_GLOBAL__N_127reflection_pad2d_out_kernelIsEEvPKT_PS3_lliiiiiii.num_named_barrier, 0
	.set _ZN2at6native12_GLOBAL__N_127reflection_pad2d_out_kernelIsEEvPKT_PS3_lliiiiiii.private_seg_size, 0
	.set _ZN2at6native12_GLOBAL__N_127reflection_pad2d_out_kernelIsEEvPKT_PS3_lliiiiiii.uses_vcc, 1
	.set _ZN2at6native12_GLOBAL__N_127reflection_pad2d_out_kernelIsEEvPKT_PS3_lliiiiiii.uses_flat_scratch, 0
	.set _ZN2at6native12_GLOBAL__N_127reflection_pad2d_out_kernelIsEEvPKT_PS3_lliiiiiii.has_dyn_sized_stack, 0
	.set _ZN2at6native12_GLOBAL__N_127reflection_pad2d_out_kernelIsEEvPKT_PS3_lliiiiiii.has_recursion, 0
	.set _ZN2at6native12_GLOBAL__N_127reflection_pad2d_out_kernelIsEEvPKT_PS3_lliiiiiii.has_indirect_call, 0
	.section	.AMDGPU.csdata,"",@progbits
; Kernel info:
; codeLenInByte = 1348
; TotalNumSgprs: 43
; NumVgprs: 18
; ScratchSize: 0
; MemoryBound: 0
; FloatMode: 240
; IeeeMode: 1
; LDSByteSize: 0 bytes/workgroup (compile time only)
; SGPRBlocks: 0
; VGPRBlocks: 1
; NumSGPRsForWavesPerEU: 43
; NumVGPRsForWavesPerEU: 18
; NamedBarCnt: 0
; Occupancy: 16
; WaveLimiterHint : 0
; COMPUTE_PGM_RSRC2:SCRATCH_EN: 0
; COMPUTE_PGM_RSRC2:USER_SGPR: 2
; COMPUTE_PGM_RSRC2:TRAP_HANDLER: 0
; COMPUTE_PGM_RSRC2:TGID_X_EN: 1
; COMPUTE_PGM_RSRC2:TGID_Y_EN: 1
; COMPUTE_PGM_RSRC2:TGID_Z_EN: 1
; COMPUTE_PGM_RSRC2:TIDIG_COMP_CNT: 0
	.section	.text._ZN2at6native12_GLOBAL__N_127reflection_pad2d_out_kernelIdEEvPKT_PS3_lliiiiiii,"axG",@progbits,_ZN2at6native12_GLOBAL__N_127reflection_pad2d_out_kernelIdEEvPKT_PS3_lliiiiiii,comdat
	.globl	_ZN2at6native12_GLOBAL__N_127reflection_pad2d_out_kernelIdEEvPKT_PS3_lliiiiiii ; -- Begin function _ZN2at6native12_GLOBAL__N_127reflection_pad2d_out_kernelIdEEvPKT_PS3_lliiiiiii
	.p2align	8
	.type	_ZN2at6native12_GLOBAL__N_127reflection_pad2d_out_kernelIdEEvPKT_PS3_lliiiiiii,@function
_ZN2at6native12_GLOBAL__N_127reflection_pad2d_out_kernelIdEEvPKT_PS3_lliiiiiii: ; @_ZN2at6native12_GLOBAL__N_127reflection_pad2d_out_kernelIdEEvPKT_PS3_lliiiiiii
; %bb.0:
	s_clause 0x2
	s_load_b32 s2, s[0:1], 0x4c
	s_load_b128 s[20:23], s[0:1], 0x20
	s_load_b256 s[4:11], s[0:1], 0x0
	s_bfe_u32 s3, ttmp6, 0x4000c
	s_and_b32 s12, ttmp6, 15
	s_add_co_i32 s3, s3, 1
	s_getreg_b32 s15, hwreg(HW_REG_IB_STS2, 6, 4)
	s_mul_i32 s3, ttmp9, s3
	v_mov_b32_e32 v1, 0
	s_add_co_i32 s3, s12, s3
	s_wait_kmcnt 0x0
	s_and_b32 s14, s2, 0xffff
	s_cmp_eq_u32 s15, 0
	s_mov_b32 s2, s22
	s_cselect_b32 s16, ttmp9, s3
	s_ashr_i32 s3, s22, 31
	v_mad_u32 v0, s16, s14, v0
	s_mov_b32 s12, s23
	s_ashr_i32 s13, s23, 31
	s_add_nc_u64 s[18:19], s[8:9], s[2:3]
	s_ashr_i32 s23, s20, 31
	s_mov_b32 s22, s20
	s_add_nc_u64 s[16:17], s[18:19], s[12:13]
	s_add_nc_u64 s[24:25], s[10:11], s[22:23]
	s_ashr_i32 s13, s21, 31
	s_mov_b32 s12, s21
	s_delay_alu instid0(SALU_CYCLE_1) | instskip(NEXT) | instid1(SALU_CYCLE_1)
	s_add_nc_u64 s[20:21], s[24:25], s[12:13]
	s_mul_u64 s[12:13], s[16:17], s[20:21]
	s_delay_alu instid0(SALU_CYCLE_1)
	v_cmp_gt_i64_e32 vcc_lo, s[12:13], v[0:1]
	s_and_saveexec_b32 s12, vcc_lo
	s_cbranch_execz .LBB5_5
; %bb.1:
	s_load_b96 s[12:14], s[0:1], 0x30
	s_wait_xcnt 0x0
	s_and_b64 s[0:1], s[16:17], 0xffffffff00000000
	s_delay_alu instid0(SALU_CYCLE_1)
	s_cmp_lg_u64 s[0:1], 0
	s_cbranch_scc0 .LBB5_6
; %bb.2:
	s_ashr_i32 s26, s17, 31
	v_add_nc_u64_e32 v[2:3], 0, v[0:1]
	s_mov_b32 s27, s26
	v_mov_b32_e32 v5, 0
	s_add_nc_u64 s[0:1], s[16:17], s[26:27]
	s_delay_alu instid0(SALU_CYCLE_1) | instskip(NEXT) | instid1(VALU_DEP_2)
	s_xor_b64 s[28:29], s[0:1], s[26:27]
	v_mov_b32_e32 v4, v2
	s_cvt_f32_u32 s0, s28
	s_cvt_f32_u32 s1, s29
	s_sub_nc_u64 s[34:35], 0, s[28:29]
	s_delay_alu instid0(SALU_CYCLE_2) | instskip(NEXT) | instid1(SALU_CYCLE_3)
	s_fmamk_f32 s0, s1, 0x4f800000, s0
	v_s_rcp_f32 s0, s0
	s_delay_alu instid0(TRANS32_DEP_1) | instskip(NEXT) | instid1(SALU_CYCLE_3)
	s_mul_f32 s0, s0, 0x5f7ffffc
	s_mul_f32 s1, s0, 0x2f800000
	s_delay_alu instid0(SALU_CYCLE_3) | instskip(NEXT) | instid1(SALU_CYCLE_3)
	s_trunc_f32 s1, s1
	s_fmamk_f32 s0, s1, 0xcf800000, s0
	s_cvt_u32_f32 s31, s1
	s_mov_b32 s1, 0
	s_delay_alu instid0(SALU_CYCLE_1) | instskip(NEXT) | instid1(SALU_CYCLE_3)
	s_cvt_u32_f32 s30, s0
	s_mul_u64 s[36:37], s[34:35], s[30:31]
	s_delay_alu instid0(SALU_CYCLE_1)
	s_mul_hi_u32 s39, s30, s37
	s_mul_i32 s38, s30, s37
	s_mul_hi_u32 s0, s30, s36
	s_mul_i32 s33, s31, s36
	s_add_nc_u64 s[38:39], s[0:1], s[38:39]
	s_mul_hi_u32 s27, s31, s36
	s_mul_hi_u32 s40, s31, s37
	s_add_co_u32 s0, s38, s33
	s_add_co_ci_u32 s0, s39, s27
	s_mul_i32 s36, s31, s37
	s_add_co_ci_u32 s37, s40, 0
	s_delay_alu instid0(SALU_CYCLE_1) | instskip(NEXT) | instid1(SALU_CYCLE_1)
	s_add_nc_u64 s[36:37], s[0:1], s[36:37]
	s_add_co_u32 s30, s30, s36
	s_cselect_b32 s0, -1, 0
	s_delay_alu instid0(SALU_CYCLE_1) | instskip(SKIP_1) | instid1(SALU_CYCLE_1)
	s_cmp_lg_u32 s0, 0
	s_add_co_ci_u32 s31, s31, s37
	s_mul_u64 s[34:35], s[34:35], s[30:31]
	s_delay_alu instid0(SALU_CYCLE_1)
	s_mul_hi_u32 s37, s30, s35
	s_mul_i32 s36, s30, s35
	s_mul_hi_u32 s0, s30, s34
	s_mul_i32 s33, s31, s34
	s_add_nc_u64 s[36:37], s[0:1], s[36:37]
	s_mul_hi_u32 s27, s31, s34
	s_mul_hi_u32 s38, s31, s35
	s_add_co_u32 s0, s36, s33
	s_add_co_ci_u32 s0, s37, s27
	s_mul_i32 s34, s31, s35
	s_add_co_ci_u32 s35, s38, 0
	s_delay_alu instid0(SALU_CYCLE_1) | instskip(NEXT) | instid1(SALU_CYCLE_1)
	s_add_nc_u64 s[34:35], s[0:1], s[34:35]
	s_add_co_u32 s30, s30, s34
	s_cselect_b32 s0, -1, 0
	s_delay_alu instid0(SALU_CYCLE_1)
	s_cmp_lg_u32 s0, 0
	s_add_co_ci_u32 s0, s31, s35
	s_mov_b64 s[34:35], 0xffffffff
	v_nop
	v_mul_u64_e32 v[6:7], s[0:1], v[4:5]
	v_mul_hi_u32 v4, v2, s30
	s_and_b64 s[30:31], s[30:31], s[34:35]
	s_delay_alu instid0(VALU_DEP_1) | instskip(SKIP_1) | instid1(VALU_DEP_1)
	v_add_nc_u64_e32 v[6:7], v[4:5], v[6:7]
	v_mov_b32_e32 v4, v3
	v_mul_u64_e32 v[8:9], s[30:31], v[4:5]
	v_mul_u64_e32 v[10:11], s[0:1], v[4:5]
	s_delay_alu instid0(VALU_DEP_2) | instskip(NEXT) | instid1(VALU_DEP_3)
	v_add_co_u32 v4, vcc_lo, v6, v8
	v_add_co_ci_u32_e32 v4, vcc_lo, v7, v9, vcc_lo
	s_delay_alu instid0(VALU_DEP_3) | instskip(NEXT) | instid1(VALU_DEP_1)
	v_add_co_ci_u32_e32 v11, vcc_lo, 0, v11, vcc_lo
	v_add_nc_u64_e32 v[4:5], v[4:5], v[10:11]
	s_delay_alu instid0(VALU_DEP_1) | instskip(NEXT) | instid1(VALU_DEP_1)
	v_mul_u64_e32 v[6:7], s[28:29], v[4:5]
	v_sub_nc_u32_e32 v8, v3, v7
	s_delay_alu instid0(VALU_DEP_2) | instskip(NEXT) | instid1(VALU_DEP_1)
	v_sub_co_u32 v2, vcc_lo, v2, v6
	v_sub_co_ci_u32_e64 v7, null, v3, v7, vcc_lo
	s_delay_alu instid0(VALU_DEP_3) | instskip(NEXT) | instid1(VALU_DEP_3)
	v_subrev_co_ci_u32_e64 v6, null, s29, v8, vcc_lo
	v_sub_co_u32 v10, s0, v2, s28
	v_cmp_le_u32_e32 vcc_lo, s28, v2
	s_delay_alu instid0(VALU_DEP_3) | instskip(NEXT) | instid1(VALU_DEP_3)
	v_subrev_co_ci_u32_e64 v6, null, 0, v6, s0
	v_cmp_le_u32_e64 s0, s28, v10
	v_add_nc_u64_e32 v[8:9], 2, v[4:5]
	v_cndmask_b32_e64 v12, 0, -1, vcc_lo
	s_delay_alu instid0(VALU_DEP_4) | instskip(SKIP_3) | instid1(VALU_DEP_1)
	v_cmp_eq_u32_e32 vcc_lo, s29, v6
	v_add_nc_u64_e32 v[2:3], 1, v[4:5]
	v_cndmask_b32_e64 v10, 0, -1, s0
	v_cmp_le_u32_e64 s0, s29, v6
	v_cndmask_b32_e64 v11, 0, -1, s0
	v_cmp_eq_u32_e64 s0, s29, v7
	s_delay_alu instid0(VALU_DEP_2) | instskip(SKIP_2) | instid1(VALU_DEP_3)
	v_cndmask_b32_e32 v6, v11, v10, vcc_lo
	v_cmp_le_u32_e32 vcc_lo, s29, v7
	v_cndmask_b32_e64 v10, 0, -1, vcc_lo
	v_cmp_ne_u32_e32 vcc_lo, 0, v6
	s_delay_alu instid0(VALU_DEP_2) | instskip(SKIP_1) | instid1(VALU_DEP_2)
	v_dual_cndmask_b32 v6, v10, v12, s0 :: v_dual_cndmask_b32 v3, v3, v9, vcc_lo
	v_cndmask_b32_e32 v2, v2, v8, vcc_lo
	v_cmp_ne_u32_e32 vcc_lo, 0, v6
	s_delay_alu instid0(VALU_DEP_2) | instskip(SKIP_1) | instid1(VALU_DEP_2)
	v_dual_cndmask_b32 v5, v5, v3 :: v_dual_cndmask_b32 v4, v4, v2
	v_dual_mov_b32 v3, s26 :: v_dual_mov_b32 v2, s26
	v_xor_b32_e32 v5, s26, v5
	s_delay_alu instid0(VALU_DEP_3) | instskip(NEXT) | instid1(VALU_DEP_1)
	v_xor_b32_e32 v4, s26, v4
	v_sub_nc_u64_e32 v[2:3], v[4:5], v[2:3]
	s_cbranch_execnz .LBB5_4
.LBB5_3:
	v_cvt_f32_u32_e32 v2, s16
	s_sub_co_i32 s0, 0, s16
	s_delay_alu instid0(VALU_DEP_1) | instskip(SKIP_1) | instid1(TRANS32_DEP_1)
	v_rcp_iflag_f32_e32 v2, v2
	v_nop
	v_mul_f32_e32 v2, 0x4f7ffffe, v2
	s_delay_alu instid0(VALU_DEP_1) | instskip(NEXT) | instid1(VALU_DEP_1)
	v_cvt_u32_f32_e32 v2, v2
	v_mul_lo_u32 v3, s0, v2
	s_delay_alu instid0(VALU_DEP_1) | instskip(NEXT) | instid1(VALU_DEP_1)
	v_mul_hi_u32 v3, v2, v3
	v_add_nc_u32_e32 v2, v2, v3
	s_delay_alu instid0(VALU_DEP_1) | instskip(NEXT) | instid1(VALU_DEP_1)
	v_mul_hi_u32 v2, v0, v2
	v_mul_lo_u32 v3, v2, s16
	s_delay_alu instid0(VALU_DEP_1) | instskip(NEXT) | instid1(VALU_DEP_1)
	v_dual_add_nc_u32 v4, 1, v2 :: v_dual_sub_nc_u32 v3, v0, v3
	v_subrev_nc_u32_e32 v5, s16, v3
	v_cmp_le_u32_e32 vcc_lo, s16, v3
	s_delay_alu instid0(VALU_DEP_2) | instskip(NEXT) | instid1(VALU_DEP_1)
	v_dual_cndmask_b32 v3, v3, v5 :: v_dual_cndmask_b32 v2, v2, v4
	v_cmp_le_u32_e32 vcc_lo, s16, v3
	s_delay_alu instid0(VALU_DEP_2) | instskip(NEXT) | instid1(VALU_DEP_1)
	v_dual_mov_b32 v3, 0 :: v_dual_add_nc_u32 v4, 1, v2
	v_cndmask_b32_e32 v2, v2, v4, vcc_lo
.LBB5_4:
	s_delay_alu instid0(VALU_DEP_1)
	v_mul_u64_e32 v[4:5], s[16:17], v[2:3]
	v_max_i64 v[6:7], s[22:23], 0
	v_sub_nc_u64_e64 v[8:9], v[2:3], s[24:25]
	s_sub_nc_u64 s[0:1], 0, s[22:23]
	v_sub_nc_u64_e64 v[14:15], v[2:3], s[22:23]
	v_max_i64 v[10:11], s[0:1], 0
	s_bfe_u32 s29, ttmp6, 0x40010
	s_bfe_u32 s1, ttmp6, 0x40014
	s_and_b32 s28, ttmp7, 0xffff
	v_add_nc_u64_e32 v[12:13], 1, v[8:9]
	v_not_b32_e32 v9, v9
	v_not_b32_e32 v8, v8
	v_sub_nc_u64_e32 v[16:17], 0, v[14:15]
	s_lshr_b32 s30, ttmp7, 16
	s_add_co_i32 s29, s29, 1
	s_add_co_i32 s1, s1, 1
	v_max_i64 v[8:9], v[12:13], v[8:9]
	s_bfe_u32 s0, ttmp6, 0x40004
	s_bfe_u32 s31, ttmp6, 0x40008
	s_mul_i32 s29, s28, s29
	s_mul_i32 s1, s30, s1
	s_add_co_i32 s29, s0, s29
	s_add_co_i32 s31, s31, s1
	s_add_nc_u64 s[0:1], s[24:25], s[22:23]
	v_max_i64 v[12:13], s[2:3], 0
	s_cmp_eq_u32 s15, 0
	s_sub_nc_u64 s[26:27], 0, s[2:3]
	s_cselect_b32 s15, s30, s31
	s_cselect_b32 s22, s28, s29
	v_sub_nc_u64_e32 v[0:1], v[0:1], v[4:5]
	v_not_b32_e32 v6, v6
	v_not_b32_e32 v7, v7
	v_max_i64 v[4:5], v[14:15], v[16:17]
	s_delay_alu instid0(VALU_DEP_2)
	v_add_nc_u64_e32 v[6:7], s[0:1], v[6:7]
	v_sub_nc_u64_e64 v[14:15], v[0:1], s[18:19]
	s_wait_kmcnt 0x0
	s_add_co_i32 s1, s13, s15
	s_add_co_i32 s0, s12, s22
	s_mul_i32 s12, s1, s14
	s_mov_b32 s1, 0
	s_add_co_i32 s0, s0, s12
	v_add_nc_u64_e32 v[6:7], v[6:7], v[10:11]
	v_add_nc_u64_e32 v[16:17], 1, v[14:15]
	v_not_b32_e32 v15, v15
	v_not_b32_e32 v14, v14
	s_mul_u64 s[10:11], s[10:11], s[0:1]
	v_add_nc_u64_e32 v[8:9], v[2:3], v[8:9]
	v_mad_nc_u64_u32 v[2:3], s20, s0, v[2:3]
	v_add_nc_u64_e32 v[6:7], s[10:11], v[6:7]
	v_max_i64 v[10:11], v[16:17], v[14:15]
	v_max_i64 v[14:15], s[26:27], 0
	v_sub_nc_u64_e64 v[16:17], v[0:1], s[2:3]
	s_add_nc_u64 s[2:3], s[18:19], s[2:3]
	s_delay_alu instid0(VALU_DEP_4) | instskip(NEXT) | instid1(VALU_DEP_2)
	v_sub_nc_u64_e32 v[6:7], v[6:7], v[8:9]
	v_sub_nc_u64_e32 v[8:9], 0, v[16:17]
	v_mad_u32 v3, s21, s0, v3
	s_delay_alu instid0(VALU_DEP_3) | instskip(SKIP_3) | instid1(VALU_DEP_2)
	v_add_nc_u64_e32 v[4:5], v[6:7], v[4:5]
	v_not_b32_e32 v6, v12
	v_not_b32_e32 v7, v13
	v_max_i64 v[8:9], v[16:17], v[8:9]
	v_add_nc_u64_e32 v[6:7], s[2:3], v[6:7]
	v_mul_u64_e32 v[4:5], s[8:9], v[4:5]
	v_mul_u64_e32 v[2:3], s[16:17], v[2:3]
	v_add_nc_u64_e32 v[10:11], v[0:1], v[10:11]
	s_delay_alu instid0(VALU_DEP_4) | instskip(NEXT) | instid1(VALU_DEP_1)
	v_add_nc_u64_e32 v[6:7], v[6:7], v[14:15]
	v_sub_nc_u64_e32 v[6:7], v[6:7], v[10:11]
	s_delay_alu instid0(VALU_DEP_1) | instskip(NEXT) | instid1(VALU_DEP_1)
	v_lshl_add_u64 v[6:7], v[6:7], 3, s[4:5]
	v_lshl_add_u64 v[6:7], v[8:9], 3, v[6:7]
	;; [unrolled: 1-line block ×3, first 2 shown]
	s_delay_alu instid0(VALU_DEP_2) | instskip(NEXT) | instid1(VALU_DEP_2)
	v_lshl_add_u64 v[4:5], v[4:5], 3, v[6:7]
	v_lshl_add_u64 v[0:1], v[0:1], 3, v[2:3]
	global_load_b64 v[4:5], v[4:5], off
	s_wait_loadcnt 0x0
	global_store_b64 v[0:1], v[4:5], off
.LBB5_5:
	s_endpgm
.LBB5_6:
                                        ; implicit-def: $vgpr2_vgpr3
	s_branch .LBB5_3
	.section	.rodata,"a",@progbits
	.p2align	6, 0x0
	.amdhsa_kernel _ZN2at6native12_GLOBAL__N_127reflection_pad2d_out_kernelIdEEvPKT_PS3_lliiiiiii
		.amdhsa_group_segment_fixed_size 0
		.amdhsa_private_segment_fixed_size 0
		.amdhsa_kernarg_size 320
		.amdhsa_user_sgpr_count 2
		.amdhsa_user_sgpr_dispatch_ptr 0
		.amdhsa_user_sgpr_queue_ptr 0
		.amdhsa_user_sgpr_kernarg_segment_ptr 1
		.amdhsa_user_sgpr_dispatch_id 0
		.amdhsa_user_sgpr_kernarg_preload_length 0
		.amdhsa_user_sgpr_kernarg_preload_offset 0
		.amdhsa_user_sgpr_private_segment_size 0
		.amdhsa_wavefront_size32 1
		.amdhsa_uses_dynamic_stack 0
		.amdhsa_enable_private_segment 0
		.amdhsa_system_sgpr_workgroup_id_x 1
		.amdhsa_system_sgpr_workgroup_id_y 1
		.amdhsa_system_sgpr_workgroup_id_z 1
		.amdhsa_system_sgpr_workgroup_info 0
		.amdhsa_system_vgpr_workitem_id 0
		.amdhsa_next_free_vgpr 18
		.amdhsa_next_free_sgpr 41
		.amdhsa_named_barrier_count 0
		.amdhsa_reserve_vcc 1
		.amdhsa_float_round_mode_32 0
		.amdhsa_float_round_mode_16_64 0
		.amdhsa_float_denorm_mode_32 3
		.amdhsa_float_denorm_mode_16_64 3
		.amdhsa_fp16_overflow 0
		.amdhsa_memory_ordered 1
		.amdhsa_forward_progress 1
		.amdhsa_inst_pref_size 11
		.amdhsa_round_robin_scheduling 0
		.amdhsa_exception_fp_ieee_invalid_op 0
		.amdhsa_exception_fp_denorm_src 0
		.amdhsa_exception_fp_ieee_div_zero 0
		.amdhsa_exception_fp_ieee_overflow 0
		.amdhsa_exception_fp_ieee_underflow 0
		.amdhsa_exception_fp_ieee_inexact 0
		.amdhsa_exception_int_div_zero 0
	.end_amdhsa_kernel
	.section	.text._ZN2at6native12_GLOBAL__N_127reflection_pad2d_out_kernelIdEEvPKT_PS3_lliiiiiii,"axG",@progbits,_ZN2at6native12_GLOBAL__N_127reflection_pad2d_out_kernelIdEEvPKT_PS3_lliiiiiii,comdat
.Lfunc_end5:
	.size	_ZN2at6native12_GLOBAL__N_127reflection_pad2d_out_kernelIdEEvPKT_PS3_lliiiiiii, .Lfunc_end5-_ZN2at6native12_GLOBAL__N_127reflection_pad2d_out_kernelIdEEvPKT_PS3_lliiiiiii
                                        ; -- End function
	.set _ZN2at6native12_GLOBAL__N_127reflection_pad2d_out_kernelIdEEvPKT_PS3_lliiiiiii.num_vgpr, 18
	.set _ZN2at6native12_GLOBAL__N_127reflection_pad2d_out_kernelIdEEvPKT_PS3_lliiiiiii.num_agpr, 0
	.set _ZN2at6native12_GLOBAL__N_127reflection_pad2d_out_kernelIdEEvPKT_PS3_lliiiiiii.numbered_sgpr, 41
	.set _ZN2at6native12_GLOBAL__N_127reflection_pad2d_out_kernelIdEEvPKT_PS3_lliiiiiii.num_named_barrier, 0
	.set _ZN2at6native12_GLOBAL__N_127reflection_pad2d_out_kernelIdEEvPKT_PS3_lliiiiiii.private_seg_size, 0
	.set _ZN2at6native12_GLOBAL__N_127reflection_pad2d_out_kernelIdEEvPKT_PS3_lliiiiiii.uses_vcc, 1
	.set _ZN2at6native12_GLOBAL__N_127reflection_pad2d_out_kernelIdEEvPKT_PS3_lliiiiiii.uses_flat_scratch, 0
	.set _ZN2at6native12_GLOBAL__N_127reflection_pad2d_out_kernelIdEEvPKT_PS3_lliiiiiii.has_dyn_sized_stack, 0
	.set _ZN2at6native12_GLOBAL__N_127reflection_pad2d_out_kernelIdEEvPKT_PS3_lliiiiiii.has_recursion, 0
	.set _ZN2at6native12_GLOBAL__N_127reflection_pad2d_out_kernelIdEEvPKT_PS3_lliiiiiii.has_indirect_call, 0
	.section	.AMDGPU.csdata,"",@progbits
; Kernel info:
; codeLenInByte = 1348
; TotalNumSgprs: 43
; NumVgprs: 18
; ScratchSize: 0
; MemoryBound: 0
; FloatMode: 240
; IeeeMode: 1
; LDSByteSize: 0 bytes/workgroup (compile time only)
; SGPRBlocks: 0
; VGPRBlocks: 1
; NumSGPRsForWavesPerEU: 43
; NumVGPRsForWavesPerEU: 18
; NamedBarCnt: 0
; Occupancy: 16
; WaveLimiterHint : 0
; COMPUTE_PGM_RSRC2:SCRATCH_EN: 0
; COMPUTE_PGM_RSRC2:USER_SGPR: 2
; COMPUTE_PGM_RSRC2:TRAP_HANDLER: 0
; COMPUTE_PGM_RSRC2:TGID_X_EN: 1
; COMPUTE_PGM_RSRC2:TGID_Y_EN: 1
; COMPUTE_PGM_RSRC2:TGID_Z_EN: 1
; COMPUTE_PGM_RSRC2:TIDIG_COMP_CNT: 0
	.section	.text._ZN2at6native12_GLOBAL__N_127reflection_pad2d_out_kernelIfEEvPKT_PS3_lliiiiiii,"axG",@progbits,_ZN2at6native12_GLOBAL__N_127reflection_pad2d_out_kernelIfEEvPKT_PS3_lliiiiiii,comdat
	.globl	_ZN2at6native12_GLOBAL__N_127reflection_pad2d_out_kernelIfEEvPKT_PS3_lliiiiiii ; -- Begin function _ZN2at6native12_GLOBAL__N_127reflection_pad2d_out_kernelIfEEvPKT_PS3_lliiiiiii
	.p2align	8
	.type	_ZN2at6native12_GLOBAL__N_127reflection_pad2d_out_kernelIfEEvPKT_PS3_lliiiiiii,@function
_ZN2at6native12_GLOBAL__N_127reflection_pad2d_out_kernelIfEEvPKT_PS3_lliiiiiii: ; @_ZN2at6native12_GLOBAL__N_127reflection_pad2d_out_kernelIfEEvPKT_PS3_lliiiiiii
; %bb.0:
	s_clause 0x2
	s_load_b32 s2, s[0:1], 0x4c
	s_load_b128 s[20:23], s[0:1], 0x20
	s_load_b256 s[4:11], s[0:1], 0x0
	s_bfe_u32 s3, ttmp6, 0x4000c
	s_and_b32 s12, ttmp6, 15
	s_add_co_i32 s3, s3, 1
	s_getreg_b32 s15, hwreg(HW_REG_IB_STS2, 6, 4)
	s_mul_i32 s3, ttmp9, s3
	v_mov_b32_e32 v1, 0
	s_add_co_i32 s3, s12, s3
	s_wait_kmcnt 0x0
	s_and_b32 s14, s2, 0xffff
	s_cmp_eq_u32 s15, 0
	s_mov_b32 s2, s22
	s_cselect_b32 s16, ttmp9, s3
	s_ashr_i32 s3, s22, 31
	v_mad_u32 v0, s16, s14, v0
	s_mov_b32 s12, s23
	s_ashr_i32 s13, s23, 31
	s_add_nc_u64 s[18:19], s[8:9], s[2:3]
	s_ashr_i32 s23, s20, 31
	s_mov_b32 s22, s20
	s_add_nc_u64 s[16:17], s[18:19], s[12:13]
	s_add_nc_u64 s[24:25], s[10:11], s[22:23]
	s_ashr_i32 s13, s21, 31
	s_mov_b32 s12, s21
	s_delay_alu instid0(SALU_CYCLE_1) | instskip(NEXT) | instid1(SALU_CYCLE_1)
	s_add_nc_u64 s[20:21], s[24:25], s[12:13]
	s_mul_u64 s[12:13], s[16:17], s[20:21]
	s_delay_alu instid0(SALU_CYCLE_1)
	v_cmp_gt_i64_e32 vcc_lo, s[12:13], v[0:1]
	s_and_saveexec_b32 s12, vcc_lo
	s_cbranch_execz .LBB6_5
; %bb.1:
	s_load_b96 s[12:14], s[0:1], 0x30
	s_wait_xcnt 0x0
	s_and_b64 s[0:1], s[16:17], 0xffffffff00000000
	s_delay_alu instid0(SALU_CYCLE_1)
	s_cmp_lg_u64 s[0:1], 0
	s_cbranch_scc0 .LBB6_6
; %bb.2:
	s_ashr_i32 s26, s17, 31
	v_add_nc_u64_e32 v[2:3], 0, v[0:1]
	s_mov_b32 s27, s26
	v_mov_b32_e32 v5, 0
	s_add_nc_u64 s[0:1], s[16:17], s[26:27]
	s_delay_alu instid0(SALU_CYCLE_1) | instskip(NEXT) | instid1(VALU_DEP_2)
	s_xor_b64 s[28:29], s[0:1], s[26:27]
	v_mov_b32_e32 v4, v2
	s_cvt_f32_u32 s0, s28
	s_cvt_f32_u32 s1, s29
	s_sub_nc_u64 s[34:35], 0, s[28:29]
	s_delay_alu instid0(SALU_CYCLE_2) | instskip(NEXT) | instid1(SALU_CYCLE_3)
	s_fmamk_f32 s0, s1, 0x4f800000, s0
	v_s_rcp_f32 s0, s0
	s_delay_alu instid0(TRANS32_DEP_1) | instskip(NEXT) | instid1(SALU_CYCLE_3)
	s_mul_f32 s0, s0, 0x5f7ffffc
	s_mul_f32 s1, s0, 0x2f800000
	s_delay_alu instid0(SALU_CYCLE_3) | instskip(NEXT) | instid1(SALU_CYCLE_3)
	s_trunc_f32 s1, s1
	s_fmamk_f32 s0, s1, 0xcf800000, s0
	s_cvt_u32_f32 s31, s1
	s_mov_b32 s1, 0
	s_delay_alu instid0(SALU_CYCLE_1) | instskip(NEXT) | instid1(SALU_CYCLE_3)
	s_cvt_u32_f32 s30, s0
	s_mul_u64 s[36:37], s[34:35], s[30:31]
	s_delay_alu instid0(SALU_CYCLE_1)
	s_mul_hi_u32 s39, s30, s37
	s_mul_i32 s38, s30, s37
	s_mul_hi_u32 s0, s30, s36
	s_mul_i32 s33, s31, s36
	s_add_nc_u64 s[38:39], s[0:1], s[38:39]
	s_mul_hi_u32 s27, s31, s36
	s_mul_hi_u32 s40, s31, s37
	s_add_co_u32 s0, s38, s33
	s_add_co_ci_u32 s0, s39, s27
	s_mul_i32 s36, s31, s37
	s_add_co_ci_u32 s37, s40, 0
	s_delay_alu instid0(SALU_CYCLE_1) | instskip(NEXT) | instid1(SALU_CYCLE_1)
	s_add_nc_u64 s[36:37], s[0:1], s[36:37]
	s_add_co_u32 s30, s30, s36
	s_cselect_b32 s0, -1, 0
	s_delay_alu instid0(SALU_CYCLE_1) | instskip(SKIP_1) | instid1(SALU_CYCLE_1)
	s_cmp_lg_u32 s0, 0
	s_add_co_ci_u32 s31, s31, s37
	s_mul_u64 s[34:35], s[34:35], s[30:31]
	s_delay_alu instid0(SALU_CYCLE_1)
	s_mul_hi_u32 s37, s30, s35
	s_mul_i32 s36, s30, s35
	s_mul_hi_u32 s0, s30, s34
	s_mul_i32 s33, s31, s34
	s_add_nc_u64 s[36:37], s[0:1], s[36:37]
	s_mul_hi_u32 s27, s31, s34
	s_mul_hi_u32 s38, s31, s35
	s_add_co_u32 s0, s36, s33
	s_add_co_ci_u32 s0, s37, s27
	s_mul_i32 s34, s31, s35
	s_add_co_ci_u32 s35, s38, 0
	s_delay_alu instid0(SALU_CYCLE_1) | instskip(NEXT) | instid1(SALU_CYCLE_1)
	s_add_nc_u64 s[34:35], s[0:1], s[34:35]
	s_add_co_u32 s30, s30, s34
	s_cselect_b32 s0, -1, 0
	s_delay_alu instid0(SALU_CYCLE_1)
	s_cmp_lg_u32 s0, 0
	s_add_co_ci_u32 s0, s31, s35
	s_mov_b64 s[34:35], 0xffffffff
	v_nop
	v_mul_u64_e32 v[6:7], s[0:1], v[4:5]
	v_mul_hi_u32 v4, v2, s30
	s_and_b64 s[30:31], s[30:31], s[34:35]
	s_delay_alu instid0(VALU_DEP_1) | instskip(SKIP_1) | instid1(VALU_DEP_1)
	v_add_nc_u64_e32 v[6:7], v[4:5], v[6:7]
	v_mov_b32_e32 v4, v3
	v_mul_u64_e32 v[8:9], s[30:31], v[4:5]
	v_mul_u64_e32 v[10:11], s[0:1], v[4:5]
	s_delay_alu instid0(VALU_DEP_2) | instskip(NEXT) | instid1(VALU_DEP_3)
	v_add_co_u32 v4, vcc_lo, v6, v8
	v_add_co_ci_u32_e32 v4, vcc_lo, v7, v9, vcc_lo
	s_delay_alu instid0(VALU_DEP_3) | instskip(NEXT) | instid1(VALU_DEP_1)
	v_add_co_ci_u32_e32 v11, vcc_lo, 0, v11, vcc_lo
	v_add_nc_u64_e32 v[4:5], v[4:5], v[10:11]
	s_delay_alu instid0(VALU_DEP_1) | instskip(NEXT) | instid1(VALU_DEP_1)
	v_mul_u64_e32 v[6:7], s[28:29], v[4:5]
	v_sub_nc_u32_e32 v8, v3, v7
	s_delay_alu instid0(VALU_DEP_2) | instskip(NEXT) | instid1(VALU_DEP_1)
	v_sub_co_u32 v2, vcc_lo, v2, v6
	v_sub_co_ci_u32_e64 v7, null, v3, v7, vcc_lo
	s_delay_alu instid0(VALU_DEP_3) | instskip(NEXT) | instid1(VALU_DEP_3)
	v_subrev_co_ci_u32_e64 v6, null, s29, v8, vcc_lo
	v_sub_co_u32 v10, s0, v2, s28
	v_cmp_le_u32_e32 vcc_lo, s28, v2
	s_delay_alu instid0(VALU_DEP_3) | instskip(NEXT) | instid1(VALU_DEP_3)
	v_subrev_co_ci_u32_e64 v6, null, 0, v6, s0
	v_cmp_le_u32_e64 s0, s28, v10
	v_add_nc_u64_e32 v[8:9], 2, v[4:5]
	v_cndmask_b32_e64 v12, 0, -1, vcc_lo
	s_delay_alu instid0(VALU_DEP_4) | instskip(SKIP_3) | instid1(VALU_DEP_1)
	v_cmp_eq_u32_e32 vcc_lo, s29, v6
	v_add_nc_u64_e32 v[2:3], 1, v[4:5]
	v_cndmask_b32_e64 v10, 0, -1, s0
	v_cmp_le_u32_e64 s0, s29, v6
	v_cndmask_b32_e64 v11, 0, -1, s0
	v_cmp_eq_u32_e64 s0, s29, v7
	s_delay_alu instid0(VALU_DEP_2) | instskip(SKIP_2) | instid1(VALU_DEP_3)
	v_cndmask_b32_e32 v6, v11, v10, vcc_lo
	v_cmp_le_u32_e32 vcc_lo, s29, v7
	v_cndmask_b32_e64 v10, 0, -1, vcc_lo
	v_cmp_ne_u32_e32 vcc_lo, 0, v6
	s_delay_alu instid0(VALU_DEP_2) | instskip(SKIP_1) | instid1(VALU_DEP_2)
	v_dual_cndmask_b32 v6, v10, v12, s0 :: v_dual_cndmask_b32 v3, v3, v9, vcc_lo
	v_cndmask_b32_e32 v2, v2, v8, vcc_lo
	v_cmp_ne_u32_e32 vcc_lo, 0, v6
	s_delay_alu instid0(VALU_DEP_2) | instskip(SKIP_1) | instid1(VALU_DEP_2)
	v_dual_cndmask_b32 v5, v5, v3 :: v_dual_cndmask_b32 v4, v4, v2
	v_dual_mov_b32 v3, s26 :: v_dual_mov_b32 v2, s26
	v_xor_b32_e32 v5, s26, v5
	s_delay_alu instid0(VALU_DEP_3) | instskip(NEXT) | instid1(VALU_DEP_1)
	v_xor_b32_e32 v4, s26, v4
	v_sub_nc_u64_e32 v[2:3], v[4:5], v[2:3]
	s_cbranch_execnz .LBB6_4
.LBB6_3:
	v_cvt_f32_u32_e32 v2, s16
	s_sub_co_i32 s0, 0, s16
	s_delay_alu instid0(VALU_DEP_1) | instskip(SKIP_1) | instid1(TRANS32_DEP_1)
	v_rcp_iflag_f32_e32 v2, v2
	v_nop
	v_mul_f32_e32 v2, 0x4f7ffffe, v2
	s_delay_alu instid0(VALU_DEP_1) | instskip(NEXT) | instid1(VALU_DEP_1)
	v_cvt_u32_f32_e32 v2, v2
	v_mul_lo_u32 v3, s0, v2
	s_delay_alu instid0(VALU_DEP_1) | instskip(NEXT) | instid1(VALU_DEP_1)
	v_mul_hi_u32 v3, v2, v3
	v_add_nc_u32_e32 v2, v2, v3
	s_delay_alu instid0(VALU_DEP_1) | instskip(NEXT) | instid1(VALU_DEP_1)
	v_mul_hi_u32 v2, v0, v2
	v_mul_lo_u32 v3, v2, s16
	s_delay_alu instid0(VALU_DEP_1) | instskip(NEXT) | instid1(VALU_DEP_1)
	v_dual_add_nc_u32 v4, 1, v2 :: v_dual_sub_nc_u32 v3, v0, v3
	v_subrev_nc_u32_e32 v5, s16, v3
	v_cmp_le_u32_e32 vcc_lo, s16, v3
	s_delay_alu instid0(VALU_DEP_2) | instskip(NEXT) | instid1(VALU_DEP_1)
	v_dual_cndmask_b32 v3, v3, v5 :: v_dual_cndmask_b32 v2, v2, v4
	v_cmp_le_u32_e32 vcc_lo, s16, v3
	s_delay_alu instid0(VALU_DEP_2) | instskip(NEXT) | instid1(VALU_DEP_1)
	v_dual_mov_b32 v3, 0 :: v_dual_add_nc_u32 v4, 1, v2
	v_cndmask_b32_e32 v2, v2, v4, vcc_lo
.LBB6_4:
	s_delay_alu instid0(VALU_DEP_1)
	v_mul_u64_e32 v[4:5], s[16:17], v[2:3]
	v_max_i64 v[6:7], s[22:23], 0
	v_sub_nc_u64_e64 v[8:9], v[2:3], s[24:25]
	s_sub_nc_u64 s[0:1], 0, s[22:23]
	v_sub_nc_u64_e64 v[14:15], v[2:3], s[22:23]
	v_max_i64 v[10:11], s[0:1], 0
	s_bfe_u32 s29, ttmp6, 0x40010
	s_bfe_u32 s1, ttmp6, 0x40014
	s_and_b32 s28, ttmp7, 0xffff
	v_add_nc_u64_e32 v[12:13], 1, v[8:9]
	v_not_b32_e32 v9, v9
	v_not_b32_e32 v8, v8
	v_sub_nc_u64_e32 v[16:17], 0, v[14:15]
	s_lshr_b32 s30, ttmp7, 16
	s_add_co_i32 s29, s29, 1
	s_add_co_i32 s1, s1, 1
	v_max_i64 v[8:9], v[12:13], v[8:9]
	s_bfe_u32 s0, ttmp6, 0x40004
	s_bfe_u32 s31, ttmp6, 0x40008
	s_mul_i32 s29, s28, s29
	s_mul_i32 s1, s30, s1
	s_add_co_i32 s29, s0, s29
	s_add_co_i32 s31, s31, s1
	s_add_nc_u64 s[0:1], s[24:25], s[22:23]
	v_max_i64 v[12:13], s[2:3], 0
	s_cmp_eq_u32 s15, 0
	s_sub_nc_u64 s[26:27], 0, s[2:3]
	s_cselect_b32 s15, s30, s31
	s_cselect_b32 s22, s28, s29
	v_sub_nc_u64_e32 v[0:1], v[0:1], v[4:5]
	v_not_b32_e32 v6, v6
	v_not_b32_e32 v7, v7
	v_max_i64 v[4:5], v[14:15], v[16:17]
	s_delay_alu instid0(VALU_DEP_2)
	v_add_nc_u64_e32 v[6:7], s[0:1], v[6:7]
	v_sub_nc_u64_e64 v[14:15], v[0:1], s[18:19]
	s_wait_kmcnt 0x0
	s_add_co_i32 s1, s13, s15
	s_add_co_i32 s0, s12, s22
	s_mul_i32 s12, s1, s14
	s_mov_b32 s1, 0
	s_add_co_i32 s0, s0, s12
	v_add_nc_u64_e32 v[6:7], v[6:7], v[10:11]
	v_add_nc_u64_e32 v[16:17], 1, v[14:15]
	v_not_b32_e32 v15, v15
	v_not_b32_e32 v14, v14
	s_mul_u64 s[10:11], s[10:11], s[0:1]
	v_add_nc_u64_e32 v[8:9], v[2:3], v[8:9]
	v_mad_nc_u64_u32 v[2:3], s20, s0, v[2:3]
	v_add_nc_u64_e32 v[6:7], s[10:11], v[6:7]
	v_max_i64 v[10:11], v[16:17], v[14:15]
	v_max_i64 v[14:15], s[26:27], 0
	v_sub_nc_u64_e64 v[16:17], v[0:1], s[2:3]
	s_add_nc_u64 s[2:3], s[18:19], s[2:3]
	s_delay_alu instid0(VALU_DEP_4) | instskip(NEXT) | instid1(VALU_DEP_2)
	v_sub_nc_u64_e32 v[6:7], v[6:7], v[8:9]
	v_sub_nc_u64_e32 v[8:9], 0, v[16:17]
	v_mad_u32 v3, s21, s0, v3
	s_delay_alu instid0(VALU_DEP_3) | instskip(SKIP_3) | instid1(VALU_DEP_2)
	v_add_nc_u64_e32 v[4:5], v[6:7], v[4:5]
	v_not_b32_e32 v6, v12
	v_not_b32_e32 v7, v13
	v_max_i64 v[8:9], v[16:17], v[8:9]
	v_add_nc_u64_e32 v[6:7], s[2:3], v[6:7]
	v_mul_u64_e32 v[4:5], s[8:9], v[4:5]
	v_mul_u64_e32 v[2:3], s[16:17], v[2:3]
	v_add_nc_u64_e32 v[10:11], v[0:1], v[10:11]
	s_delay_alu instid0(VALU_DEP_4) | instskip(NEXT) | instid1(VALU_DEP_1)
	v_add_nc_u64_e32 v[6:7], v[6:7], v[14:15]
	v_sub_nc_u64_e32 v[6:7], v[6:7], v[10:11]
	s_delay_alu instid0(VALU_DEP_1) | instskip(NEXT) | instid1(VALU_DEP_1)
	v_lshl_add_u64 v[6:7], v[6:7], 2, s[4:5]
	v_lshl_add_u64 v[6:7], v[8:9], 2, v[6:7]
	;; [unrolled: 1-line block ×3, first 2 shown]
	s_delay_alu instid0(VALU_DEP_2) | instskip(NEXT) | instid1(VALU_DEP_2)
	v_lshl_add_u64 v[4:5], v[4:5], 2, v[6:7]
	v_lshl_add_u64 v[0:1], v[0:1], 2, v[2:3]
	global_load_b32 v4, v[4:5], off
	s_wait_loadcnt 0x0
	global_store_b32 v[0:1], v4, off
.LBB6_5:
	s_endpgm
.LBB6_6:
                                        ; implicit-def: $vgpr2_vgpr3
	s_branch .LBB6_3
	.section	.rodata,"a",@progbits
	.p2align	6, 0x0
	.amdhsa_kernel _ZN2at6native12_GLOBAL__N_127reflection_pad2d_out_kernelIfEEvPKT_PS3_lliiiiiii
		.amdhsa_group_segment_fixed_size 0
		.amdhsa_private_segment_fixed_size 0
		.amdhsa_kernarg_size 320
		.amdhsa_user_sgpr_count 2
		.amdhsa_user_sgpr_dispatch_ptr 0
		.amdhsa_user_sgpr_queue_ptr 0
		.amdhsa_user_sgpr_kernarg_segment_ptr 1
		.amdhsa_user_sgpr_dispatch_id 0
		.amdhsa_user_sgpr_kernarg_preload_length 0
		.amdhsa_user_sgpr_kernarg_preload_offset 0
		.amdhsa_user_sgpr_private_segment_size 0
		.amdhsa_wavefront_size32 1
		.amdhsa_uses_dynamic_stack 0
		.amdhsa_enable_private_segment 0
		.amdhsa_system_sgpr_workgroup_id_x 1
		.amdhsa_system_sgpr_workgroup_id_y 1
		.amdhsa_system_sgpr_workgroup_id_z 1
		.amdhsa_system_sgpr_workgroup_info 0
		.amdhsa_system_vgpr_workitem_id 0
		.amdhsa_next_free_vgpr 18
		.amdhsa_next_free_sgpr 41
		.amdhsa_named_barrier_count 0
		.amdhsa_reserve_vcc 1
		.amdhsa_float_round_mode_32 0
		.amdhsa_float_round_mode_16_64 0
		.amdhsa_float_denorm_mode_32 3
		.amdhsa_float_denorm_mode_16_64 3
		.amdhsa_fp16_overflow 0
		.amdhsa_memory_ordered 1
		.amdhsa_forward_progress 1
		.amdhsa_inst_pref_size 11
		.amdhsa_round_robin_scheduling 0
		.amdhsa_exception_fp_ieee_invalid_op 0
		.amdhsa_exception_fp_denorm_src 0
		.amdhsa_exception_fp_ieee_div_zero 0
		.amdhsa_exception_fp_ieee_overflow 0
		.amdhsa_exception_fp_ieee_underflow 0
		.amdhsa_exception_fp_ieee_inexact 0
		.amdhsa_exception_int_div_zero 0
	.end_amdhsa_kernel
	.section	.text._ZN2at6native12_GLOBAL__N_127reflection_pad2d_out_kernelIfEEvPKT_PS3_lliiiiiii,"axG",@progbits,_ZN2at6native12_GLOBAL__N_127reflection_pad2d_out_kernelIfEEvPKT_PS3_lliiiiiii,comdat
.Lfunc_end6:
	.size	_ZN2at6native12_GLOBAL__N_127reflection_pad2d_out_kernelIfEEvPKT_PS3_lliiiiiii, .Lfunc_end6-_ZN2at6native12_GLOBAL__N_127reflection_pad2d_out_kernelIfEEvPKT_PS3_lliiiiiii
                                        ; -- End function
	.set _ZN2at6native12_GLOBAL__N_127reflection_pad2d_out_kernelIfEEvPKT_PS3_lliiiiiii.num_vgpr, 18
	.set _ZN2at6native12_GLOBAL__N_127reflection_pad2d_out_kernelIfEEvPKT_PS3_lliiiiiii.num_agpr, 0
	.set _ZN2at6native12_GLOBAL__N_127reflection_pad2d_out_kernelIfEEvPKT_PS3_lliiiiiii.numbered_sgpr, 41
	.set _ZN2at6native12_GLOBAL__N_127reflection_pad2d_out_kernelIfEEvPKT_PS3_lliiiiiii.num_named_barrier, 0
	.set _ZN2at6native12_GLOBAL__N_127reflection_pad2d_out_kernelIfEEvPKT_PS3_lliiiiiii.private_seg_size, 0
	.set _ZN2at6native12_GLOBAL__N_127reflection_pad2d_out_kernelIfEEvPKT_PS3_lliiiiiii.uses_vcc, 1
	.set _ZN2at6native12_GLOBAL__N_127reflection_pad2d_out_kernelIfEEvPKT_PS3_lliiiiiii.uses_flat_scratch, 0
	.set _ZN2at6native12_GLOBAL__N_127reflection_pad2d_out_kernelIfEEvPKT_PS3_lliiiiiii.has_dyn_sized_stack, 0
	.set _ZN2at6native12_GLOBAL__N_127reflection_pad2d_out_kernelIfEEvPKT_PS3_lliiiiiii.has_recursion, 0
	.set _ZN2at6native12_GLOBAL__N_127reflection_pad2d_out_kernelIfEEvPKT_PS3_lliiiiiii.has_indirect_call, 0
	.section	.AMDGPU.csdata,"",@progbits
; Kernel info:
; codeLenInByte = 1348
; TotalNumSgprs: 43
; NumVgprs: 18
; ScratchSize: 0
; MemoryBound: 0
; FloatMode: 240
; IeeeMode: 1
; LDSByteSize: 0 bytes/workgroup (compile time only)
; SGPRBlocks: 0
; VGPRBlocks: 1
; NumSGPRsForWavesPerEU: 43
; NumVGPRsForWavesPerEU: 18
; NamedBarCnt: 0
; Occupancy: 16
; WaveLimiterHint : 0
; COMPUTE_PGM_RSRC2:SCRATCH_EN: 0
; COMPUTE_PGM_RSRC2:USER_SGPR: 2
; COMPUTE_PGM_RSRC2:TRAP_HANDLER: 0
; COMPUTE_PGM_RSRC2:TGID_X_EN: 1
; COMPUTE_PGM_RSRC2:TGID_Y_EN: 1
; COMPUTE_PGM_RSRC2:TGID_Z_EN: 1
; COMPUTE_PGM_RSRC2:TIDIG_COMP_CNT: 0
	.section	.text._ZN2at6native12_GLOBAL__N_127reflection_pad2d_out_kernelIN3c107complexIdEEEEvPKT_PS6_lliiiiiii,"axG",@progbits,_ZN2at6native12_GLOBAL__N_127reflection_pad2d_out_kernelIN3c107complexIdEEEEvPKT_PS6_lliiiiiii,comdat
	.globl	_ZN2at6native12_GLOBAL__N_127reflection_pad2d_out_kernelIN3c107complexIdEEEEvPKT_PS6_lliiiiiii ; -- Begin function _ZN2at6native12_GLOBAL__N_127reflection_pad2d_out_kernelIN3c107complexIdEEEEvPKT_PS6_lliiiiiii
	.p2align	8
	.type	_ZN2at6native12_GLOBAL__N_127reflection_pad2d_out_kernelIN3c107complexIdEEEEvPKT_PS6_lliiiiiii,@function
_ZN2at6native12_GLOBAL__N_127reflection_pad2d_out_kernelIN3c107complexIdEEEEvPKT_PS6_lliiiiiii: ; @_ZN2at6native12_GLOBAL__N_127reflection_pad2d_out_kernelIN3c107complexIdEEEEvPKT_PS6_lliiiiiii
; %bb.0:
	s_clause 0x2
	s_load_b32 s2, s[0:1], 0x4c
	s_load_b128 s[28:31], s[0:1], 0x20
	s_load_b256 s[4:11], s[0:1], 0x0
	s_bfe_u32 s3, ttmp6, 0x4000c
	s_and_b32 s12, ttmp6, 15
	s_add_co_i32 s3, s3, 1
	s_getreg_b32 s15, hwreg(HW_REG_IB_STS2, 6, 4)
	s_mul_i32 s3, ttmp9, s3
	v_mov_b32_e32 v1, 0
	s_add_co_i32 s12, s12, s3
	s_wait_kmcnt 0x0
	s_and_b32 s13, s2, 0xffff
	s_cmp_eq_u32 s15, 0
	s_mov_b32 s16, s30
	s_cselect_b32 s12, ttmp9, s12
	s_ashr_i32 s17, s30, 31
	v_mad_u32 v0, s12, s13, v0
	s_ashr_i32 s23, s28, 31
	s_mov_b32 s22, s28
	s_mov_b32 s2, s31
	s_ashr_i32 s3, s31, 31
	s_add_nc_u64 s[20:21], s[8:9], s[16:17]
	s_add_nc_u64 s[24:25], s[10:11], s[22:23]
	s_ashr_i32 s13, s29, 31
	s_mov_b32 s12, s29
	s_add_nc_u64 s[2:3], s[20:21], s[2:3]
	s_add_nc_u64 s[18:19], s[24:25], s[12:13]
	s_delay_alu instid0(SALU_CYCLE_1) | instskip(NEXT) | instid1(SALU_CYCLE_1)
	s_mul_u64 s[12:13], s[2:3], s[18:19]
	v_cmp_gt_i64_e32 vcc_lo, s[12:13], v[0:1]
	s_and_saveexec_b32 s12, vcc_lo
	s_cbranch_execz .LBB7_5
; %bb.1:
	s_load_b96 s[12:14], s[0:1], 0x30
	s_wait_xcnt 0x0
	s_and_b64 s[0:1], s[2:3], 0xffffffff00000000
	s_delay_alu instid0(SALU_CYCLE_1)
	s_cmp_lg_u64 s[0:1], 0
	s_cbranch_scc0 .LBB7_6
; %bb.2:
	s_ashr_i32 s26, s3, 31
	v_add_nc_u64_e32 v[2:3], 0, v[0:1]
	s_mov_b32 s27, s26
	v_mov_b32_e32 v5, 0
	s_add_nc_u64 s[0:1], s[2:3], s[26:27]
	s_delay_alu instid0(SALU_CYCLE_1) | instskip(NEXT) | instid1(VALU_DEP_2)
	s_xor_b64 s[28:29], s[0:1], s[26:27]
	v_mov_b32_e32 v4, v2
	s_cvt_f32_u32 s0, s28
	s_cvt_f32_u32 s1, s29
	s_sub_nc_u64 s[34:35], 0, s[28:29]
	s_delay_alu instid0(SALU_CYCLE_2) | instskip(NEXT) | instid1(SALU_CYCLE_3)
	s_fmamk_f32 s0, s1, 0x4f800000, s0
	v_s_rcp_f32 s0, s0
	s_delay_alu instid0(TRANS32_DEP_1) | instskip(NEXT) | instid1(SALU_CYCLE_3)
	s_mul_f32 s0, s0, 0x5f7ffffc
	s_mul_f32 s1, s0, 0x2f800000
	s_delay_alu instid0(SALU_CYCLE_3) | instskip(NEXT) | instid1(SALU_CYCLE_3)
	s_trunc_f32 s1, s1
	s_fmamk_f32 s0, s1, 0xcf800000, s0
	s_cvt_u32_f32 s31, s1
	s_mov_b32 s1, 0
	s_delay_alu instid0(SALU_CYCLE_1) | instskip(NEXT) | instid1(SALU_CYCLE_3)
	s_cvt_u32_f32 s30, s0
	s_mul_u64 s[36:37], s[34:35], s[30:31]
	s_delay_alu instid0(SALU_CYCLE_1)
	s_mul_hi_u32 s39, s30, s37
	s_mul_i32 s38, s30, s37
	s_mul_hi_u32 s0, s30, s36
	s_mul_i32 s33, s31, s36
	s_add_nc_u64 s[38:39], s[0:1], s[38:39]
	s_mul_hi_u32 s27, s31, s36
	s_mul_hi_u32 s40, s31, s37
	s_add_co_u32 s0, s38, s33
	s_add_co_ci_u32 s0, s39, s27
	s_mul_i32 s36, s31, s37
	s_add_co_ci_u32 s37, s40, 0
	s_delay_alu instid0(SALU_CYCLE_1) | instskip(NEXT) | instid1(SALU_CYCLE_1)
	s_add_nc_u64 s[36:37], s[0:1], s[36:37]
	s_add_co_u32 s30, s30, s36
	s_cselect_b32 s0, -1, 0
	s_delay_alu instid0(SALU_CYCLE_1) | instskip(SKIP_1) | instid1(SALU_CYCLE_1)
	s_cmp_lg_u32 s0, 0
	s_add_co_ci_u32 s31, s31, s37
	s_mul_u64 s[34:35], s[34:35], s[30:31]
	s_delay_alu instid0(SALU_CYCLE_1)
	s_mul_hi_u32 s37, s30, s35
	s_mul_i32 s36, s30, s35
	s_mul_hi_u32 s0, s30, s34
	s_mul_i32 s33, s31, s34
	s_add_nc_u64 s[36:37], s[0:1], s[36:37]
	s_mul_hi_u32 s27, s31, s34
	s_mul_hi_u32 s38, s31, s35
	s_add_co_u32 s0, s36, s33
	s_add_co_ci_u32 s0, s37, s27
	s_mul_i32 s34, s31, s35
	s_add_co_ci_u32 s35, s38, 0
	s_delay_alu instid0(SALU_CYCLE_1) | instskip(NEXT) | instid1(SALU_CYCLE_1)
	s_add_nc_u64 s[34:35], s[0:1], s[34:35]
	s_add_co_u32 s30, s30, s34
	s_cselect_b32 s0, -1, 0
	s_delay_alu instid0(SALU_CYCLE_1)
	s_cmp_lg_u32 s0, 0
	s_add_co_ci_u32 s0, s31, s35
	s_mov_b64 s[34:35], 0xffffffff
	v_nop
	v_mul_u64_e32 v[6:7], s[0:1], v[4:5]
	v_mul_hi_u32 v4, v2, s30
	s_and_b64 s[30:31], s[30:31], s[34:35]
	s_delay_alu instid0(VALU_DEP_1) | instskip(SKIP_1) | instid1(VALU_DEP_1)
	v_add_nc_u64_e32 v[6:7], v[4:5], v[6:7]
	v_mov_b32_e32 v4, v3
	v_mul_u64_e32 v[8:9], s[30:31], v[4:5]
	v_mul_u64_e32 v[10:11], s[0:1], v[4:5]
	s_delay_alu instid0(VALU_DEP_2) | instskip(NEXT) | instid1(VALU_DEP_3)
	v_add_co_u32 v4, vcc_lo, v6, v8
	v_add_co_ci_u32_e32 v4, vcc_lo, v7, v9, vcc_lo
	s_delay_alu instid0(VALU_DEP_3) | instskip(NEXT) | instid1(VALU_DEP_1)
	v_add_co_ci_u32_e32 v11, vcc_lo, 0, v11, vcc_lo
	v_add_nc_u64_e32 v[4:5], v[4:5], v[10:11]
	s_delay_alu instid0(VALU_DEP_1) | instskip(NEXT) | instid1(VALU_DEP_1)
	v_mul_u64_e32 v[6:7], s[28:29], v[4:5]
	v_sub_nc_u32_e32 v8, v3, v7
	s_delay_alu instid0(VALU_DEP_2) | instskip(NEXT) | instid1(VALU_DEP_1)
	v_sub_co_u32 v2, vcc_lo, v2, v6
	v_sub_co_ci_u32_e64 v7, null, v3, v7, vcc_lo
	s_delay_alu instid0(VALU_DEP_3) | instskip(NEXT) | instid1(VALU_DEP_3)
	v_subrev_co_ci_u32_e64 v6, null, s29, v8, vcc_lo
	v_sub_co_u32 v10, s0, v2, s28
	v_cmp_le_u32_e32 vcc_lo, s28, v2
	s_delay_alu instid0(VALU_DEP_3) | instskip(NEXT) | instid1(VALU_DEP_3)
	v_subrev_co_ci_u32_e64 v6, null, 0, v6, s0
	v_cmp_le_u32_e64 s0, s28, v10
	v_add_nc_u64_e32 v[8:9], 2, v[4:5]
	v_cndmask_b32_e64 v12, 0, -1, vcc_lo
	s_delay_alu instid0(VALU_DEP_4) | instskip(SKIP_3) | instid1(VALU_DEP_1)
	v_cmp_eq_u32_e32 vcc_lo, s29, v6
	v_add_nc_u64_e32 v[2:3], 1, v[4:5]
	v_cndmask_b32_e64 v10, 0, -1, s0
	v_cmp_le_u32_e64 s0, s29, v6
	v_cndmask_b32_e64 v11, 0, -1, s0
	v_cmp_eq_u32_e64 s0, s29, v7
	s_delay_alu instid0(VALU_DEP_2) | instskip(SKIP_2) | instid1(VALU_DEP_3)
	v_cndmask_b32_e32 v6, v11, v10, vcc_lo
	v_cmp_le_u32_e32 vcc_lo, s29, v7
	v_cndmask_b32_e64 v10, 0, -1, vcc_lo
	v_cmp_ne_u32_e32 vcc_lo, 0, v6
	s_delay_alu instid0(VALU_DEP_2) | instskip(SKIP_1) | instid1(VALU_DEP_2)
	v_dual_cndmask_b32 v6, v10, v12, s0 :: v_dual_cndmask_b32 v3, v3, v9, vcc_lo
	v_cndmask_b32_e32 v2, v2, v8, vcc_lo
	v_cmp_ne_u32_e32 vcc_lo, 0, v6
	s_delay_alu instid0(VALU_DEP_2) | instskip(SKIP_1) | instid1(VALU_DEP_2)
	v_dual_cndmask_b32 v5, v5, v3 :: v_dual_cndmask_b32 v4, v4, v2
	v_dual_mov_b32 v3, s26 :: v_dual_mov_b32 v2, s26
	v_xor_b32_e32 v5, s26, v5
	s_delay_alu instid0(VALU_DEP_3) | instskip(NEXT) | instid1(VALU_DEP_1)
	v_xor_b32_e32 v4, s26, v4
	v_sub_nc_u64_e32 v[2:3], v[4:5], v[2:3]
	s_cbranch_execnz .LBB7_4
.LBB7_3:
	v_cvt_f32_u32_e32 v2, s2
	s_sub_co_i32 s0, 0, s2
	s_delay_alu instid0(VALU_DEP_1) | instskip(SKIP_1) | instid1(TRANS32_DEP_1)
	v_rcp_iflag_f32_e32 v2, v2
	v_nop
	v_mul_f32_e32 v2, 0x4f7ffffe, v2
	s_delay_alu instid0(VALU_DEP_1) | instskip(NEXT) | instid1(VALU_DEP_1)
	v_cvt_u32_f32_e32 v2, v2
	v_mul_lo_u32 v3, s0, v2
	s_delay_alu instid0(VALU_DEP_1) | instskip(NEXT) | instid1(VALU_DEP_1)
	v_mul_hi_u32 v3, v2, v3
	v_add_nc_u32_e32 v2, v2, v3
	s_delay_alu instid0(VALU_DEP_1) | instskip(NEXT) | instid1(VALU_DEP_1)
	v_mul_hi_u32 v2, v0, v2
	v_mul_lo_u32 v3, v2, s2
	s_delay_alu instid0(VALU_DEP_1) | instskip(NEXT) | instid1(VALU_DEP_1)
	v_dual_add_nc_u32 v4, 1, v2 :: v_dual_sub_nc_u32 v3, v0, v3
	v_subrev_nc_u32_e32 v5, s2, v3
	v_cmp_le_u32_e32 vcc_lo, s2, v3
	s_delay_alu instid0(VALU_DEP_2) | instskip(NEXT) | instid1(VALU_DEP_1)
	v_dual_cndmask_b32 v3, v3, v5 :: v_dual_cndmask_b32 v2, v2, v4
	v_cmp_le_u32_e32 vcc_lo, s2, v3
	s_delay_alu instid0(VALU_DEP_2) | instskip(NEXT) | instid1(VALU_DEP_1)
	v_dual_mov_b32 v3, 0 :: v_dual_add_nc_u32 v4, 1, v2
	v_cndmask_b32_e32 v2, v2, v4, vcc_lo
.LBB7_4:
	s_delay_alu instid0(VALU_DEP_1)
	v_mul_u64_e32 v[4:5], s[2:3], v[2:3]
	v_max_i64 v[6:7], s[22:23], 0
	v_sub_nc_u64_e64 v[8:9], v[2:3], s[24:25]
	s_sub_nc_u64 s[0:1], 0, s[22:23]
	v_sub_nc_u64_e64 v[14:15], v[2:3], s[22:23]
	v_max_i64 v[10:11], s[0:1], 0
	s_bfe_u32 s29, ttmp6, 0x40010
	s_bfe_u32 s1, ttmp6, 0x40014
	s_and_b32 s28, ttmp7, 0xffff
	v_add_nc_u64_e32 v[12:13], 1, v[8:9]
	v_not_b32_e32 v9, v9
	v_not_b32_e32 v8, v8
	v_sub_nc_u64_e32 v[16:17], 0, v[14:15]
	s_lshr_b32 s30, ttmp7, 16
	s_add_co_i32 s29, s29, 1
	s_add_co_i32 s1, s1, 1
	v_max_i64 v[8:9], v[12:13], v[8:9]
	s_bfe_u32 s0, ttmp6, 0x40004
	s_bfe_u32 s31, ttmp6, 0x40008
	s_mul_i32 s29, s28, s29
	s_mul_i32 s1, s30, s1
	s_add_co_i32 s29, s0, s29
	s_add_co_i32 s31, s31, s1
	s_add_nc_u64 s[0:1], s[24:25], s[22:23]
	v_max_i64 v[12:13], s[16:17], 0
	s_cmp_eq_u32 s15, 0
	s_sub_nc_u64 s[26:27], 0, s[16:17]
	s_cselect_b32 s15, s30, s31
	s_cselect_b32 s22, s28, s29
	v_sub_nc_u64_e32 v[0:1], v[0:1], v[4:5]
	v_not_b32_e32 v6, v6
	v_not_b32_e32 v7, v7
	v_max_i64 v[4:5], v[14:15], v[16:17]
	s_delay_alu instid0(VALU_DEP_2)
	v_add_nc_u64_e32 v[6:7], s[0:1], v[6:7]
	v_sub_nc_u64_e64 v[14:15], v[0:1], s[20:21]
	s_wait_kmcnt 0x0
	s_add_co_i32 s1, s13, s15
	s_add_co_i32 s0, s12, s22
	s_mul_i32 s12, s1, s14
	s_mov_b32 s1, 0
	s_add_co_i32 s0, s0, s12
	v_add_nc_u64_e32 v[6:7], v[6:7], v[10:11]
	v_add_nc_u64_e32 v[16:17], 1, v[14:15]
	v_not_b32_e32 v15, v15
	v_not_b32_e32 v14, v14
	s_mul_u64 s[10:11], s[10:11], s[0:1]
	v_add_nc_u64_e32 v[8:9], v[2:3], v[8:9]
	v_mad_nc_u64_u32 v[2:3], s18, s0, v[2:3]
	v_add_nc_u64_e32 v[6:7], s[10:11], v[6:7]
	v_max_i64 v[10:11], v[16:17], v[14:15]
	v_max_i64 v[14:15], s[26:27], 0
	v_sub_nc_u64_e64 v[16:17], v[0:1], s[16:17]
	s_add_nc_u64 s[10:11], s[20:21], s[16:17]
	s_delay_alu instid0(VALU_DEP_4) | instskip(NEXT) | instid1(VALU_DEP_2)
	v_sub_nc_u64_e32 v[6:7], v[6:7], v[8:9]
	v_sub_nc_u64_e32 v[8:9], 0, v[16:17]
	v_mad_u32 v3, s19, s0, v3
	s_delay_alu instid0(VALU_DEP_3) | instskip(SKIP_3) | instid1(VALU_DEP_2)
	v_add_nc_u64_e32 v[4:5], v[6:7], v[4:5]
	v_not_b32_e32 v6, v12
	v_not_b32_e32 v7, v13
	v_max_i64 v[8:9], v[16:17], v[8:9]
	v_add_nc_u64_e32 v[6:7], s[10:11], v[6:7]
	v_mul_u64_e32 v[4:5], s[8:9], v[4:5]
	v_mul_u64_e32 v[2:3], s[2:3], v[2:3]
	v_add_nc_u64_e32 v[10:11], v[0:1], v[10:11]
	s_delay_alu instid0(VALU_DEP_4) | instskip(NEXT) | instid1(VALU_DEP_1)
	v_add_nc_u64_e32 v[6:7], v[6:7], v[14:15]
	v_sub_nc_u64_e32 v[6:7], v[6:7], v[10:11]
	s_delay_alu instid0(VALU_DEP_1) | instskip(NEXT) | instid1(VALU_DEP_1)
	v_lshl_add_u64 v[6:7], v[6:7], 4, s[4:5]
	v_lshl_add_u64 v[6:7], v[8:9], 4, v[6:7]
	;; [unrolled: 1-line block ×3, first 2 shown]
	s_delay_alu instid0(VALU_DEP_2) | instskip(NEXT) | instid1(VALU_DEP_2)
	v_lshl_add_u64 v[4:5], v[4:5], 4, v[6:7]
	v_lshl_add_u64 v[0:1], v[0:1], 4, v[2:3]
	global_load_b128 v[4:7], v[4:5], off
	s_wait_loadcnt 0x0
	global_store_b128 v[0:1], v[4:7], off
.LBB7_5:
	s_endpgm
.LBB7_6:
                                        ; implicit-def: $vgpr2_vgpr3
	s_branch .LBB7_3
	.section	.rodata,"a",@progbits
	.p2align	6, 0x0
	.amdhsa_kernel _ZN2at6native12_GLOBAL__N_127reflection_pad2d_out_kernelIN3c107complexIdEEEEvPKT_PS6_lliiiiiii
		.amdhsa_group_segment_fixed_size 0
		.amdhsa_private_segment_fixed_size 0
		.amdhsa_kernarg_size 320
		.amdhsa_user_sgpr_count 2
		.amdhsa_user_sgpr_dispatch_ptr 0
		.amdhsa_user_sgpr_queue_ptr 0
		.amdhsa_user_sgpr_kernarg_segment_ptr 1
		.amdhsa_user_sgpr_dispatch_id 0
		.amdhsa_user_sgpr_kernarg_preload_length 0
		.amdhsa_user_sgpr_kernarg_preload_offset 0
		.amdhsa_user_sgpr_private_segment_size 0
		.amdhsa_wavefront_size32 1
		.amdhsa_uses_dynamic_stack 0
		.amdhsa_enable_private_segment 0
		.amdhsa_system_sgpr_workgroup_id_x 1
		.amdhsa_system_sgpr_workgroup_id_y 1
		.amdhsa_system_sgpr_workgroup_id_z 1
		.amdhsa_system_sgpr_workgroup_info 0
		.amdhsa_system_vgpr_workitem_id 0
		.amdhsa_next_free_vgpr 18
		.amdhsa_next_free_sgpr 41
		.amdhsa_named_barrier_count 0
		.amdhsa_reserve_vcc 1
		.amdhsa_float_round_mode_32 0
		.amdhsa_float_round_mode_16_64 0
		.amdhsa_float_denorm_mode_32 3
		.amdhsa_float_denorm_mode_16_64 3
		.amdhsa_fp16_overflow 0
		.amdhsa_memory_ordered 1
		.amdhsa_forward_progress 1
		.amdhsa_inst_pref_size 11
		.amdhsa_round_robin_scheduling 0
		.amdhsa_exception_fp_ieee_invalid_op 0
		.amdhsa_exception_fp_denorm_src 0
		.amdhsa_exception_fp_ieee_div_zero 0
		.amdhsa_exception_fp_ieee_overflow 0
		.amdhsa_exception_fp_ieee_underflow 0
		.amdhsa_exception_fp_ieee_inexact 0
		.amdhsa_exception_int_div_zero 0
	.end_amdhsa_kernel
	.section	.text._ZN2at6native12_GLOBAL__N_127reflection_pad2d_out_kernelIN3c107complexIdEEEEvPKT_PS6_lliiiiiii,"axG",@progbits,_ZN2at6native12_GLOBAL__N_127reflection_pad2d_out_kernelIN3c107complexIdEEEEvPKT_PS6_lliiiiiii,comdat
.Lfunc_end7:
	.size	_ZN2at6native12_GLOBAL__N_127reflection_pad2d_out_kernelIN3c107complexIdEEEEvPKT_PS6_lliiiiiii, .Lfunc_end7-_ZN2at6native12_GLOBAL__N_127reflection_pad2d_out_kernelIN3c107complexIdEEEEvPKT_PS6_lliiiiiii
                                        ; -- End function
	.set _ZN2at6native12_GLOBAL__N_127reflection_pad2d_out_kernelIN3c107complexIdEEEEvPKT_PS6_lliiiiiii.num_vgpr, 18
	.set _ZN2at6native12_GLOBAL__N_127reflection_pad2d_out_kernelIN3c107complexIdEEEEvPKT_PS6_lliiiiiii.num_agpr, 0
	.set _ZN2at6native12_GLOBAL__N_127reflection_pad2d_out_kernelIN3c107complexIdEEEEvPKT_PS6_lliiiiiii.numbered_sgpr, 41
	.set _ZN2at6native12_GLOBAL__N_127reflection_pad2d_out_kernelIN3c107complexIdEEEEvPKT_PS6_lliiiiiii.num_named_barrier, 0
	.set _ZN2at6native12_GLOBAL__N_127reflection_pad2d_out_kernelIN3c107complexIdEEEEvPKT_PS6_lliiiiiii.private_seg_size, 0
	.set _ZN2at6native12_GLOBAL__N_127reflection_pad2d_out_kernelIN3c107complexIdEEEEvPKT_PS6_lliiiiiii.uses_vcc, 1
	.set _ZN2at6native12_GLOBAL__N_127reflection_pad2d_out_kernelIN3c107complexIdEEEEvPKT_PS6_lliiiiiii.uses_flat_scratch, 0
	.set _ZN2at6native12_GLOBAL__N_127reflection_pad2d_out_kernelIN3c107complexIdEEEEvPKT_PS6_lliiiiiii.has_dyn_sized_stack, 0
	.set _ZN2at6native12_GLOBAL__N_127reflection_pad2d_out_kernelIN3c107complexIdEEEEvPKT_PS6_lliiiiiii.has_recursion, 0
	.set _ZN2at6native12_GLOBAL__N_127reflection_pad2d_out_kernelIN3c107complexIdEEEEvPKT_PS6_lliiiiiii.has_indirect_call, 0
	.section	.AMDGPU.csdata,"",@progbits
; Kernel info:
; codeLenInByte = 1344
; TotalNumSgprs: 43
; NumVgprs: 18
; ScratchSize: 0
; MemoryBound: 0
; FloatMode: 240
; IeeeMode: 1
; LDSByteSize: 0 bytes/workgroup (compile time only)
; SGPRBlocks: 0
; VGPRBlocks: 1
; NumSGPRsForWavesPerEU: 43
; NumVGPRsForWavesPerEU: 18
; NamedBarCnt: 0
; Occupancy: 16
; WaveLimiterHint : 0
; COMPUTE_PGM_RSRC2:SCRATCH_EN: 0
; COMPUTE_PGM_RSRC2:USER_SGPR: 2
; COMPUTE_PGM_RSRC2:TRAP_HANDLER: 0
; COMPUTE_PGM_RSRC2:TGID_X_EN: 1
; COMPUTE_PGM_RSRC2:TGID_Y_EN: 1
; COMPUTE_PGM_RSRC2:TGID_Z_EN: 1
; COMPUTE_PGM_RSRC2:TIDIG_COMP_CNT: 0
	.section	.text._ZN2at6native12_GLOBAL__N_127reflection_pad2d_out_kernelIN3c107complexIfEEEEvPKT_PS6_lliiiiiii,"axG",@progbits,_ZN2at6native12_GLOBAL__N_127reflection_pad2d_out_kernelIN3c107complexIfEEEEvPKT_PS6_lliiiiiii,comdat
	.globl	_ZN2at6native12_GLOBAL__N_127reflection_pad2d_out_kernelIN3c107complexIfEEEEvPKT_PS6_lliiiiiii ; -- Begin function _ZN2at6native12_GLOBAL__N_127reflection_pad2d_out_kernelIN3c107complexIfEEEEvPKT_PS6_lliiiiiii
	.p2align	8
	.type	_ZN2at6native12_GLOBAL__N_127reflection_pad2d_out_kernelIN3c107complexIfEEEEvPKT_PS6_lliiiiiii,@function
_ZN2at6native12_GLOBAL__N_127reflection_pad2d_out_kernelIN3c107complexIfEEEEvPKT_PS6_lliiiiiii: ; @_ZN2at6native12_GLOBAL__N_127reflection_pad2d_out_kernelIN3c107complexIfEEEEvPKT_PS6_lliiiiiii
; %bb.0:
	s_clause 0x2
	s_load_b32 s2, s[0:1], 0x4c
	s_load_b128 s[28:31], s[0:1], 0x20
	s_load_b256 s[4:11], s[0:1], 0x0
	s_bfe_u32 s3, ttmp6, 0x4000c
	s_and_b32 s12, ttmp6, 15
	s_add_co_i32 s3, s3, 1
	s_getreg_b32 s15, hwreg(HW_REG_IB_STS2, 6, 4)
	s_mul_i32 s3, ttmp9, s3
	v_mov_b32_e32 v1, 0
	s_add_co_i32 s12, s12, s3
	s_wait_kmcnt 0x0
	s_and_b32 s13, s2, 0xffff
	s_cmp_eq_u32 s15, 0
	s_mov_b32 s16, s30
	s_cselect_b32 s12, ttmp9, s12
	s_ashr_i32 s17, s30, 31
	v_mad_u32 v0, s12, s13, v0
	s_ashr_i32 s23, s28, 31
	s_mov_b32 s22, s28
	s_mov_b32 s2, s31
	s_ashr_i32 s3, s31, 31
	s_add_nc_u64 s[20:21], s[8:9], s[16:17]
	s_add_nc_u64 s[24:25], s[10:11], s[22:23]
	s_ashr_i32 s13, s29, 31
	s_mov_b32 s12, s29
	s_add_nc_u64 s[2:3], s[20:21], s[2:3]
	s_add_nc_u64 s[18:19], s[24:25], s[12:13]
	s_delay_alu instid0(SALU_CYCLE_1) | instskip(NEXT) | instid1(SALU_CYCLE_1)
	s_mul_u64 s[12:13], s[2:3], s[18:19]
	v_cmp_gt_i64_e32 vcc_lo, s[12:13], v[0:1]
	s_and_saveexec_b32 s12, vcc_lo
	s_cbranch_execz .LBB8_5
; %bb.1:
	s_load_b96 s[12:14], s[0:1], 0x30
	s_wait_xcnt 0x0
	s_and_b64 s[0:1], s[2:3], 0xffffffff00000000
	s_delay_alu instid0(SALU_CYCLE_1)
	s_cmp_lg_u64 s[0:1], 0
	s_cbranch_scc0 .LBB8_6
; %bb.2:
	s_ashr_i32 s26, s3, 31
	v_add_nc_u64_e32 v[2:3], 0, v[0:1]
	s_mov_b32 s27, s26
	v_mov_b32_e32 v5, 0
	s_add_nc_u64 s[0:1], s[2:3], s[26:27]
	s_delay_alu instid0(SALU_CYCLE_1) | instskip(NEXT) | instid1(VALU_DEP_2)
	s_xor_b64 s[28:29], s[0:1], s[26:27]
	v_mov_b32_e32 v4, v2
	s_cvt_f32_u32 s0, s28
	s_cvt_f32_u32 s1, s29
	s_sub_nc_u64 s[34:35], 0, s[28:29]
	s_delay_alu instid0(SALU_CYCLE_2) | instskip(NEXT) | instid1(SALU_CYCLE_3)
	s_fmamk_f32 s0, s1, 0x4f800000, s0
	v_s_rcp_f32 s0, s0
	s_delay_alu instid0(TRANS32_DEP_1) | instskip(NEXT) | instid1(SALU_CYCLE_3)
	s_mul_f32 s0, s0, 0x5f7ffffc
	s_mul_f32 s1, s0, 0x2f800000
	s_delay_alu instid0(SALU_CYCLE_3) | instskip(NEXT) | instid1(SALU_CYCLE_3)
	s_trunc_f32 s1, s1
	s_fmamk_f32 s0, s1, 0xcf800000, s0
	s_cvt_u32_f32 s31, s1
	s_mov_b32 s1, 0
	s_delay_alu instid0(SALU_CYCLE_1) | instskip(NEXT) | instid1(SALU_CYCLE_3)
	s_cvt_u32_f32 s30, s0
	s_mul_u64 s[36:37], s[34:35], s[30:31]
	s_delay_alu instid0(SALU_CYCLE_1)
	s_mul_hi_u32 s39, s30, s37
	s_mul_i32 s38, s30, s37
	s_mul_hi_u32 s0, s30, s36
	s_mul_i32 s33, s31, s36
	s_add_nc_u64 s[38:39], s[0:1], s[38:39]
	s_mul_hi_u32 s27, s31, s36
	s_mul_hi_u32 s40, s31, s37
	s_add_co_u32 s0, s38, s33
	s_add_co_ci_u32 s0, s39, s27
	s_mul_i32 s36, s31, s37
	s_add_co_ci_u32 s37, s40, 0
	s_delay_alu instid0(SALU_CYCLE_1) | instskip(NEXT) | instid1(SALU_CYCLE_1)
	s_add_nc_u64 s[36:37], s[0:1], s[36:37]
	s_add_co_u32 s30, s30, s36
	s_cselect_b32 s0, -1, 0
	s_delay_alu instid0(SALU_CYCLE_1) | instskip(SKIP_1) | instid1(SALU_CYCLE_1)
	s_cmp_lg_u32 s0, 0
	s_add_co_ci_u32 s31, s31, s37
	s_mul_u64 s[34:35], s[34:35], s[30:31]
	s_delay_alu instid0(SALU_CYCLE_1)
	s_mul_hi_u32 s37, s30, s35
	s_mul_i32 s36, s30, s35
	s_mul_hi_u32 s0, s30, s34
	s_mul_i32 s33, s31, s34
	s_add_nc_u64 s[36:37], s[0:1], s[36:37]
	s_mul_hi_u32 s27, s31, s34
	s_mul_hi_u32 s38, s31, s35
	s_add_co_u32 s0, s36, s33
	s_add_co_ci_u32 s0, s37, s27
	s_mul_i32 s34, s31, s35
	s_add_co_ci_u32 s35, s38, 0
	s_delay_alu instid0(SALU_CYCLE_1) | instskip(NEXT) | instid1(SALU_CYCLE_1)
	s_add_nc_u64 s[34:35], s[0:1], s[34:35]
	s_add_co_u32 s30, s30, s34
	s_cselect_b32 s0, -1, 0
	s_delay_alu instid0(SALU_CYCLE_1)
	s_cmp_lg_u32 s0, 0
	s_add_co_ci_u32 s0, s31, s35
	s_mov_b64 s[34:35], 0xffffffff
	v_nop
	v_mul_u64_e32 v[6:7], s[0:1], v[4:5]
	v_mul_hi_u32 v4, v2, s30
	s_and_b64 s[30:31], s[30:31], s[34:35]
	s_delay_alu instid0(VALU_DEP_1) | instskip(SKIP_1) | instid1(VALU_DEP_1)
	v_add_nc_u64_e32 v[6:7], v[4:5], v[6:7]
	v_mov_b32_e32 v4, v3
	v_mul_u64_e32 v[8:9], s[30:31], v[4:5]
	v_mul_u64_e32 v[10:11], s[0:1], v[4:5]
	s_delay_alu instid0(VALU_DEP_2) | instskip(NEXT) | instid1(VALU_DEP_3)
	v_add_co_u32 v4, vcc_lo, v6, v8
	v_add_co_ci_u32_e32 v4, vcc_lo, v7, v9, vcc_lo
	s_delay_alu instid0(VALU_DEP_3) | instskip(NEXT) | instid1(VALU_DEP_1)
	v_add_co_ci_u32_e32 v11, vcc_lo, 0, v11, vcc_lo
	v_add_nc_u64_e32 v[4:5], v[4:5], v[10:11]
	s_delay_alu instid0(VALU_DEP_1) | instskip(NEXT) | instid1(VALU_DEP_1)
	v_mul_u64_e32 v[6:7], s[28:29], v[4:5]
	v_sub_nc_u32_e32 v8, v3, v7
	s_delay_alu instid0(VALU_DEP_2) | instskip(NEXT) | instid1(VALU_DEP_1)
	v_sub_co_u32 v2, vcc_lo, v2, v6
	v_sub_co_ci_u32_e64 v7, null, v3, v7, vcc_lo
	s_delay_alu instid0(VALU_DEP_3) | instskip(NEXT) | instid1(VALU_DEP_3)
	v_subrev_co_ci_u32_e64 v6, null, s29, v8, vcc_lo
	v_sub_co_u32 v10, s0, v2, s28
	v_cmp_le_u32_e32 vcc_lo, s28, v2
	s_delay_alu instid0(VALU_DEP_3) | instskip(NEXT) | instid1(VALU_DEP_3)
	v_subrev_co_ci_u32_e64 v6, null, 0, v6, s0
	v_cmp_le_u32_e64 s0, s28, v10
	v_add_nc_u64_e32 v[8:9], 2, v[4:5]
	v_cndmask_b32_e64 v12, 0, -1, vcc_lo
	s_delay_alu instid0(VALU_DEP_4) | instskip(SKIP_3) | instid1(VALU_DEP_1)
	v_cmp_eq_u32_e32 vcc_lo, s29, v6
	v_add_nc_u64_e32 v[2:3], 1, v[4:5]
	v_cndmask_b32_e64 v10, 0, -1, s0
	v_cmp_le_u32_e64 s0, s29, v6
	v_cndmask_b32_e64 v11, 0, -1, s0
	v_cmp_eq_u32_e64 s0, s29, v7
	s_delay_alu instid0(VALU_DEP_2) | instskip(SKIP_2) | instid1(VALU_DEP_3)
	v_cndmask_b32_e32 v6, v11, v10, vcc_lo
	v_cmp_le_u32_e32 vcc_lo, s29, v7
	v_cndmask_b32_e64 v10, 0, -1, vcc_lo
	v_cmp_ne_u32_e32 vcc_lo, 0, v6
	s_delay_alu instid0(VALU_DEP_2) | instskip(SKIP_1) | instid1(VALU_DEP_2)
	v_dual_cndmask_b32 v6, v10, v12, s0 :: v_dual_cndmask_b32 v3, v3, v9, vcc_lo
	v_cndmask_b32_e32 v2, v2, v8, vcc_lo
	v_cmp_ne_u32_e32 vcc_lo, 0, v6
	s_delay_alu instid0(VALU_DEP_2) | instskip(SKIP_1) | instid1(VALU_DEP_2)
	v_dual_cndmask_b32 v5, v5, v3 :: v_dual_cndmask_b32 v4, v4, v2
	v_dual_mov_b32 v3, s26 :: v_dual_mov_b32 v2, s26
	v_xor_b32_e32 v5, s26, v5
	s_delay_alu instid0(VALU_DEP_3) | instskip(NEXT) | instid1(VALU_DEP_1)
	v_xor_b32_e32 v4, s26, v4
	v_sub_nc_u64_e32 v[2:3], v[4:5], v[2:3]
	s_cbranch_execnz .LBB8_4
.LBB8_3:
	v_cvt_f32_u32_e32 v2, s2
	s_sub_co_i32 s0, 0, s2
	s_delay_alu instid0(VALU_DEP_1) | instskip(SKIP_1) | instid1(TRANS32_DEP_1)
	v_rcp_iflag_f32_e32 v2, v2
	v_nop
	v_mul_f32_e32 v2, 0x4f7ffffe, v2
	s_delay_alu instid0(VALU_DEP_1) | instskip(NEXT) | instid1(VALU_DEP_1)
	v_cvt_u32_f32_e32 v2, v2
	v_mul_lo_u32 v3, s0, v2
	s_delay_alu instid0(VALU_DEP_1) | instskip(NEXT) | instid1(VALU_DEP_1)
	v_mul_hi_u32 v3, v2, v3
	v_add_nc_u32_e32 v2, v2, v3
	s_delay_alu instid0(VALU_DEP_1) | instskip(NEXT) | instid1(VALU_DEP_1)
	v_mul_hi_u32 v2, v0, v2
	v_mul_lo_u32 v3, v2, s2
	s_delay_alu instid0(VALU_DEP_1) | instskip(NEXT) | instid1(VALU_DEP_1)
	v_dual_add_nc_u32 v4, 1, v2 :: v_dual_sub_nc_u32 v3, v0, v3
	v_subrev_nc_u32_e32 v5, s2, v3
	v_cmp_le_u32_e32 vcc_lo, s2, v3
	s_delay_alu instid0(VALU_DEP_2) | instskip(NEXT) | instid1(VALU_DEP_1)
	v_dual_cndmask_b32 v3, v3, v5 :: v_dual_cndmask_b32 v2, v2, v4
	v_cmp_le_u32_e32 vcc_lo, s2, v3
	s_delay_alu instid0(VALU_DEP_2) | instskip(NEXT) | instid1(VALU_DEP_1)
	v_dual_mov_b32 v3, 0 :: v_dual_add_nc_u32 v4, 1, v2
	v_cndmask_b32_e32 v2, v2, v4, vcc_lo
.LBB8_4:
	s_delay_alu instid0(VALU_DEP_1)
	v_mul_u64_e32 v[4:5], s[2:3], v[2:3]
	v_max_i64 v[6:7], s[22:23], 0
	v_sub_nc_u64_e64 v[8:9], v[2:3], s[24:25]
	s_sub_nc_u64 s[0:1], 0, s[22:23]
	v_sub_nc_u64_e64 v[14:15], v[2:3], s[22:23]
	v_max_i64 v[10:11], s[0:1], 0
	s_bfe_u32 s29, ttmp6, 0x40010
	s_bfe_u32 s1, ttmp6, 0x40014
	s_and_b32 s28, ttmp7, 0xffff
	v_add_nc_u64_e32 v[12:13], 1, v[8:9]
	v_not_b32_e32 v9, v9
	v_not_b32_e32 v8, v8
	v_sub_nc_u64_e32 v[16:17], 0, v[14:15]
	s_lshr_b32 s30, ttmp7, 16
	s_add_co_i32 s29, s29, 1
	s_add_co_i32 s1, s1, 1
	v_max_i64 v[8:9], v[12:13], v[8:9]
	s_bfe_u32 s0, ttmp6, 0x40004
	s_bfe_u32 s31, ttmp6, 0x40008
	s_mul_i32 s29, s28, s29
	s_mul_i32 s1, s30, s1
	s_add_co_i32 s29, s0, s29
	s_add_co_i32 s31, s31, s1
	s_add_nc_u64 s[0:1], s[24:25], s[22:23]
	v_max_i64 v[12:13], s[16:17], 0
	s_cmp_eq_u32 s15, 0
	s_sub_nc_u64 s[26:27], 0, s[16:17]
	s_cselect_b32 s15, s30, s31
	s_cselect_b32 s22, s28, s29
	v_sub_nc_u64_e32 v[0:1], v[0:1], v[4:5]
	v_not_b32_e32 v6, v6
	v_not_b32_e32 v7, v7
	v_max_i64 v[4:5], v[14:15], v[16:17]
	s_delay_alu instid0(VALU_DEP_2)
	v_add_nc_u64_e32 v[6:7], s[0:1], v[6:7]
	v_sub_nc_u64_e64 v[14:15], v[0:1], s[20:21]
	s_wait_kmcnt 0x0
	s_add_co_i32 s1, s13, s15
	s_add_co_i32 s0, s12, s22
	s_mul_i32 s12, s1, s14
	s_mov_b32 s1, 0
	s_add_co_i32 s0, s0, s12
	v_add_nc_u64_e32 v[6:7], v[6:7], v[10:11]
	v_add_nc_u64_e32 v[16:17], 1, v[14:15]
	v_not_b32_e32 v15, v15
	v_not_b32_e32 v14, v14
	s_mul_u64 s[10:11], s[10:11], s[0:1]
	v_add_nc_u64_e32 v[8:9], v[2:3], v[8:9]
	v_mad_nc_u64_u32 v[2:3], s18, s0, v[2:3]
	v_add_nc_u64_e32 v[6:7], s[10:11], v[6:7]
	v_max_i64 v[10:11], v[16:17], v[14:15]
	v_max_i64 v[14:15], s[26:27], 0
	v_sub_nc_u64_e64 v[16:17], v[0:1], s[16:17]
	s_add_nc_u64 s[10:11], s[20:21], s[16:17]
	s_delay_alu instid0(VALU_DEP_4) | instskip(NEXT) | instid1(VALU_DEP_2)
	v_sub_nc_u64_e32 v[6:7], v[6:7], v[8:9]
	v_sub_nc_u64_e32 v[8:9], 0, v[16:17]
	v_mad_u32 v3, s19, s0, v3
	s_delay_alu instid0(VALU_DEP_3) | instskip(SKIP_3) | instid1(VALU_DEP_2)
	v_add_nc_u64_e32 v[4:5], v[6:7], v[4:5]
	v_not_b32_e32 v6, v12
	v_not_b32_e32 v7, v13
	v_max_i64 v[8:9], v[16:17], v[8:9]
	v_add_nc_u64_e32 v[6:7], s[10:11], v[6:7]
	v_mul_u64_e32 v[4:5], s[8:9], v[4:5]
	v_mul_u64_e32 v[2:3], s[2:3], v[2:3]
	v_add_nc_u64_e32 v[10:11], v[0:1], v[10:11]
	s_delay_alu instid0(VALU_DEP_4) | instskip(NEXT) | instid1(VALU_DEP_1)
	v_add_nc_u64_e32 v[6:7], v[6:7], v[14:15]
	v_sub_nc_u64_e32 v[6:7], v[6:7], v[10:11]
	s_delay_alu instid0(VALU_DEP_1) | instskip(NEXT) | instid1(VALU_DEP_1)
	v_lshl_add_u64 v[6:7], v[6:7], 3, s[4:5]
	v_lshl_add_u64 v[6:7], v[8:9], 3, v[6:7]
	;; [unrolled: 1-line block ×3, first 2 shown]
	s_delay_alu instid0(VALU_DEP_2) | instskip(NEXT) | instid1(VALU_DEP_2)
	v_lshl_add_u64 v[4:5], v[4:5], 3, v[6:7]
	v_lshl_add_u64 v[0:1], v[0:1], 3, v[2:3]
	global_load_b64 v[4:5], v[4:5], off
	s_wait_loadcnt 0x0
	global_store_b64 v[0:1], v[4:5], off
.LBB8_5:
	s_endpgm
.LBB8_6:
                                        ; implicit-def: $vgpr2_vgpr3
	s_branch .LBB8_3
	.section	.rodata,"a",@progbits
	.p2align	6, 0x0
	.amdhsa_kernel _ZN2at6native12_GLOBAL__N_127reflection_pad2d_out_kernelIN3c107complexIfEEEEvPKT_PS6_lliiiiiii
		.amdhsa_group_segment_fixed_size 0
		.amdhsa_private_segment_fixed_size 0
		.amdhsa_kernarg_size 320
		.amdhsa_user_sgpr_count 2
		.amdhsa_user_sgpr_dispatch_ptr 0
		.amdhsa_user_sgpr_queue_ptr 0
		.amdhsa_user_sgpr_kernarg_segment_ptr 1
		.amdhsa_user_sgpr_dispatch_id 0
		.amdhsa_user_sgpr_kernarg_preload_length 0
		.amdhsa_user_sgpr_kernarg_preload_offset 0
		.amdhsa_user_sgpr_private_segment_size 0
		.amdhsa_wavefront_size32 1
		.amdhsa_uses_dynamic_stack 0
		.amdhsa_enable_private_segment 0
		.amdhsa_system_sgpr_workgroup_id_x 1
		.amdhsa_system_sgpr_workgroup_id_y 1
		.amdhsa_system_sgpr_workgroup_id_z 1
		.amdhsa_system_sgpr_workgroup_info 0
		.amdhsa_system_vgpr_workitem_id 0
		.amdhsa_next_free_vgpr 18
		.amdhsa_next_free_sgpr 41
		.amdhsa_named_barrier_count 0
		.amdhsa_reserve_vcc 1
		.amdhsa_float_round_mode_32 0
		.amdhsa_float_round_mode_16_64 0
		.amdhsa_float_denorm_mode_32 3
		.amdhsa_float_denorm_mode_16_64 3
		.amdhsa_fp16_overflow 0
		.amdhsa_memory_ordered 1
		.amdhsa_forward_progress 1
		.amdhsa_inst_pref_size 11
		.amdhsa_round_robin_scheduling 0
		.amdhsa_exception_fp_ieee_invalid_op 0
		.amdhsa_exception_fp_denorm_src 0
		.amdhsa_exception_fp_ieee_div_zero 0
		.amdhsa_exception_fp_ieee_overflow 0
		.amdhsa_exception_fp_ieee_underflow 0
		.amdhsa_exception_fp_ieee_inexact 0
		.amdhsa_exception_int_div_zero 0
	.end_amdhsa_kernel
	.section	.text._ZN2at6native12_GLOBAL__N_127reflection_pad2d_out_kernelIN3c107complexIfEEEEvPKT_PS6_lliiiiiii,"axG",@progbits,_ZN2at6native12_GLOBAL__N_127reflection_pad2d_out_kernelIN3c107complexIfEEEEvPKT_PS6_lliiiiiii,comdat
.Lfunc_end8:
	.size	_ZN2at6native12_GLOBAL__N_127reflection_pad2d_out_kernelIN3c107complexIfEEEEvPKT_PS6_lliiiiiii, .Lfunc_end8-_ZN2at6native12_GLOBAL__N_127reflection_pad2d_out_kernelIN3c107complexIfEEEEvPKT_PS6_lliiiiiii
                                        ; -- End function
	.set _ZN2at6native12_GLOBAL__N_127reflection_pad2d_out_kernelIN3c107complexIfEEEEvPKT_PS6_lliiiiiii.num_vgpr, 18
	.set _ZN2at6native12_GLOBAL__N_127reflection_pad2d_out_kernelIN3c107complexIfEEEEvPKT_PS6_lliiiiiii.num_agpr, 0
	.set _ZN2at6native12_GLOBAL__N_127reflection_pad2d_out_kernelIN3c107complexIfEEEEvPKT_PS6_lliiiiiii.numbered_sgpr, 41
	.set _ZN2at6native12_GLOBAL__N_127reflection_pad2d_out_kernelIN3c107complexIfEEEEvPKT_PS6_lliiiiiii.num_named_barrier, 0
	.set _ZN2at6native12_GLOBAL__N_127reflection_pad2d_out_kernelIN3c107complexIfEEEEvPKT_PS6_lliiiiiii.private_seg_size, 0
	.set _ZN2at6native12_GLOBAL__N_127reflection_pad2d_out_kernelIN3c107complexIfEEEEvPKT_PS6_lliiiiiii.uses_vcc, 1
	.set _ZN2at6native12_GLOBAL__N_127reflection_pad2d_out_kernelIN3c107complexIfEEEEvPKT_PS6_lliiiiiii.uses_flat_scratch, 0
	.set _ZN2at6native12_GLOBAL__N_127reflection_pad2d_out_kernelIN3c107complexIfEEEEvPKT_PS6_lliiiiiii.has_dyn_sized_stack, 0
	.set _ZN2at6native12_GLOBAL__N_127reflection_pad2d_out_kernelIN3c107complexIfEEEEvPKT_PS6_lliiiiiii.has_recursion, 0
	.set _ZN2at6native12_GLOBAL__N_127reflection_pad2d_out_kernelIN3c107complexIfEEEEvPKT_PS6_lliiiiiii.has_indirect_call, 0
	.section	.AMDGPU.csdata,"",@progbits
; Kernel info:
; codeLenInByte = 1344
; TotalNumSgprs: 43
; NumVgprs: 18
; ScratchSize: 0
; MemoryBound: 0
; FloatMode: 240
; IeeeMode: 1
; LDSByteSize: 0 bytes/workgroup (compile time only)
; SGPRBlocks: 0
; VGPRBlocks: 1
; NumSGPRsForWavesPerEU: 43
; NumVGPRsForWavesPerEU: 18
; NamedBarCnt: 0
; Occupancy: 16
; WaveLimiterHint : 0
; COMPUTE_PGM_RSRC2:SCRATCH_EN: 0
; COMPUTE_PGM_RSRC2:USER_SGPR: 2
; COMPUTE_PGM_RSRC2:TRAP_HANDLER: 0
; COMPUTE_PGM_RSRC2:TGID_X_EN: 1
; COMPUTE_PGM_RSRC2:TGID_Y_EN: 1
; COMPUTE_PGM_RSRC2:TGID_Z_EN: 1
; COMPUTE_PGM_RSRC2:TIDIG_COMP_CNT: 0
	.section	.text._ZN2at6native12_GLOBAL__N_127reflection_pad2d_out_kernelIN3c104HalfEEEvPKT_PS5_lliiiiiii,"axG",@progbits,_ZN2at6native12_GLOBAL__N_127reflection_pad2d_out_kernelIN3c104HalfEEEvPKT_PS5_lliiiiiii,comdat
	.globl	_ZN2at6native12_GLOBAL__N_127reflection_pad2d_out_kernelIN3c104HalfEEEvPKT_PS5_lliiiiiii ; -- Begin function _ZN2at6native12_GLOBAL__N_127reflection_pad2d_out_kernelIN3c104HalfEEEvPKT_PS5_lliiiiiii
	.p2align	8
	.type	_ZN2at6native12_GLOBAL__N_127reflection_pad2d_out_kernelIN3c104HalfEEEvPKT_PS5_lliiiiiii,@function
_ZN2at6native12_GLOBAL__N_127reflection_pad2d_out_kernelIN3c104HalfEEEvPKT_PS5_lliiiiiii: ; @_ZN2at6native12_GLOBAL__N_127reflection_pad2d_out_kernelIN3c104HalfEEEvPKT_PS5_lliiiiiii
; %bb.0:
	s_clause 0x2
	s_load_b32 s2, s[0:1], 0x4c
	s_load_b128 s[28:31], s[0:1], 0x20
	s_load_b256 s[4:11], s[0:1], 0x0
	s_bfe_u32 s3, ttmp6, 0x4000c
	s_and_b32 s12, ttmp6, 15
	s_add_co_i32 s3, s3, 1
	s_getreg_b32 s15, hwreg(HW_REG_IB_STS2, 6, 4)
	s_mul_i32 s3, ttmp9, s3
	v_mov_b32_e32 v1, 0
	s_add_co_i32 s12, s12, s3
	s_wait_kmcnt 0x0
	s_and_b32 s13, s2, 0xffff
	s_cmp_eq_u32 s15, 0
	s_mov_b32 s16, s30
	s_cselect_b32 s12, ttmp9, s12
	s_ashr_i32 s17, s30, 31
	v_mad_u32 v0, s12, s13, v0
	s_ashr_i32 s23, s28, 31
	s_mov_b32 s22, s28
	s_mov_b32 s2, s31
	s_ashr_i32 s3, s31, 31
	s_add_nc_u64 s[20:21], s[8:9], s[16:17]
	s_add_nc_u64 s[24:25], s[10:11], s[22:23]
	s_ashr_i32 s13, s29, 31
	s_mov_b32 s12, s29
	s_add_nc_u64 s[2:3], s[20:21], s[2:3]
	s_add_nc_u64 s[18:19], s[24:25], s[12:13]
	s_delay_alu instid0(SALU_CYCLE_1) | instskip(NEXT) | instid1(SALU_CYCLE_1)
	s_mul_u64 s[12:13], s[2:3], s[18:19]
	v_cmp_gt_i64_e32 vcc_lo, s[12:13], v[0:1]
	s_and_saveexec_b32 s12, vcc_lo
	s_cbranch_execz .LBB9_5
; %bb.1:
	s_load_b96 s[12:14], s[0:1], 0x30
	s_wait_xcnt 0x0
	s_and_b64 s[0:1], s[2:3], 0xffffffff00000000
	s_delay_alu instid0(SALU_CYCLE_1)
	s_cmp_lg_u64 s[0:1], 0
	s_cbranch_scc0 .LBB9_6
; %bb.2:
	s_ashr_i32 s26, s3, 31
	v_add_nc_u64_e32 v[2:3], 0, v[0:1]
	s_mov_b32 s27, s26
	v_mov_b32_e32 v5, 0
	s_add_nc_u64 s[0:1], s[2:3], s[26:27]
	s_delay_alu instid0(SALU_CYCLE_1) | instskip(NEXT) | instid1(VALU_DEP_2)
	s_xor_b64 s[28:29], s[0:1], s[26:27]
	v_mov_b32_e32 v4, v2
	s_cvt_f32_u32 s0, s28
	s_cvt_f32_u32 s1, s29
	s_sub_nc_u64 s[34:35], 0, s[28:29]
	s_delay_alu instid0(SALU_CYCLE_2) | instskip(NEXT) | instid1(SALU_CYCLE_3)
	s_fmamk_f32 s0, s1, 0x4f800000, s0
	v_s_rcp_f32 s0, s0
	s_delay_alu instid0(TRANS32_DEP_1) | instskip(NEXT) | instid1(SALU_CYCLE_3)
	s_mul_f32 s0, s0, 0x5f7ffffc
	s_mul_f32 s1, s0, 0x2f800000
	s_delay_alu instid0(SALU_CYCLE_3) | instskip(NEXT) | instid1(SALU_CYCLE_3)
	s_trunc_f32 s1, s1
	s_fmamk_f32 s0, s1, 0xcf800000, s0
	s_cvt_u32_f32 s31, s1
	s_mov_b32 s1, 0
	s_delay_alu instid0(SALU_CYCLE_1) | instskip(NEXT) | instid1(SALU_CYCLE_3)
	s_cvt_u32_f32 s30, s0
	s_mul_u64 s[36:37], s[34:35], s[30:31]
	s_delay_alu instid0(SALU_CYCLE_1)
	s_mul_hi_u32 s39, s30, s37
	s_mul_i32 s38, s30, s37
	s_mul_hi_u32 s0, s30, s36
	s_mul_i32 s33, s31, s36
	s_add_nc_u64 s[38:39], s[0:1], s[38:39]
	s_mul_hi_u32 s27, s31, s36
	s_mul_hi_u32 s40, s31, s37
	s_add_co_u32 s0, s38, s33
	s_add_co_ci_u32 s0, s39, s27
	s_mul_i32 s36, s31, s37
	s_add_co_ci_u32 s37, s40, 0
	s_delay_alu instid0(SALU_CYCLE_1) | instskip(NEXT) | instid1(SALU_CYCLE_1)
	s_add_nc_u64 s[36:37], s[0:1], s[36:37]
	s_add_co_u32 s30, s30, s36
	s_cselect_b32 s0, -1, 0
	s_delay_alu instid0(SALU_CYCLE_1) | instskip(SKIP_1) | instid1(SALU_CYCLE_1)
	s_cmp_lg_u32 s0, 0
	s_add_co_ci_u32 s31, s31, s37
	s_mul_u64 s[34:35], s[34:35], s[30:31]
	s_delay_alu instid0(SALU_CYCLE_1)
	s_mul_hi_u32 s37, s30, s35
	s_mul_i32 s36, s30, s35
	s_mul_hi_u32 s0, s30, s34
	s_mul_i32 s33, s31, s34
	s_add_nc_u64 s[36:37], s[0:1], s[36:37]
	s_mul_hi_u32 s27, s31, s34
	s_mul_hi_u32 s38, s31, s35
	s_add_co_u32 s0, s36, s33
	s_add_co_ci_u32 s0, s37, s27
	s_mul_i32 s34, s31, s35
	s_add_co_ci_u32 s35, s38, 0
	s_delay_alu instid0(SALU_CYCLE_1) | instskip(NEXT) | instid1(SALU_CYCLE_1)
	s_add_nc_u64 s[34:35], s[0:1], s[34:35]
	s_add_co_u32 s30, s30, s34
	s_cselect_b32 s0, -1, 0
	s_delay_alu instid0(SALU_CYCLE_1)
	s_cmp_lg_u32 s0, 0
	s_add_co_ci_u32 s0, s31, s35
	s_mov_b64 s[34:35], 0xffffffff
	v_nop
	v_mul_u64_e32 v[6:7], s[0:1], v[4:5]
	v_mul_hi_u32 v4, v2, s30
	s_and_b64 s[30:31], s[30:31], s[34:35]
	s_delay_alu instid0(VALU_DEP_1) | instskip(SKIP_1) | instid1(VALU_DEP_1)
	v_add_nc_u64_e32 v[6:7], v[4:5], v[6:7]
	v_mov_b32_e32 v4, v3
	v_mul_u64_e32 v[8:9], s[30:31], v[4:5]
	v_mul_u64_e32 v[10:11], s[0:1], v[4:5]
	s_delay_alu instid0(VALU_DEP_2) | instskip(NEXT) | instid1(VALU_DEP_3)
	v_add_co_u32 v4, vcc_lo, v6, v8
	v_add_co_ci_u32_e32 v4, vcc_lo, v7, v9, vcc_lo
	s_delay_alu instid0(VALU_DEP_3) | instskip(NEXT) | instid1(VALU_DEP_1)
	v_add_co_ci_u32_e32 v11, vcc_lo, 0, v11, vcc_lo
	v_add_nc_u64_e32 v[4:5], v[4:5], v[10:11]
	s_delay_alu instid0(VALU_DEP_1) | instskip(NEXT) | instid1(VALU_DEP_1)
	v_mul_u64_e32 v[6:7], s[28:29], v[4:5]
	v_sub_nc_u32_e32 v8, v3, v7
	s_delay_alu instid0(VALU_DEP_2) | instskip(NEXT) | instid1(VALU_DEP_1)
	v_sub_co_u32 v2, vcc_lo, v2, v6
	v_sub_co_ci_u32_e64 v7, null, v3, v7, vcc_lo
	s_delay_alu instid0(VALU_DEP_3) | instskip(NEXT) | instid1(VALU_DEP_3)
	v_subrev_co_ci_u32_e64 v6, null, s29, v8, vcc_lo
	v_sub_co_u32 v10, s0, v2, s28
	v_cmp_le_u32_e32 vcc_lo, s28, v2
	s_delay_alu instid0(VALU_DEP_3) | instskip(NEXT) | instid1(VALU_DEP_3)
	v_subrev_co_ci_u32_e64 v6, null, 0, v6, s0
	v_cmp_le_u32_e64 s0, s28, v10
	v_add_nc_u64_e32 v[8:9], 2, v[4:5]
	v_cndmask_b32_e64 v12, 0, -1, vcc_lo
	s_delay_alu instid0(VALU_DEP_4) | instskip(SKIP_3) | instid1(VALU_DEP_1)
	v_cmp_eq_u32_e32 vcc_lo, s29, v6
	v_add_nc_u64_e32 v[2:3], 1, v[4:5]
	v_cndmask_b32_e64 v10, 0, -1, s0
	v_cmp_le_u32_e64 s0, s29, v6
	v_cndmask_b32_e64 v11, 0, -1, s0
	v_cmp_eq_u32_e64 s0, s29, v7
	s_delay_alu instid0(VALU_DEP_2) | instskip(SKIP_2) | instid1(VALU_DEP_3)
	v_cndmask_b32_e32 v6, v11, v10, vcc_lo
	v_cmp_le_u32_e32 vcc_lo, s29, v7
	v_cndmask_b32_e64 v10, 0, -1, vcc_lo
	v_cmp_ne_u32_e32 vcc_lo, 0, v6
	s_delay_alu instid0(VALU_DEP_2) | instskip(SKIP_1) | instid1(VALU_DEP_2)
	v_dual_cndmask_b32 v6, v10, v12, s0 :: v_dual_cndmask_b32 v3, v3, v9, vcc_lo
	v_cndmask_b32_e32 v2, v2, v8, vcc_lo
	v_cmp_ne_u32_e32 vcc_lo, 0, v6
	s_delay_alu instid0(VALU_DEP_2) | instskip(SKIP_1) | instid1(VALU_DEP_2)
	v_dual_cndmask_b32 v5, v5, v3 :: v_dual_cndmask_b32 v4, v4, v2
	v_dual_mov_b32 v3, s26 :: v_dual_mov_b32 v2, s26
	v_xor_b32_e32 v5, s26, v5
	s_delay_alu instid0(VALU_DEP_3) | instskip(NEXT) | instid1(VALU_DEP_1)
	v_xor_b32_e32 v4, s26, v4
	v_sub_nc_u64_e32 v[2:3], v[4:5], v[2:3]
	s_cbranch_execnz .LBB9_4
.LBB9_3:
	v_cvt_f32_u32_e32 v2, s2
	s_sub_co_i32 s0, 0, s2
	s_delay_alu instid0(VALU_DEP_1) | instskip(SKIP_1) | instid1(TRANS32_DEP_1)
	v_rcp_iflag_f32_e32 v2, v2
	v_nop
	v_mul_f32_e32 v2, 0x4f7ffffe, v2
	s_delay_alu instid0(VALU_DEP_1) | instskip(NEXT) | instid1(VALU_DEP_1)
	v_cvt_u32_f32_e32 v2, v2
	v_mul_lo_u32 v3, s0, v2
	s_delay_alu instid0(VALU_DEP_1) | instskip(NEXT) | instid1(VALU_DEP_1)
	v_mul_hi_u32 v3, v2, v3
	v_add_nc_u32_e32 v2, v2, v3
	s_delay_alu instid0(VALU_DEP_1) | instskip(NEXT) | instid1(VALU_DEP_1)
	v_mul_hi_u32 v2, v0, v2
	v_mul_lo_u32 v3, v2, s2
	s_delay_alu instid0(VALU_DEP_1) | instskip(NEXT) | instid1(VALU_DEP_1)
	v_dual_add_nc_u32 v4, 1, v2 :: v_dual_sub_nc_u32 v3, v0, v3
	v_subrev_nc_u32_e32 v5, s2, v3
	v_cmp_le_u32_e32 vcc_lo, s2, v3
	s_delay_alu instid0(VALU_DEP_2) | instskip(NEXT) | instid1(VALU_DEP_1)
	v_dual_cndmask_b32 v3, v3, v5 :: v_dual_cndmask_b32 v2, v2, v4
	v_cmp_le_u32_e32 vcc_lo, s2, v3
	s_delay_alu instid0(VALU_DEP_2) | instskip(NEXT) | instid1(VALU_DEP_1)
	v_dual_mov_b32 v3, 0 :: v_dual_add_nc_u32 v4, 1, v2
	v_cndmask_b32_e32 v2, v2, v4, vcc_lo
.LBB9_4:
	s_delay_alu instid0(VALU_DEP_1)
	v_mul_u64_e32 v[4:5], s[2:3], v[2:3]
	v_max_i64 v[6:7], s[22:23], 0
	v_sub_nc_u64_e64 v[8:9], v[2:3], s[24:25]
	s_sub_nc_u64 s[0:1], 0, s[22:23]
	v_sub_nc_u64_e64 v[14:15], v[2:3], s[22:23]
	v_max_i64 v[10:11], s[0:1], 0
	s_bfe_u32 s29, ttmp6, 0x40010
	s_bfe_u32 s1, ttmp6, 0x40014
	s_and_b32 s28, ttmp7, 0xffff
	v_add_nc_u64_e32 v[12:13], 1, v[8:9]
	v_not_b32_e32 v9, v9
	v_not_b32_e32 v8, v8
	v_sub_nc_u64_e32 v[16:17], 0, v[14:15]
	s_lshr_b32 s30, ttmp7, 16
	s_add_co_i32 s29, s29, 1
	s_add_co_i32 s1, s1, 1
	v_max_i64 v[8:9], v[12:13], v[8:9]
	s_bfe_u32 s0, ttmp6, 0x40004
	s_bfe_u32 s31, ttmp6, 0x40008
	s_mul_i32 s29, s28, s29
	s_mul_i32 s1, s30, s1
	s_add_co_i32 s29, s0, s29
	s_add_co_i32 s31, s31, s1
	s_add_nc_u64 s[0:1], s[24:25], s[22:23]
	v_max_i64 v[12:13], s[16:17], 0
	s_cmp_eq_u32 s15, 0
	s_sub_nc_u64 s[26:27], 0, s[16:17]
	s_cselect_b32 s15, s30, s31
	s_cselect_b32 s22, s28, s29
	v_sub_nc_u64_e32 v[0:1], v[0:1], v[4:5]
	v_not_b32_e32 v6, v6
	v_not_b32_e32 v7, v7
	v_max_i64 v[4:5], v[14:15], v[16:17]
	s_delay_alu instid0(VALU_DEP_2)
	v_add_nc_u64_e32 v[6:7], s[0:1], v[6:7]
	v_sub_nc_u64_e64 v[14:15], v[0:1], s[20:21]
	s_wait_kmcnt 0x0
	s_add_co_i32 s1, s13, s15
	s_add_co_i32 s0, s12, s22
	s_mul_i32 s12, s1, s14
	s_mov_b32 s1, 0
	s_add_co_i32 s0, s0, s12
	v_add_nc_u64_e32 v[6:7], v[6:7], v[10:11]
	v_add_nc_u64_e32 v[16:17], 1, v[14:15]
	v_not_b32_e32 v15, v15
	v_not_b32_e32 v14, v14
	s_mul_u64 s[10:11], s[10:11], s[0:1]
	v_add_nc_u64_e32 v[8:9], v[2:3], v[8:9]
	v_mad_nc_u64_u32 v[2:3], s18, s0, v[2:3]
	v_add_nc_u64_e32 v[6:7], s[10:11], v[6:7]
	v_max_i64 v[10:11], v[16:17], v[14:15]
	v_max_i64 v[14:15], s[26:27], 0
	v_sub_nc_u64_e64 v[16:17], v[0:1], s[16:17]
	s_add_nc_u64 s[10:11], s[20:21], s[16:17]
	s_delay_alu instid0(VALU_DEP_4) | instskip(NEXT) | instid1(VALU_DEP_2)
	v_sub_nc_u64_e32 v[6:7], v[6:7], v[8:9]
	v_sub_nc_u64_e32 v[8:9], 0, v[16:17]
	v_mad_u32 v3, s19, s0, v3
	s_delay_alu instid0(VALU_DEP_3) | instskip(SKIP_3) | instid1(VALU_DEP_2)
	v_add_nc_u64_e32 v[4:5], v[6:7], v[4:5]
	v_not_b32_e32 v6, v12
	v_not_b32_e32 v7, v13
	v_max_i64 v[8:9], v[16:17], v[8:9]
	v_add_nc_u64_e32 v[6:7], s[10:11], v[6:7]
	v_mul_u64_e32 v[4:5], s[8:9], v[4:5]
	v_mul_u64_e32 v[2:3], s[2:3], v[2:3]
	v_add_nc_u64_e32 v[10:11], v[0:1], v[10:11]
	s_delay_alu instid0(VALU_DEP_4) | instskip(NEXT) | instid1(VALU_DEP_1)
	v_add_nc_u64_e32 v[6:7], v[6:7], v[14:15]
	v_sub_nc_u64_e32 v[6:7], v[6:7], v[10:11]
	s_delay_alu instid0(VALU_DEP_1) | instskip(NEXT) | instid1(VALU_DEP_1)
	v_lshl_add_u64 v[6:7], v[6:7], 1, s[4:5]
	v_lshl_add_u64 v[6:7], v[8:9], 1, v[6:7]
	;; [unrolled: 1-line block ×3, first 2 shown]
	s_delay_alu instid0(VALU_DEP_2) | instskip(NEXT) | instid1(VALU_DEP_2)
	v_lshl_add_u64 v[4:5], v[4:5], 1, v[6:7]
	v_lshl_add_u64 v[0:1], v[0:1], 1, v[2:3]
	global_load_u16 v4, v[4:5], off
	s_wait_loadcnt 0x0
	global_store_b16 v[0:1], v4, off
.LBB9_5:
	s_endpgm
.LBB9_6:
                                        ; implicit-def: $vgpr2_vgpr3
	s_branch .LBB9_3
	.section	.rodata,"a",@progbits
	.p2align	6, 0x0
	.amdhsa_kernel _ZN2at6native12_GLOBAL__N_127reflection_pad2d_out_kernelIN3c104HalfEEEvPKT_PS5_lliiiiiii
		.amdhsa_group_segment_fixed_size 0
		.amdhsa_private_segment_fixed_size 0
		.amdhsa_kernarg_size 320
		.amdhsa_user_sgpr_count 2
		.amdhsa_user_sgpr_dispatch_ptr 0
		.amdhsa_user_sgpr_queue_ptr 0
		.amdhsa_user_sgpr_kernarg_segment_ptr 1
		.amdhsa_user_sgpr_dispatch_id 0
		.amdhsa_user_sgpr_kernarg_preload_length 0
		.amdhsa_user_sgpr_kernarg_preload_offset 0
		.amdhsa_user_sgpr_private_segment_size 0
		.amdhsa_wavefront_size32 1
		.amdhsa_uses_dynamic_stack 0
		.amdhsa_enable_private_segment 0
		.amdhsa_system_sgpr_workgroup_id_x 1
		.amdhsa_system_sgpr_workgroup_id_y 1
		.amdhsa_system_sgpr_workgroup_id_z 1
		.amdhsa_system_sgpr_workgroup_info 0
		.amdhsa_system_vgpr_workitem_id 0
		.amdhsa_next_free_vgpr 18
		.amdhsa_next_free_sgpr 41
		.amdhsa_named_barrier_count 0
		.amdhsa_reserve_vcc 1
		.amdhsa_float_round_mode_32 0
		.amdhsa_float_round_mode_16_64 0
		.amdhsa_float_denorm_mode_32 3
		.amdhsa_float_denorm_mode_16_64 3
		.amdhsa_fp16_overflow 0
		.amdhsa_memory_ordered 1
		.amdhsa_forward_progress 1
		.amdhsa_inst_pref_size 11
		.amdhsa_round_robin_scheduling 0
		.amdhsa_exception_fp_ieee_invalid_op 0
		.amdhsa_exception_fp_denorm_src 0
		.amdhsa_exception_fp_ieee_div_zero 0
		.amdhsa_exception_fp_ieee_overflow 0
		.amdhsa_exception_fp_ieee_underflow 0
		.amdhsa_exception_fp_ieee_inexact 0
		.amdhsa_exception_int_div_zero 0
	.end_amdhsa_kernel
	.section	.text._ZN2at6native12_GLOBAL__N_127reflection_pad2d_out_kernelIN3c104HalfEEEvPKT_PS5_lliiiiiii,"axG",@progbits,_ZN2at6native12_GLOBAL__N_127reflection_pad2d_out_kernelIN3c104HalfEEEvPKT_PS5_lliiiiiii,comdat
.Lfunc_end9:
	.size	_ZN2at6native12_GLOBAL__N_127reflection_pad2d_out_kernelIN3c104HalfEEEvPKT_PS5_lliiiiiii, .Lfunc_end9-_ZN2at6native12_GLOBAL__N_127reflection_pad2d_out_kernelIN3c104HalfEEEvPKT_PS5_lliiiiiii
                                        ; -- End function
	.set _ZN2at6native12_GLOBAL__N_127reflection_pad2d_out_kernelIN3c104HalfEEEvPKT_PS5_lliiiiiii.num_vgpr, 18
	.set _ZN2at6native12_GLOBAL__N_127reflection_pad2d_out_kernelIN3c104HalfEEEvPKT_PS5_lliiiiiii.num_agpr, 0
	.set _ZN2at6native12_GLOBAL__N_127reflection_pad2d_out_kernelIN3c104HalfEEEvPKT_PS5_lliiiiiii.numbered_sgpr, 41
	.set _ZN2at6native12_GLOBAL__N_127reflection_pad2d_out_kernelIN3c104HalfEEEvPKT_PS5_lliiiiiii.num_named_barrier, 0
	.set _ZN2at6native12_GLOBAL__N_127reflection_pad2d_out_kernelIN3c104HalfEEEvPKT_PS5_lliiiiiii.private_seg_size, 0
	.set _ZN2at6native12_GLOBAL__N_127reflection_pad2d_out_kernelIN3c104HalfEEEvPKT_PS5_lliiiiiii.uses_vcc, 1
	.set _ZN2at6native12_GLOBAL__N_127reflection_pad2d_out_kernelIN3c104HalfEEEvPKT_PS5_lliiiiiii.uses_flat_scratch, 0
	.set _ZN2at6native12_GLOBAL__N_127reflection_pad2d_out_kernelIN3c104HalfEEEvPKT_PS5_lliiiiiii.has_dyn_sized_stack, 0
	.set _ZN2at6native12_GLOBAL__N_127reflection_pad2d_out_kernelIN3c104HalfEEEvPKT_PS5_lliiiiiii.has_recursion, 0
	.set _ZN2at6native12_GLOBAL__N_127reflection_pad2d_out_kernelIN3c104HalfEEEvPKT_PS5_lliiiiiii.has_indirect_call, 0
	.section	.AMDGPU.csdata,"",@progbits
; Kernel info:
; codeLenInByte = 1344
; TotalNumSgprs: 43
; NumVgprs: 18
; ScratchSize: 0
; MemoryBound: 0
; FloatMode: 240
; IeeeMode: 1
; LDSByteSize: 0 bytes/workgroup (compile time only)
; SGPRBlocks: 0
; VGPRBlocks: 1
; NumSGPRsForWavesPerEU: 43
; NumVGPRsForWavesPerEU: 18
; NamedBarCnt: 0
; Occupancy: 16
; WaveLimiterHint : 0
; COMPUTE_PGM_RSRC2:SCRATCH_EN: 0
; COMPUTE_PGM_RSRC2:USER_SGPR: 2
; COMPUTE_PGM_RSRC2:TRAP_HANDLER: 0
; COMPUTE_PGM_RSRC2:TGID_X_EN: 1
; COMPUTE_PGM_RSRC2:TGID_Y_EN: 1
; COMPUTE_PGM_RSRC2:TGID_Z_EN: 1
; COMPUTE_PGM_RSRC2:TIDIG_COMP_CNT: 0
	.section	.text._ZN2at6native12_GLOBAL__N_127reflection_pad2d_out_kernelIN3c108BFloat16EEEvPKT_PS5_lliiiiiii,"axG",@progbits,_ZN2at6native12_GLOBAL__N_127reflection_pad2d_out_kernelIN3c108BFloat16EEEvPKT_PS5_lliiiiiii,comdat
	.globl	_ZN2at6native12_GLOBAL__N_127reflection_pad2d_out_kernelIN3c108BFloat16EEEvPKT_PS5_lliiiiiii ; -- Begin function _ZN2at6native12_GLOBAL__N_127reflection_pad2d_out_kernelIN3c108BFloat16EEEvPKT_PS5_lliiiiiii
	.p2align	8
	.type	_ZN2at6native12_GLOBAL__N_127reflection_pad2d_out_kernelIN3c108BFloat16EEEvPKT_PS5_lliiiiiii,@function
_ZN2at6native12_GLOBAL__N_127reflection_pad2d_out_kernelIN3c108BFloat16EEEvPKT_PS5_lliiiiiii: ; @_ZN2at6native12_GLOBAL__N_127reflection_pad2d_out_kernelIN3c108BFloat16EEEvPKT_PS5_lliiiiiii
; %bb.0:
	s_clause 0x2
	s_load_b32 s2, s[0:1], 0x4c
	s_load_b128 s[28:31], s[0:1], 0x20
	s_load_b256 s[4:11], s[0:1], 0x0
	s_bfe_u32 s3, ttmp6, 0x4000c
	s_and_b32 s12, ttmp6, 15
	s_add_co_i32 s3, s3, 1
	s_getreg_b32 s15, hwreg(HW_REG_IB_STS2, 6, 4)
	s_mul_i32 s3, ttmp9, s3
	v_mov_b32_e32 v1, 0
	s_add_co_i32 s12, s12, s3
	s_wait_kmcnt 0x0
	s_and_b32 s13, s2, 0xffff
	s_cmp_eq_u32 s15, 0
	s_mov_b32 s16, s30
	s_cselect_b32 s12, ttmp9, s12
	s_ashr_i32 s17, s30, 31
	v_mad_u32 v0, s12, s13, v0
	s_ashr_i32 s23, s28, 31
	s_mov_b32 s22, s28
	s_mov_b32 s2, s31
	s_ashr_i32 s3, s31, 31
	s_add_nc_u64 s[20:21], s[8:9], s[16:17]
	s_add_nc_u64 s[24:25], s[10:11], s[22:23]
	s_ashr_i32 s13, s29, 31
	s_mov_b32 s12, s29
	s_add_nc_u64 s[2:3], s[20:21], s[2:3]
	s_add_nc_u64 s[18:19], s[24:25], s[12:13]
	s_delay_alu instid0(SALU_CYCLE_1) | instskip(NEXT) | instid1(SALU_CYCLE_1)
	s_mul_u64 s[12:13], s[2:3], s[18:19]
	v_cmp_gt_i64_e32 vcc_lo, s[12:13], v[0:1]
	s_and_saveexec_b32 s12, vcc_lo
	s_cbranch_execz .LBB10_5
; %bb.1:
	s_load_b96 s[12:14], s[0:1], 0x30
	s_wait_xcnt 0x0
	s_and_b64 s[0:1], s[2:3], 0xffffffff00000000
	s_delay_alu instid0(SALU_CYCLE_1)
	s_cmp_lg_u64 s[0:1], 0
	s_cbranch_scc0 .LBB10_6
; %bb.2:
	s_ashr_i32 s26, s3, 31
	v_add_nc_u64_e32 v[2:3], 0, v[0:1]
	s_mov_b32 s27, s26
	v_mov_b32_e32 v5, 0
	s_add_nc_u64 s[0:1], s[2:3], s[26:27]
	s_delay_alu instid0(SALU_CYCLE_1) | instskip(NEXT) | instid1(VALU_DEP_2)
	s_xor_b64 s[28:29], s[0:1], s[26:27]
	v_mov_b32_e32 v4, v2
	s_cvt_f32_u32 s0, s28
	s_cvt_f32_u32 s1, s29
	s_sub_nc_u64 s[34:35], 0, s[28:29]
	s_delay_alu instid0(SALU_CYCLE_2) | instskip(NEXT) | instid1(SALU_CYCLE_3)
	s_fmamk_f32 s0, s1, 0x4f800000, s0
	v_s_rcp_f32 s0, s0
	s_delay_alu instid0(TRANS32_DEP_1) | instskip(NEXT) | instid1(SALU_CYCLE_3)
	s_mul_f32 s0, s0, 0x5f7ffffc
	s_mul_f32 s1, s0, 0x2f800000
	s_delay_alu instid0(SALU_CYCLE_3) | instskip(NEXT) | instid1(SALU_CYCLE_3)
	s_trunc_f32 s1, s1
	s_fmamk_f32 s0, s1, 0xcf800000, s0
	s_cvt_u32_f32 s31, s1
	s_mov_b32 s1, 0
	s_delay_alu instid0(SALU_CYCLE_1) | instskip(NEXT) | instid1(SALU_CYCLE_3)
	s_cvt_u32_f32 s30, s0
	s_mul_u64 s[36:37], s[34:35], s[30:31]
	s_delay_alu instid0(SALU_CYCLE_1)
	s_mul_hi_u32 s39, s30, s37
	s_mul_i32 s38, s30, s37
	s_mul_hi_u32 s0, s30, s36
	s_mul_i32 s33, s31, s36
	s_add_nc_u64 s[38:39], s[0:1], s[38:39]
	s_mul_hi_u32 s27, s31, s36
	s_mul_hi_u32 s40, s31, s37
	s_add_co_u32 s0, s38, s33
	s_add_co_ci_u32 s0, s39, s27
	s_mul_i32 s36, s31, s37
	s_add_co_ci_u32 s37, s40, 0
	s_delay_alu instid0(SALU_CYCLE_1) | instskip(NEXT) | instid1(SALU_CYCLE_1)
	s_add_nc_u64 s[36:37], s[0:1], s[36:37]
	s_add_co_u32 s30, s30, s36
	s_cselect_b32 s0, -1, 0
	s_delay_alu instid0(SALU_CYCLE_1) | instskip(SKIP_1) | instid1(SALU_CYCLE_1)
	s_cmp_lg_u32 s0, 0
	s_add_co_ci_u32 s31, s31, s37
	s_mul_u64 s[34:35], s[34:35], s[30:31]
	s_delay_alu instid0(SALU_CYCLE_1)
	s_mul_hi_u32 s37, s30, s35
	s_mul_i32 s36, s30, s35
	s_mul_hi_u32 s0, s30, s34
	s_mul_i32 s33, s31, s34
	s_add_nc_u64 s[36:37], s[0:1], s[36:37]
	s_mul_hi_u32 s27, s31, s34
	s_mul_hi_u32 s38, s31, s35
	s_add_co_u32 s0, s36, s33
	s_add_co_ci_u32 s0, s37, s27
	s_mul_i32 s34, s31, s35
	s_add_co_ci_u32 s35, s38, 0
	s_delay_alu instid0(SALU_CYCLE_1) | instskip(NEXT) | instid1(SALU_CYCLE_1)
	s_add_nc_u64 s[34:35], s[0:1], s[34:35]
	s_add_co_u32 s30, s30, s34
	s_cselect_b32 s0, -1, 0
	s_delay_alu instid0(SALU_CYCLE_1)
	s_cmp_lg_u32 s0, 0
	s_add_co_ci_u32 s0, s31, s35
	s_mov_b64 s[34:35], 0xffffffff
	v_nop
	v_mul_u64_e32 v[6:7], s[0:1], v[4:5]
	v_mul_hi_u32 v4, v2, s30
	s_and_b64 s[30:31], s[30:31], s[34:35]
	s_delay_alu instid0(VALU_DEP_1) | instskip(SKIP_1) | instid1(VALU_DEP_1)
	v_add_nc_u64_e32 v[6:7], v[4:5], v[6:7]
	v_mov_b32_e32 v4, v3
	v_mul_u64_e32 v[8:9], s[30:31], v[4:5]
	v_mul_u64_e32 v[10:11], s[0:1], v[4:5]
	s_delay_alu instid0(VALU_DEP_2) | instskip(NEXT) | instid1(VALU_DEP_3)
	v_add_co_u32 v4, vcc_lo, v6, v8
	v_add_co_ci_u32_e32 v4, vcc_lo, v7, v9, vcc_lo
	s_delay_alu instid0(VALU_DEP_3) | instskip(NEXT) | instid1(VALU_DEP_1)
	v_add_co_ci_u32_e32 v11, vcc_lo, 0, v11, vcc_lo
	v_add_nc_u64_e32 v[4:5], v[4:5], v[10:11]
	s_delay_alu instid0(VALU_DEP_1) | instskip(NEXT) | instid1(VALU_DEP_1)
	v_mul_u64_e32 v[6:7], s[28:29], v[4:5]
	v_sub_nc_u32_e32 v8, v3, v7
	s_delay_alu instid0(VALU_DEP_2) | instskip(NEXT) | instid1(VALU_DEP_1)
	v_sub_co_u32 v2, vcc_lo, v2, v6
	v_sub_co_ci_u32_e64 v7, null, v3, v7, vcc_lo
	s_delay_alu instid0(VALU_DEP_3) | instskip(NEXT) | instid1(VALU_DEP_3)
	v_subrev_co_ci_u32_e64 v6, null, s29, v8, vcc_lo
	v_sub_co_u32 v10, s0, v2, s28
	v_cmp_le_u32_e32 vcc_lo, s28, v2
	s_delay_alu instid0(VALU_DEP_3) | instskip(NEXT) | instid1(VALU_DEP_3)
	v_subrev_co_ci_u32_e64 v6, null, 0, v6, s0
	v_cmp_le_u32_e64 s0, s28, v10
	v_add_nc_u64_e32 v[8:9], 2, v[4:5]
	v_cndmask_b32_e64 v12, 0, -1, vcc_lo
	s_delay_alu instid0(VALU_DEP_4) | instskip(SKIP_3) | instid1(VALU_DEP_1)
	v_cmp_eq_u32_e32 vcc_lo, s29, v6
	v_add_nc_u64_e32 v[2:3], 1, v[4:5]
	v_cndmask_b32_e64 v10, 0, -1, s0
	v_cmp_le_u32_e64 s0, s29, v6
	v_cndmask_b32_e64 v11, 0, -1, s0
	v_cmp_eq_u32_e64 s0, s29, v7
	s_delay_alu instid0(VALU_DEP_2) | instskip(SKIP_2) | instid1(VALU_DEP_3)
	v_cndmask_b32_e32 v6, v11, v10, vcc_lo
	v_cmp_le_u32_e32 vcc_lo, s29, v7
	v_cndmask_b32_e64 v10, 0, -1, vcc_lo
	v_cmp_ne_u32_e32 vcc_lo, 0, v6
	s_delay_alu instid0(VALU_DEP_2) | instskip(SKIP_1) | instid1(VALU_DEP_2)
	v_dual_cndmask_b32 v6, v10, v12, s0 :: v_dual_cndmask_b32 v3, v3, v9, vcc_lo
	v_cndmask_b32_e32 v2, v2, v8, vcc_lo
	v_cmp_ne_u32_e32 vcc_lo, 0, v6
	s_delay_alu instid0(VALU_DEP_2) | instskip(SKIP_1) | instid1(VALU_DEP_2)
	v_dual_cndmask_b32 v5, v5, v3 :: v_dual_cndmask_b32 v4, v4, v2
	v_dual_mov_b32 v3, s26 :: v_dual_mov_b32 v2, s26
	v_xor_b32_e32 v5, s26, v5
	s_delay_alu instid0(VALU_DEP_3) | instskip(NEXT) | instid1(VALU_DEP_1)
	v_xor_b32_e32 v4, s26, v4
	v_sub_nc_u64_e32 v[2:3], v[4:5], v[2:3]
	s_cbranch_execnz .LBB10_4
.LBB10_3:
	v_cvt_f32_u32_e32 v2, s2
	s_sub_co_i32 s0, 0, s2
	s_delay_alu instid0(VALU_DEP_1) | instskip(SKIP_1) | instid1(TRANS32_DEP_1)
	v_rcp_iflag_f32_e32 v2, v2
	v_nop
	v_mul_f32_e32 v2, 0x4f7ffffe, v2
	s_delay_alu instid0(VALU_DEP_1) | instskip(NEXT) | instid1(VALU_DEP_1)
	v_cvt_u32_f32_e32 v2, v2
	v_mul_lo_u32 v3, s0, v2
	s_delay_alu instid0(VALU_DEP_1) | instskip(NEXT) | instid1(VALU_DEP_1)
	v_mul_hi_u32 v3, v2, v3
	v_add_nc_u32_e32 v2, v2, v3
	s_delay_alu instid0(VALU_DEP_1) | instskip(NEXT) | instid1(VALU_DEP_1)
	v_mul_hi_u32 v2, v0, v2
	v_mul_lo_u32 v3, v2, s2
	s_delay_alu instid0(VALU_DEP_1) | instskip(NEXT) | instid1(VALU_DEP_1)
	v_dual_add_nc_u32 v4, 1, v2 :: v_dual_sub_nc_u32 v3, v0, v3
	v_subrev_nc_u32_e32 v5, s2, v3
	v_cmp_le_u32_e32 vcc_lo, s2, v3
	s_delay_alu instid0(VALU_DEP_2) | instskip(NEXT) | instid1(VALU_DEP_1)
	v_dual_cndmask_b32 v3, v3, v5 :: v_dual_cndmask_b32 v2, v2, v4
	v_cmp_le_u32_e32 vcc_lo, s2, v3
	s_delay_alu instid0(VALU_DEP_2) | instskip(NEXT) | instid1(VALU_DEP_1)
	v_dual_mov_b32 v3, 0 :: v_dual_add_nc_u32 v4, 1, v2
	v_cndmask_b32_e32 v2, v2, v4, vcc_lo
.LBB10_4:
	s_delay_alu instid0(VALU_DEP_1)
	v_mul_u64_e32 v[4:5], s[2:3], v[2:3]
	v_max_i64 v[6:7], s[22:23], 0
	v_sub_nc_u64_e64 v[8:9], v[2:3], s[24:25]
	s_sub_nc_u64 s[0:1], 0, s[22:23]
	v_sub_nc_u64_e64 v[14:15], v[2:3], s[22:23]
	v_max_i64 v[10:11], s[0:1], 0
	s_bfe_u32 s29, ttmp6, 0x40010
	s_bfe_u32 s1, ttmp6, 0x40014
	s_and_b32 s28, ttmp7, 0xffff
	v_add_nc_u64_e32 v[12:13], 1, v[8:9]
	v_not_b32_e32 v9, v9
	v_not_b32_e32 v8, v8
	v_sub_nc_u64_e32 v[16:17], 0, v[14:15]
	s_lshr_b32 s30, ttmp7, 16
	s_add_co_i32 s29, s29, 1
	s_add_co_i32 s1, s1, 1
	v_max_i64 v[8:9], v[12:13], v[8:9]
	s_bfe_u32 s0, ttmp6, 0x40004
	s_bfe_u32 s31, ttmp6, 0x40008
	s_mul_i32 s29, s28, s29
	s_mul_i32 s1, s30, s1
	s_add_co_i32 s29, s0, s29
	s_add_co_i32 s31, s31, s1
	s_add_nc_u64 s[0:1], s[24:25], s[22:23]
	v_max_i64 v[12:13], s[16:17], 0
	s_cmp_eq_u32 s15, 0
	s_sub_nc_u64 s[26:27], 0, s[16:17]
	s_cselect_b32 s15, s30, s31
	s_cselect_b32 s22, s28, s29
	v_sub_nc_u64_e32 v[0:1], v[0:1], v[4:5]
	v_not_b32_e32 v6, v6
	v_not_b32_e32 v7, v7
	v_max_i64 v[4:5], v[14:15], v[16:17]
	s_delay_alu instid0(VALU_DEP_2)
	v_add_nc_u64_e32 v[6:7], s[0:1], v[6:7]
	v_sub_nc_u64_e64 v[14:15], v[0:1], s[20:21]
	s_wait_kmcnt 0x0
	s_add_co_i32 s1, s13, s15
	s_add_co_i32 s0, s12, s22
	s_mul_i32 s12, s1, s14
	s_mov_b32 s1, 0
	s_add_co_i32 s0, s0, s12
	v_add_nc_u64_e32 v[6:7], v[6:7], v[10:11]
	v_add_nc_u64_e32 v[16:17], 1, v[14:15]
	v_not_b32_e32 v15, v15
	v_not_b32_e32 v14, v14
	s_mul_u64 s[10:11], s[10:11], s[0:1]
	v_add_nc_u64_e32 v[8:9], v[2:3], v[8:9]
	v_mad_nc_u64_u32 v[2:3], s18, s0, v[2:3]
	v_add_nc_u64_e32 v[6:7], s[10:11], v[6:7]
	v_max_i64 v[10:11], v[16:17], v[14:15]
	v_max_i64 v[14:15], s[26:27], 0
	v_sub_nc_u64_e64 v[16:17], v[0:1], s[16:17]
	s_add_nc_u64 s[10:11], s[20:21], s[16:17]
	s_delay_alu instid0(VALU_DEP_4) | instskip(NEXT) | instid1(VALU_DEP_2)
	v_sub_nc_u64_e32 v[6:7], v[6:7], v[8:9]
	v_sub_nc_u64_e32 v[8:9], 0, v[16:17]
	v_mad_u32 v3, s19, s0, v3
	s_delay_alu instid0(VALU_DEP_3) | instskip(SKIP_3) | instid1(VALU_DEP_2)
	v_add_nc_u64_e32 v[4:5], v[6:7], v[4:5]
	v_not_b32_e32 v6, v12
	v_not_b32_e32 v7, v13
	v_max_i64 v[8:9], v[16:17], v[8:9]
	v_add_nc_u64_e32 v[6:7], s[10:11], v[6:7]
	v_mul_u64_e32 v[4:5], s[8:9], v[4:5]
	v_mul_u64_e32 v[2:3], s[2:3], v[2:3]
	v_add_nc_u64_e32 v[10:11], v[0:1], v[10:11]
	s_delay_alu instid0(VALU_DEP_4) | instskip(NEXT) | instid1(VALU_DEP_1)
	v_add_nc_u64_e32 v[6:7], v[6:7], v[14:15]
	v_sub_nc_u64_e32 v[6:7], v[6:7], v[10:11]
	s_delay_alu instid0(VALU_DEP_1) | instskip(NEXT) | instid1(VALU_DEP_1)
	v_lshl_add_u64 v[6:7], v[6:7], 1, s[4:5]
	v_lshl_add_u64 v[6:7], v[8:9], 1, v[6:7]
	;; [unrolled: 1-line block ×3, first 2 shown]
	s_delay_alu instid0(VALU_DEP_2) | instskip(NEXT) | instid1(VALU_DEP_2)
	v_lshl_add_u64 v[4:5], v[4:5], 1, v[6:7]
	v_lshl_add_u64 v[0:1], v[0:1], 1, v[2:3]
	global_load_u16 v4, v[4:5], off
	s_wait_loadcnt 0x0
	global_store_b16 v[0:1], v4, off
.LBB10_5:
	s_endpgm
.LBB10_6:
                                        ; implicit-def: $vgpr2_vgpr3
	s_branch .LBB10_3
	.section	.rodata,"a",@progbits
	.p2align	6, 0x0
	.amdhsa_kernel _ZN2at6native12_GLOBAL__N_127reflection_pad2d_out_kernelIN3c108BFloat16EEEvPKT_PS5_lliiiiiii
		.amdhsa_group_segment_fixed_size 0
		.amdhsa_private_segment_fixed_size 0
		.amdhsa_kernarg_size 320
		.amdhsa_user_sgpr_count 2
		.amdhsa_user_sgpr_dispatch_ptr 0
		.amdhsa_user_sgpr_queue_ptr 0
		.amdhsa_user_sgpr_kernarg_segment_ptr 1
		.amdhsa_user_sgpr_dispatch_id 0
		.amdhsa_user_sgpr_kernarg_preload_length 0
		.amdhsa_user_sgpr_kernarg_preload_offset 0
		.amdhsa_user_sgpr_private_segment_size 0
		.amdhsa_wavefront_size32 1
		.amdhsa_uses_dynamic_stack 0
		.amdhsa_enable_private_segment 0
		.amdhsa_system_sgpr_workgroup_id_x 1
		.amdhsa_system_sgpr_workgroup_id_y 1
		.amdhsa_system_sgpr_workgroup_id_z 1
		.amdhsa_system_sgpr_workgroup_info 0
		.amdhsa_system_vgpr_workitem_id 0
		.amdhsa_next_free_vgpr 18
		.amdhsa_next_free_sgpr 41
		.amdhsa_named_barrier_count 0
		.amdhsa_reserve_vcc 1
		.amdhsa_float_round_mode_32 0
		.amdhsa_float_round_mode_16_64 0
		.amdhsa_float_denorm_mode_32 3
		.amdhsa_float_denorm_mode_16_64 3
		.amdhsa_fp16_overflow 0
		.amdhsa_memory_ordered 1
		.amdhsa_forward_progress 1
		.amdhsa_inst_pref_size 11
		.amdhsa_round_robin_scheduling 0
		.amdhsa_exception_fp_ieee_invalid_op 0
		.amdhsa_exception_fp_denorm_src 0
		.amdhsa_exception_fp_ieee_div_zero 0
		.amdhsa_exception_fp_ieee_overflow 0
		.amdhsa_exception_fp_ieee_underflow 0
		.amdhsa_exception_fp_ieee_inexact 0
		.amdhsa_exception_int_div_zero 0
	.end_amdhsa_kernel
	.section	.text._ZN2at6native12_GLOBAL__N_127reflection_pad2d_out_kernelIN3c108BFloat16EEEvPKT_PS5_lliiiiiii,"axG",@progbits,_ZN2at6native12_GLOBAL__N_127reflection_pad2d_out_kernelIN3c108BFloat16EEEvPKT_PS5_lliiiiiii,comdat
.Lfunc_end10:
	.size	_ZN2at6native12_GLOBAL__N_127reflection_pad2d_out_kernelIN3c108BFloat16EEEvPKT_PS5_lliiiiiii, .Lfunc_end10-_ZN2at6native12_GLOBAL__N_127reflection_pad2d_out_kernelIN3c108BFloat16EEEvPKT_PS5_lliiiiiii
                                        ; -- End function
	.set _ZN2at6native12_GLOBAL__N_127reflection_pad2d_out_kernelIN3c108BFloat16EEEvPKT_PS5_lliiiiiii.num_vgpr, 18
	.set _ZN2at6native12_GLOBAL__N_127reflection_pad2d_out_kernelIN3c108BFloat16EEEvPKT_PS5_lliiiiiii.num_agpr, 0
	.set _ZN2at6native12_GLOBAL__N_127reflection_pad2d_out_kernelIN3c108BFloat16EEEvPKT_PS5_lliiiiiii.numbered_sgpr, 41
	.set _ZN2at6native12_GLOBAL__N_127reflection_pad2d_out_kernelIN3c108BFloat16EEEvPKT_PS5_lliiiiiii.num_named_barrier, 0
	.set _ZN2at6native12_GLOBAL__N_127reflection_pad2d_out_kernelIN3c108BFloat16EEEvPKT_PS5_lliiiiiii.private_seg_size, 0
	.set _ZN2at6native12_GLOBAL__N_127reflection_pad2d_out_kernelIN3c108BFloat16EEEvPKT_PS5_lliiiiiii.uses_vcc, 1
	.set _ZN2at6native12_GLOBAL__N_127reflection_pad2d_out_kernelIN3c108BFloat16EEEvPKT_PS5_lliiiiiii.uses_flat_scratch, 0
	.set _ZN2at6native12_GLOBAL__N_127reflection_pad2d_out_kernelIN3c108BFloat16EEEvPKT_PS5_lliiiiiii.has_dyn_sized_stack, 0
	.set _ZN2at6native12_GLOBAL__N_127reflection_pad2d_out_kernelIN3c108BFloat16EEEvPKT_PS5_lliiiiiii.has_recursion, 0
	.set _ZN2at6native12_GLOBAL__N_127reflection_pad2d_out_kernelIN3c108BFloat16EEEvPKT_PS5_lliiiiiii.has_indirect_call, 0
	.section	.AMDGPU.csdata,"",@progbits
; Kernel info:
; codeLenInByte = 1344
; TotalNumSgprs: 43
; NumVgprs: 18
; ScratchSize: 0
; MemoryBound: 0
; FloatMode: 240
; IeeeMode: 1
; LDSByteSize: 0 bytes/workgroup (compile time only)
; SGPRBlocks: 0
; VGPRBlocks: 1
; NumSGPRsForWavesPerEU: 43
; NumVGPRsForWavesPerEU: 18
; NamedBarCnt: 0
; Occupancy: 16
; WaveLimiterHint : 0
; COMPUTE_PGM_RSRC2:SCRATCH_EN: 0
; COMPUTE_PGM_RSRC2:USER_SGPR: 2
; COMPUTE_PGM_RSRC2:TRAP_HANDLER: 0
; COMPUTE_PGM_RSRC2:TGID_X_EN: 1
; COMPUTE_PGM_RSRC2:TGID_Y_EN: 1
; COMPUTE_PGM_RSRC2:TGID_Z_EN: 1
; COMPUTE_PGM_RSRC2:TIDIG_COMP_CNT: 0
	.section	.text._ZN2at6native12_GLOBAL__N_140reflection_pad2d_backward_det_out_kernelIdEEvPT_PKS3_lliiiiiii,"axG",@progbits,_ZN2at6native12_GLOBAL__N_140reflection_pad2d_backward_det_out_kernelIdEEvPT_PKS3_lliiiiiii,comdat
	.globl	_ZN2at6native12_GLOBAL__N_140reflection_pad2d_backward_det_out_kernelIdEEvPT_PKS3_lliiiiiii ; -- Begin function _ZN2at6native12_GLOBAL__N_140reflection_pad2d_backward_det_out_kernelIdEEvPT_PKS3_lliiiiiii
	.p2align	8
	.type	_ZN2at6native12_GLOBAL__N_140reflection_pad2d_backward_det_out_kernelIdEEvPT_PKS3_lliiiiiii,@function
_ZN2at6native12_GLOBAL__N_140reflection_pad2d_backward_det_out_kernelIdEEvPT_PKS3_lliiiiiii: ; @_ZN2at6native12_GLOBAL__N_140reflection_pad2d_backward_det_out_kernelIdEEvPT_PKS3_lliiiiiii
; %bb.0:
	s_clause 0x2
	s_load_b32 s2, s[0:1], 0x4c
	s_load_b64 s[4:5], s[0:1], 0x30
	s_load_b256 s[8:15], s[0:1], 0x0
	s_bfe_u32 s3, ttmp6, 0x4000c
	s_and_b32 s6, ttmp6, 15
	s_add_co_i32 s3, s3, 1
	s_getreg_b32 s7, hwreg(HW_REG_IB_STS2, 6, 4)
	s_mul_i32 s3, ttmp9, s3
	v_mov_b32_e32 v2, 0
	s_add_co_i32 s6, s6, s3
	s_mov_b32 s23, 0
	s_delay_alu instid0(VALU_DEP_1)
	v_mov_b32_e32 v1, v2
	s_wait_kmcnt 0x0
	s_and_b32 s2, s2, 0xffff
	s_cmp_eq_u32 s7, 0
	s_mul_u64 s[18:19], s[14:15], s[12:13]
	s_cselect_b32 s3, ttmp9, s6
	s_ashr_i32 s7, s4, 31
	v_mad_u32 v0, s3, s2, v0
	s_mov_b32 s6, s4
	s_ashr_i32 s17, s5, 31
	s_mov_b32 s16, s5
	s_mul_u64 s[4:5], s[18:19], s[6:7]
	s_mov_b32 s3, exec_lo
	s_mul_u64 s[20:21], s[4:5], s[16:17]
	s_delay_alu instid0(VALU_DEP_1) | instid1(SALU_CYCLE_1)
	v_cmpx_gt_i64_e64 s[20:21], v[0:1]
	s_cbranch_execz .LBB11_53
; %bb.1:
	s_load_b128 s[4:7], s[0:1], 0x20
	s_wait_xcnt 0x0
	s_add_nc_u64 s[0:1], s[0:1], 64
	s_mul_u64 s[26:27], s[18:19], s[16:17]
	s_load_b32 s22, s[0:1], 0x0
	v_cvt_f32_u32_e32 v3, s26
	s_mov_b32 s3, s23
	s_add_nc_u64 s[28:29], s[14:15], -1
	v_sub_nc_u64_e32 v[4:5], 0, v[0:1]
	v_lshlrev_b64_e32 v[6:7], 3, v[0:1]
	v_rcp_iflag_f32_e32 v3, v3
	s_add_nc_u64 s[24:25], s[12:13], -1
	s_sub_nc_u64 s[52:53], 0, s[14:15]
	s_lshl_b64 s[54:55], s[16:17], 3
	s_lshl_b64 s[56:57], s[12:13], 3
	s_mov_b64 s[60:61], 0xffffffff
	s_sub_nc_u64 s[64:65], 0, s[18:19]
	v_nop
	v_mul_f32_e32 v3, 0x4f7ffffe, v3
	s_ashr_i32 s66, s27, 31
	s_mov_b32 s33, 0
	s_wait_kmcnt 0x0
	s_ashr_i32 s31, s6, 31
	s_mov_b32 s30, s6
	s_ashr_i32 s1, s7, 31
	s_mov_b32 s0, s7
	;; [unrolled: 2-line block ×4, first 2 shown]
	s_add_nc_u64 s[4:5], s[12:13], s[30:31]
	s_add_nc_u64 s[40:41], s[14:15], s[6:7]
	s_not_b64 s[42:43], s[0:1]
	s_add_nc_u64 s[36:37], s[4:5], s[0:1]
	s_add_nc_u64 s[0:1], s[40:41], s[38:39]
	s_mul_u64 s[34:35], s[2:3], s[22:23]
	s_not_b64 s[2:3], s[38:39]
	s_add_nc_u64 s[40:41], s[12:13], s[42:43]
	s_mul_u64 s[42:43], s[36:37], s[0:1]
	s_lshl_b64 s[0:1], s[28:29], 1
	v_cvt_u32_f32_e32 v30, v3
	s_add_nc_u64 s[4:5], s[4:5], s[24:25]
	s_add_nc_u64 s[38:39], s[14:15], s[2:3]
	s_lshl_b64 s[2:3], s[24:25], 1
	s_add_nc_u64 s[48:49], s[0:1], s[6:7]
	s_lshl_b64 s[0:1], s[30:31], 3
	s_add_nc_u64 s[44:45], s[4:5], -1
	s_mul_u64 s[46:47], s[42:43], s[16:17]
	s_add_nc_u64 s[50:51], s[2:3], s[30:31]
	s_add_nc_u64 s[58:59], s[10:11], s[0:1]
	s_lshl_b64 s[62:63], s[34:35], 3
	s_branch .LBB11_4
.LBB11_2:                               ;   in Loop: Header=BB11_4 Depth=1
	s_wait_xcnt 0x0
	s_or_b32 exec_lo, exec_lo, s0
.LBB11_3:                               ;   in Loop: Header=BB11_4 Depth=1
	s_delay_alu instid0(SALU_CYCLE_1) | instskip(SKIP_4) | instid1(VALU_DEP_3)
	s_or_b32 exec_lo, exec_lo, s2
	v_mul_u64_e32 v[10:11], s[56:57], v[14:15]
	v_lshlrev_b64_e32 v[12:13], 3, v[12:13]
	v_add_nc_u64_e32 v[0:1], s[34:35], v[0:1]
	v_sub_nc_u64_e64 v[4:5], v[4:5], s[34:35]
	v_mad_nc_u64_u32 v[12:13], s54, v8, v[12:13]
	s_delay_alu instid0(VALU_DEP_3) | instskip(SKIP_1) | instid1(VALU_DEP_2)
	v_cmp_le_i64_e32 vcc_lo, s[20:21], v[0:1]
	s_or_b32 s33, vcc_lo, s33
	v_mad_u32 v3, s55, v8, v13
	s_delay_alu instid0(VALU_DEP_1) | instskip(NEXT) | instid1(VALU_DEP_4)
	v_mad_u32 v3, s54, v9, v3
	v_mad_nc_u64_u32 v[10:11], s42, v12, v[10:11]
	s_delay_alu instid0(VALU_DEP_1) | instskip(NEXT) | instid1(VALU_DEP_1)
	v_mad_u32 v8, s43, v12, v11
	v_mad_u32 v11, s42, v3, v8
	s_delay_alu instid0(VALU_DEP_1) | instskip(SKIP_1) | instid1(VALU_DEP_2)
	v_lshl_add_u64 v[8:9], v[22:23], 3, v[10:11]
	v_add_nc_u64_e32 v[10:11], s[8:9], v[6:7]
	v_add_nc_u64_e32 v[8:9], v[6:7], v[8:9]
	;; [unrolled: 1-line block ×3, first 2 shown]
	global_load_b64 v[12:13], v[10:11], off
	v_add_nc_u64_e32 v[8:9], s[58:59], v[8:9]
	global_load_b64 v[8:9], v[8:9], off
	s_wait_loadcnt 0x0
	s_wait_xcnt 0x0
	v_add_f64_e32 v[8:9], v[18:19], v[8:9]
	s_delay_alu instid0(VALU_DEP_1)
	v_add_f64_e32 v[8:9], v[12:13], v[8:9]
	global_store_b64 v[10:11], v[8:9], off
	s_wait_xcnt 0x0
	s_and_not1_b32 exec_lo, exec_lo, s33
	s_cbranch_execz .LBB11_53
.LBB11_4:                               ; =>This Inner Loop Header: Depth=1
	v_dual_ashrrev_i32 v12, 31, v1 :: v_dual_bitop2_b32 v3, s27, v1 bitop3:0x54
                                        ; implicit-def: $vgpr8_vgpr9
	s_mov_b32 s0, exec_lo
	s_delay_alu instid0(VALU_DEP_1)
	v_cmpx_ne_u64_e32 0, v[2:3]
	s_xor_b32 s1, exec_lo, s0
	s_cbranch_execz .LBB11_6
; %bb.5:                                ;   in Loop: Header=BB11_4 Depth=1
	s_mov_b32 s67, s66
	v_dual_mov_b32 v13, v12 :: v_dual_mov_b32 v11, v2
	s_add_nc_u64 s[2:3], s[26:27], s[66:67]
	v_mov_b32_e32 v17, v2
	s_xor_b64 s[2:3], s[2:3], s[66:67]
	s_delay_alu instid0(VALU_DEP_2) | instskip(SKIP_4) | instid1(SALU_CYCLE_1)
	v_add_nc_u64_e32 v[8:9], v[0:1], v[12:13]
	s_cvt_f32_u32 s0, s2
	s_cvt_f32_u32 s4, s3
	s_sub_nc_u64 s[68:69], 0, s[2:3]
	v_mov_b32_e32 v21, v2
	s_fmamk_f32 s0, s4, 0x4f800000, s0
	s_delay_alu instid0(VALU_DEP_2) | instskip(SKIP_1) | instid1(SALU_CYCLE_1)
	v_xor_b32_e32 v10, v8, v12
	v_xor_b32_e32 v16, v9, v12
	v_s_rcp_f32 s0, s0
	s_delay_alu instid0(TRANS32_DEP_1) | instskip(NEXT) | instid1(SALU_CYCLE_3)
	s_mul_f32 s0, s0, 0x5f7ffffc
	s_mul_f32 s4, s0, 0x2f800000
	s_delay_alu instid0(SALU_CYCLE_3) | instskip(NEXT) | instid1(SALU_CYCLE_3)
	s_trunc_f32 s4, s4
	s_fmamk_f32 s0, s4, 0xcf800000, s0
	s_cvt_u32_f32 s5, s4
	s_delay_alu instid0(SALU_CYCLE_2) | instskip(NEXT) | instid1(SALU_CYCLE_3)
	s_cvt_u32_f32 s4, s0
	s_mul_u64 s[70:71], s[68:69], s[4:5]
	s_delay_alu instid0(SALU_CYCLE_1)
	s_mul_hi_u32 s73, s4, s71
	s_mul_i32 s72, s4, s71
	s_mul_hi_u32 s22, s4, s70
	s_mul_i32 s67, s5, s70
	s_add_nc_u64 s[72:73], s[22:23], s[72:73]
	s_mul_hi_u32 s0, s5, s70
	s_mul_hi_u32 s74, s5, s71
	s_add_co_u32 s22, s72, s67
	s_add_co_ci_u32 s22, s73, s0
	s_mul_i32 s70, s5, s71
	s_add_co_ci_u32 s71, s74, 0
	s_delay_alu instid0(SALU_CYCLE_1) | instskip(NEXT) | instid1(SALU_CYCLE_1)
	s_add_nc_u64 s[70:71], s[22:23], s[70:71]
	s_add_co_u32 s4, s4, s70
	s_cselect_b32 s0, -1, 0
	s_delay_alu instid0(SALU_CYCLE_1) | instskip(SKIP_1) | instid1(SALU_CYCLE_1)
	s_cmp_lg_u32 s0, 0
	s_add_co_ci_u32 s5, s5, s71
	s_mul_u64 s[68:69], s[68:69], s[4:5]
	s_delay_alu instid0(SALU_CYCLE_1)
	s_mul_hi_u32 s71, s4, s69
	s_mul_i32 s70, s4, s69
	s_mul_hi_u32 s22, s4, s68
	s_mul_i32 s67, s5, s68
	s_add_nc_u64 s[70:71], s[22:23], s[70:71]
	s_mul_hi_u32 s0, s5, s68
	s_mul_hi_u32 s72, s5, s69
	s_add_co_u32 s22, s70, s67
	s_add_co_ci_u32 s22, s71, s0
	s_mul_i32 s68, s5, s69
	s_add_co_ci_u32 s69, s72, 0
	s_delay_alu instid0(SALU_CYCLE_1) | instskip(NEXT) | instid1(SALU_CYCLE_1)
	s_add_nc_u64 s[68:69], s[22:23], s[68:69]
	s_add_co_u32 s0, s4, s68
	s_cselect_b32 s4, -1, 0
	v_nop
	v_mul_hi_u32 v20, v10, s0
	s_cmp_lg_u32 s4, 0
	s_add_co_ci_u32 s22, s5, s69
	s_and_b64 s[4:5], s[0:1], s[60:61]
	v_mul_u64_e32 v[14:15], s[22:23], v[10:11]
	v_mul_u64_e32 v[8:9], s[4:5], v[16:17]
	v_mul_u64_e32 v[18:19], s[22:23], v[16:17]
	s_delay_alu instid0(VALU_DEP_3) | instskip(NEXT) | instid1(VALU_DEP_1)
	v_add_nc_u64_e32 v[14:15], v[20:21], v[14:15]
	v_add_co_u32 v3, vcc_lo, v14, v8
	s_delay_alu instid0(VALU_DEP_2) | instskip(NEXT) | instid1(VALU_DEP_4)
	v_add_co_ci_u32_e32 v20, vcc_lo, v15, v9, vcc_lo
	v_add_co_ci_u32_e32 v19, vcc_lo, 0, v19, vcc_lo
	s_delay_alu instid0(VALU_DEP_1) | instskip(NEXT) | instid1(VALU_DEP_1)
	v_add_nc_u64_e32 v[8:9], v[20:21], v[18:19]
	v_mul_u64_e32 v[14:15], s[2:3], v[8:9]
	s_delay_alu instid0(VALU_DEP_1) | instskip(NEXT) | instid1(VALU_DEP_2)
	v_sub_nc_u32_e32 v3, v16, v15
	v_sub_co_u32 v10, vcc_lo, v10, v14
	s_delay_alu instid0(VALU_DEP_1) | instskip(NEXT) | instid1(VALU_DEP_3)
	v_sub_co_ci_u32_e64 v13, null, v16, v15, vcc_lo
	v_subrev_co_ci_u32_e64 v3, null, s3, v3, vcc_lo
	s_delay_alu instid0(VALU_DEP_3) | instskip(NEXT) | instid1(VALU_DEP_1)
	v_sub_co_u32 v11, s0, v10, s2
	v_subrev_co_ci_u32_e64 v3, null, 0, v3, s0
	s_delay_alu instid0(VALU_DEP_2) | instskip(SKIP_1) | instid1(VALU_DEP_3)
	v_cmp_le_u32_e32 vcc_lo, s2, v11
	v_cndmask_b32_e64 v11, 0, -1, vcc_lo
	v_cmp_le_u32_e32 vcc_lo, s3, v3
	v_cndmask_b32_e64 v14, 0, -1, vcc_lo
	;; [unrolled: 2-line block ×4, first 2 shown]
	v_cmp_eq_u32_e32 vcc_lo, s3, v3
	v_cndmask_b32_e32 v3, v14, v11, vcc_lo
	v_cmp_eq_u32_e32 vcc_lo, s3, v13
	v_add_nc_u64_e32 v[10:11], 2, v[8:9]
	v_add_nc_u64_e32 v[14:15], 1, v[8:9]
	v_cndmask_b32_e32 v13, v17, v16, vcc_lo
	v_cmp_ne_u32_e32 vcc_lo, 0, v3
	s_delay_alu instid0(VALU_DEP_2) | instskip(NEXT) | instid1(VALU_DEP_4)
	v_cmp_ne_u32_e64 s0, 0, v13
	v_dual_cndmask_b32 v3, v15, v11, vcc_lo :: v_dual_cndmask_b32 v11, v14, v10, vcc_lo
	s_delay_alu instid0(VALU_DEP_1) | instskip(NEXT) | instid1(VALU_DEP_1)
	v_dual_cndmask_b32 v3, v9, v3, s0 :: v_dual_bitop2_b32 v10, s66, v12 bitop3:0x14
	v_dual_cndmask_b32 v8, v8, v11, s0 :: v_dual_mov_b32 v11, v10
	s_delay_alu instid0(VALU_DEP_2) | instskip(NEXT) | instid1(VALU_DEP_2)
	v_xor_b32_e32 v9, v3, v10
	v_xor_b32_e32 v8, v8, v10
	s_delay_alu instid0(VALU_DEP_1)
	v_sub_nc_u64_e32 v[8:9], v[8:9], v[10:11]
.LBB11_6:                               ;   in Loop: Header=BB11_4 Depth=1
	s_and_not1_saveexec_b32 s0, s1
	s_cbranch_execz .LBB11_8
; %bb.7:                                ;   in Loop: Header=BB11_4 Depth=1
	s_sub_co_i32 s1, 0, s26
	s_delay_alu instid0(SALU_CYCLE_1) | instskip(NEXT) | instid1(VALU_DEP_1)
	v_mul_lo_u32 v3, s1, v30
	v_mul_hi_u32 v3, v30, v3
	s_delay_alu instid0(VALU_DEP_1) | instskip(NEXT) | instid1(VALU_DEP_1)
	v_add_nc_u32_e32 v3, v30, v3
	v_mul_hi_u32 v3, v0, v3
	s_delay_alu instid0(VALU_DEP_1) | instskip(NEXT) | instid1(VALU_DEP_1)
	v_mul_lo_u32 v8, v3, s26
	v_sub_nc_u32_e32 v8, v0, v8
	s_delay_alu instid0(VALU_DEP_1) | instskip(SKIP_1) | instid1(VALU_DEP_2)
	v_subrev_nc_u32_e32 v10, s26, v8
	v_cmp_le_u32_e32 vcc_lo, s26, v8
	v_dual_cndmask_b32 v8, v8, v10 :: v_dual_add_nc_u32 v9, 1, v3
	s_delay_alu instid0(VALU_DEP_1) | instskip(NEXT) | instid1(VALU_DEP_2)
	v_cndmask_b32_e32 v3, v3, v9, vcc_lo
	v_cmp_le_u32_e32 vcc_lo, s26, v8
	s_delay_alu instid0(VALU_DEP_2) | instskip(NEXT) | instid1(VALU_DEP_1)
	v_add_nc_u32_e32 v9, 1, v3
	v_dual_cndmask_b32 v8, v3, v9 :: v_dual_mov_b32 v9, v2
.LBB11_8:                               ;   in Loop: Header=BB11_4 Depth=1
	s_or_b32 exec_lo, exec_lo, s0
	v_or_b32_e32 v3, s19, v1
                                        ; implicit-def: $vgpr10_vgpr11
	s_mov_b32 s0, exec_lo
	s_delay_alu instid0(VALU_DEP_1)
	v_cmpx_ne_u64_e32 0, v[2:3]
	s_xor_b32 s1, exec_lo, s0
	s_cbranch_execz .LBB11_10
; %bb.9:                                ;   in Loop: Header=BB11_4 Depth=1
	s_ashr_i32 s2, s19, 31
	v_dual_mov_b32 v13, v12 :: v_dual_mov_b32 v15, v2
	s_mov_b32 s3, s2
	v_mov_b32_e32 v23, v2
	s_add_nc_u64 s[4:5], s[18:19], s[2:3]
	s_delay_alu instid0(VALU_DEP_2)
	v_add_nc_u64_e32 v[10:11], v[0:1], v[12:13]
	s_xor_b64 s[4:5], s[4:5], s[2:3]
	v_mov_b32_e32 v19, v2
	s_cvt_f32_u32 s0, s4
	s_cvt_f32_u32 s3, s5
	s_sub_nc_u64 s[70:71], 0, s[4:5]
	s_delay_alu instid0(VALU_DEP_2) | instskip(NEXT) | instid1(SALU_CYCLE_1)
	v_xor_b32_e32 v14, v10, v12
	s_fmamk_f32 s0, s3, 0x4f800000, s0
	v_xor_b32_e32 v18, v11, v12
	v_xor_b32_e32 v12, s2, v12
	s_delay_alu instid0(SALU_CYCLE_1) | instskip(NEXT) | instid1(TRANS32_DEP_1)
	v_s_rcp_f32 s0, s0
	s_mul_f32 s0, s0, 0x5f7ffffc
	s_delay_alu instid0(SALU_CYCLE_3) | instskip(NEXT) | instid1(SALU_CYCLE_3)
	s_mul_f32 s3, s0, 0x2f800000
	s_trunc_f32 s3, s3
	s_delay_alu instid0(SALU_CYCLE_3) | instskip(SKIP_1) | instid1(SALU_CYCLE_2)
	s_fmamk_f32 s0, s3, 0xcf800000, s0
	s_cvt_u32_f32 s69, s3
	s_cvt_u32_f32 s68, s0
	s_delay_alu instid0(SALU_CYCLE_3) | instskip(NEXT) | instid1(SALU_CYCLE_1)
	s_mul_u64 s[72:73], s[70:71], s[68:69]
	s_mul_hi_u32 s75, s68, s73
	s_mul_i32 s74, s68, s73
	s_mul_hi_u32 s22, s68, s72
	s_mul_i32 s3, s69, s72
	s_add_nc_u64 s[74:75], s[22:23], s[74:75]
	s_mul_hi_u32 s0, s69, s72
	s_mul_hi_u32 s67, s69, s73
	s_add_co_u32 s3, s74, s3
	s_add_co_ci_u32 s22, s75, s0
	s_mul_i32 s72, s69, s73
	s_add_co_ci_u32 s73, s67, 0
	s_delay_alu instid0(SALU_CYCLE_1) | instskip(NEXT) | instid1(SALU_CYCLE_1)
	s_add_nc_u64 s[72:73], s[22:23], s[72:73]
	s_add_co_u32 s68, s68, s72
	s_cselect_b32 s0, -1, 0
	s_delay_alu instid0(SALU_CYCLE_1) | instskip(SKIP_1) | instid1(SALU_CYCLE_1)
	s_cmp_lg_u32 s0, 0
	s_add_co_ci_u32 s69, s69, s73
	s_mul_u64 s[70:71], s[70:71], s[68:69]
	s_delay_alu instid0(SALU_CYCLE_1)
	s_mul_hi_u32 s73, s68, s71
	s_mul_i32 s72, s68, s71
	s_mul_hi_u32 s22, s68, s70
	s_mul_i32 s3, s69, s70
	s_add_nc_u64 s[72:73], s[22:23], s[72:73]
	s_mul_hi_u32 s0, s69, s70
	s_mul_hi_u32 s67, s69, s71
	s_add_co_u32 s3, s72, s3
	s_add_co_ci_u32 s22, s73, s0
	s_mul_i32 s70, s69, s71
	s_add_co_ci_u32 s71, s67, 0
	s_delay_alu instid0(SALU_CYCLE_1) | instskip(NEXT) | instid1(SALU_CYCLE_1)
	s_add_nc_u64 s[70:71], s[22:23], s[70:71]
	s_add_co_u32 s0, s68, s70
	s_cselect_b32 s3, -1, 0
	v_nop
	v_mul_hi_u32 v22, v14, s0
	s_cmp_lg_u32 s3, 0
	s_add_co_ci_u32 s22, s69, s71
	s_and_b64 s[68:69], s[0:1], s[60:61]
	v_mul_u64_e32 v[16:17], s[22:23], v[14:15]
	v_mul_u64_e32 v[10:11], s[68:69], v[18:19]
	;; [unrolled: 1-line block ×3, first 2 shown]
	s_delay_alu instid0(VALU_DEP_3) | instskip(NEXT) | instid1(VALU_DEP_1)
	v_add_nc_u64_e32 v[16:17], v[22:23], v[16:17]
	v_add_co_u32 v3, vcc_lo, v16, v10
	s_delay_alu instid0(VALU_DEP_2) | instskip(NEXT) | instid1(VALU_DEP_4)
	v_add_co_ci_u32_e32 v22, vcc_lo, v17, v11, vcc_lo
	v_add_co_ci_u32_e32 v21, vcc_lo, 0, v21, vcc_lo
	s_delay_alu instid0(VALU_DEP_1) | instskip(NEXT) | instid1(VALU_DEP_1)
	v_add_nc_u64_e32 v[10:11], v[22:23], v[20:21]
	v_mul_u64_e32 v[16:17], s[4:5], v[10:11]
	s_delay_alu instid0(VALU_DEP_1) | instskip(NEXT) | instid1(VALU_DEP_2)
	v_sub_nc_u32_e32 v3, v18, v17
	v_sub_co_u32 v13, vcc_lo, v14, v16
	s_delay_alu instid0(VALU_DEP_1) | instskip(NEXT) | instid1(VALU_DEP_3)
	v_sub_co_ci_u32_e64 v18, null, v18, v17, vcc_lo
	v_subrev_co_ci_u32_e64 v3, null, s5, v3, vcc_lo
	s_delay_alu instid0(VALU_DEP_3) | instskip(SKIP_1) | instid1(VALU_DEP_3)
	v_sub_co_u32 v14, s0, v13, s4
	v_add_nc_u64_e32 v[16:17], 1, v[10:11]
	v_subrev_co_ci_u32_e64 v3, null, 0, v3, s0
	s_delay_alu instid0(VALU_DEP_3) | instskip(SKIP_1) | instid1(VALU_DEP_3)
	v_cmp_le_u32_e32 vcc_lo, s4, v14
	v_cndmask_b32_e64 v14, 0, -1, vcc_lo
	v_cmp_le_u32_e32 vcc_lo, s5, v3
	v_cndmask_b32_e64 v15, 0, -1, vcc_lo
	;; [unrolled: 2-line block ×4, first 2 shown]
	v_cmp_eq_u32_e32 vcc_lo, s5, v3
	v_cndmask_b32_e32 v3, v15, v14, vcc_lo
	v_cmp_eq_u32_e32 vcc_lo, s5, v18
	v_add_nc_u64_e32 v[14:15], 2, v[10:11]
	v_cndmask_b32_e32 v13, v19, v13, vcc_lo
	s_delay_alu instid0(VALU_DEP_4) | instskip(NEXT) | instid1(VALU_DEP_2)
	v_cmp_ne_u32_e32 vcc_lo, 0, v3
	v_cmp_ne_u32_e64 s0, 0, v13
	s_delay_alu instid0(VALU_DEP_4) | instskip(NEXT) | instid1(VALU_DEP_1)
	v_dual_cndmask_b32 v3, v17, v15, vcc_lo :: v_dual_cndmask_b32 v13, v16, v14, vcc_lo
	v_dual_cndmask_b32 v3, v11, v3, s0 :: v_dual_cndmask_b32 v10, v10, v13, s0
	s_delay_alu instid0(VALU_DEP_1) | instskip(NEXT) | instid1(VALU_DEP_2)
	v_dual_mov_b32 v13, v12 :: v_dual_bitop2_b32 v11, v3, v12 bitop3:0x14
	v_xor_b32_e32 v10, v10, v12
	s_delay_alu instid0(VALU_DEP_1)
	v_sub_nc_u64_e32 v[10:11], v[10:11], v[12:13]
.LBB11_10:                              ;   in Loop: Header=BB11_4 Depth=1
	s_and_not1_saveexec_b32 s0, s1
	s_cbranch_execz .LBB11_12
; %bb.11:                               ;   in Loop: Header=BB11_4 Depth=1
	v_cvt_f32_u32_e32 v3, s18
	s_sub_co_i32 s1, 0, s18
	s_delay_alu instid0(VALU_DEP_1) | instskip(SKIP_1) | instid1(TRANS32_DEP_1)
	v_rcp_iflag_f32_e32 v3, v3
	v_nop
	v_mul_f32_e32 v3, 0x4f7ffffe, v3
	s_delay_alu instid0(VALU_DEP_1) | instskip(NEXT) | instid1(VALU_DEP_1)
	v_cvt_u32_f32_e32 v3, v3
	v_mul_lo_u32 v10, s1, v3
	s_delay_alu instid0(VALU_DEP_1) | instskip(NEXT) | instid1(VALU_DEP_1)
	v_mul_hi_u32 v10, v3, v10
	v_add_nc_u32_e32 v3, v3, v10
	s_delay_alu instid0(VALU_DEP_1) | instskip(NEXT) | instid1(VALU_DEP_1)
	v_mul_hi_u32 v3, v0, v3
	v_mul_lo_u32 v10, v3, s18
	s_delay_alu instid0(VALU_DEP_1) | instskip(NEXT) | instid1(VALU_DEP_1)
	v_dual_add_nc_u32 v11, 1, v3 :: v_dual_sub_nc_u32 v10, v0, v10
	v_subrev_nc_u32_e32 v12, s18, v10
	v_cmp_le_u32_e32 vcc_lo, s18, v10
	s_delay_alu instid0(VALU_DEP_2) | instskip(NEXT) | instid1(VALU_DEP_1)
	v_dual_cndmask_b32 v10, v10, v12 :: v_dual_cndmask_b32 v3, v3, v11
	v_cmp_le_u32_e32 vcc_lo, s18, v10
	s_delay_alu instid0(VALU_DEP_2) | instskip(NEXT) | instid1(VALU_DEP_1)
	v_add_nc_u32_e32 v11, 1, v3
	v_dual_cndmask_b32 v10, v3, v11 :: v_dual_mov_b32 v11, v2
.LBB11_12:                              ;   in Loop: Header=BB11_4 Depth=1
	s_or_b32 exec_lo, exec_lo, s0
	s_delay_alu instid0(VALU_DEP_1) | instskip(SKIP_1) | instid1(VALU_DEP_1)
	v_or_b32_e32 v3, s17, v11
                                        ; implicit-def: $vgpr12_vgpr13
	s_mov_b32 s0, exec_lo
	v_cmpx_ne_u64_e32 0, v[2:3]
	s_xor_b32 s1, exec_lo, s0
	s_cbranch_execz .LBB11_14
; %bb.13:                               ;   in Loop: Header=BB11_4 Depth=1
	s_ashr_i32 s2, s17, 31
	v_dual_mov_b32 v17, v2 :: v_dual_ashrrev_i32 v12, 31, v11
	s_mov_b32 s3, s2
	s_delay_alu instid0(SALU_CYCLE_1) | instskip(NEXT) | instid1(VALU_DEP_1)
	s_add_nc_u64 s[4:5], s[16:17], s[2:3]
	v_mov_b32_e32 v13, v12
	s_xor_b64 s[2:3], s[4:5], s[2:3]
	s_delay_alu instid0(SALU_CYCLE_1)
	s_cvt_f32_u32 s0, s2
	s_cvt_f32_u32 s4, s3
	s_sub_nc_u64 s[68:69], 0, s[2:3]
	v_add_nc_u64_e32 v[14:15], v[10:11], v[12:13]
	v_mov_b32_e32 v21, v2
	s_fmamk_f32 s0, s4, 0x4f800000, s0
	s_delay_alu instid0(SALU_CYCLE_3) | instskip(NEXT) | instid1(VALU_DEP_2)
	v_s_rcp_f32 s0, s0
	v_xor_b32_e32 v16, v14, v12
	s_delay_alu instid0(VALU_DEP_3) | instskip(NEXT) | instid1(TRANS32_DEP_1)
	v_dual_mov_b32 v25, v2 :: v_dual_bitop2_b32 v20, v15, v12 bitop3:0x14
	s_mul_f32 s0, s0, 0x5f7ffffc
	s_delay_alu instid0(SALU_CYCLE_3) | instskip(NEXT) | instid1(SALU_CYCLE_3)
	s_mul_f32 s4, s0, 0x2f800000
	s_trunc_f32 s4, s4
	s_delay_alu instid0(SALU_CYCLE_3) | instskip(SKIP_1) | instid1(SALU_CYCLE_2)
	s_fmamk_f32 s0, s4, 0xcf800000, s0
	s_cvt_u32_f32 s5, s4
	s_cvt_u32_f32 s4, s0
	s_delay_alu instid0(SALU_CYCLE_3) | instskip(NEXT) | instid1(SALU_CYCLE_1)
	s_mul_u64 s[70:71], s[68:69], s[4:5]
	s_mul_hi_u32 s73, s4, s71
	s_mul_i32 s72, s4, s71
	s_mul_hi_u32 s22, s4, s70
	s_mul_i32 s67, s5, s70
	s_add_nc_u64 s[72:73], s[22:23], s[72:73]
	s_mul_hi_u32 s0, s5, s70
	s_mul_hi_u32 s74, s5, s71
	s_add_co_u32 s22, s72, s67
	s_add_co_ci_u32 s22, s73, s0
	s_mul_i32 s70, s5, s71
	s_add_co_ci_u32 s71, s74, 0
	s_delay_alu instid0(SALU_CYCLE_1) | instskip(NEXT) | instid1(SALU_CYCLE_1)
	s_add_nc_u64 s[70:71], s[22:23], s[70:71]
	s_add_co_u32 s4, s4, s70
	s_cselect_b32 s0, -1, 0
	s_delay_alu instid0(SALU_CYCLE_1) | instskip(SKIP_1) | instid1(SALU_CYCLE_1)
	s_cmp_lg_u32 s0, 0
	s_add_co_ci_u32 s5, s5, s71
	s_mul_u64 s[68:69], s[68:69], s[4:5]
	s_delay_alu instid0(SALU_CYCLE_1)
	s_mul_hi_u32 s71, s4, s69
	s_mul_i32 s70, s4, s69
	s_mul_hi_u32 s22, s4, s68
	s_mul_i32 s67, s5, s68
	s_add_nc_u64 s[70:71], s[22:23], s[70:71]
	s_mul_hi_u32 s0, s5, s68
	s_mul_hi_u32 s72, s5, s69
	s_add_co_u32 s22, s70, s67
	s_add_co_ci_u32 s22, s71, s0
	s_mul_i32 s68, s5, s69
	s_add_co_ci_u32 s69, s72, 0
	s_delay_alu instid0(SALU_CYCLE_1) | instskip(NEXT) | instid1(SALU_CYCLE_1)
	s_add_nc_u64 s[68:69], s[22:23], s[68:69]
	s_add_co_u32 s0, s4, s68
	s_cselect_b32 s4, -1, 0
	v_mul_hi_u32 v24, v16, s0
	s_cmp_lg_u32 s4, 0
	s_add_co_ci_u32 s22, s5, s69
	s_and_b64 s[4:5], s[0:1], s[60:61]
	v_mul_u64_e32 v[18:19], s[22:23], v[16:17]
	v_mul_u64_e32 v[14:15], s[4:5], v[20:21]
	;; [unrolled: 1-line block ×3, first 2 shown]
	s_delay_alu instid0(VALU_DEP_3) | instskip(NEXT) | instid1(VALU_DEP_1)
	v_add_nc_u64_e32 v[18:19], v[24:25], v[18:19]
	v_add_co_u32 v3, vcc_lo, v18, v14
	s_delay_alu instid0(VALU_DEP_2) | instskip(NEXT) | instid1(VALU_DEP_4)
	v_add_co_ci_u32_e32 v24, vcc_lo, v19, v15, vcc_lo
	v_add_co_ci_u32_e32 v23, vcc_lo, 0, v23, vcc_lo
	s_delay_alu instid0(VALU_DEP_1) | instskip(NEXT) | instid1(VALU_DEP_1)
	v_add_nc_u64_e32 v[14:15], v[24:25], v[22:23]
	v_mul_u64_e32 v[14:15], s[2:3], v[14:15]
	s_delay_alu instid0(VALU_DEP_1) | instskip(NEXT) | instid1(VALU_DEP_2)
	v_sub_nc_u32_e32 v3, v20, v15
	v_sub_co_u32 v14, vcc_lo, v16, v14
	s_delay_alu instid0(VALU_DEP_1) | instskip(NEXT) | instid1(VALU_DEP_3)
	v_sub_co_ci_u32_e64 v15, null, v20, v15, vcc_lo
	v_subrev_co_ci_u32_e64 v3, null, s3, v3, vcc_lo
	s_delay_alu instid0(VALU_DEP_3) | instskip(SKIP_1) | instid1(VALU_DEP_3)
	v_sub_co_u32 v16, vcc_lo, v14, s2
	v_cmp_le_u32_e64 s0, s2, v14
	v_subrev_co_ci_u32_e64 v17, null, 0, v3, vcc_lo
	v_subrev_co_ci_u32_e64 v3, null, s3, v3, vcc_lo
	s_delay_alu instid0(VALU_DEP_3) | instskip(SKIP_2) | instid1(VALU_DEP_2)
	v_cndmask_b32_e64 v18, 0, -1, s0
	v_cmp_le_u32_e64 s0, s2, v16
	v_cmp_le_u32_e32 vcc_lo, s3, v15
	v_cndmask_b32_e64 v19, 0, -1, s0
	v_cmp_le_u32_e64 s0, s3, v17
	v_cndmask_b32_e64 v21, 0, -1, vcc_lo
	v_cmp_eq_u32_e32 vcc_lo, s3, v17
	s_delay_alu instid0(VALU_DEP_3) | instskip(SKIP_1) | instid1(VALU_DEP_1)
	v_cndmask_b32_e64 v20, 0, -1, s0
	v_cmp_eq_u32_e64 s0, s3, v15
	v_dual_cndmask_b32 v19, v20, v19, vcc_lo :: v_dual_cndmask_b32 v18, v21, v18, s0
	v_sub_co_u32 v20, vcc_lo, v16, s2
	s_delay_alu instid0(VALU_DEP_1) | instskip(NEXT) | instid1(VALU_DEP_3)
	v_subrev_co_ci_u32_e64 v3, null, 0, v3, vcc_lo
	v_cmp_ne_u32_e32 vcc_lo, 0, v19
	s_delay_alu instid0(VALU_DEP_2) | instskip(SKIP_1) | instid1(VALU_DEP_2)
	v_dual_cndmask_b32 v3, v17, v3 :: v_dual_cndmask_b32 v16, v16, v20
	v_cmp_ne_u32_e32 vcc_lo, 0, v18
	v_dual_cndmask_b32 v3, v15, v3 :: v_dual_cndmask_b32 v14, v14, v16
	s_delay_alu instid0(VALU_DEP_1) | instskip(NEXT) | instid1(VALU_DEP_2)
	v_xor_b32_e32 v15, v3, v12
	v_xor_b32_e32 v14, v14, v12
	s_delay_alu instid0(VALU_DEP_1)
	v_sub_nc_u64_e32 v[12:13], v[14:15], v[12:13]
.LBB11_14:                              ;   in Loop: Header=BB11_4 Depth=1
	s_and_not1_saveexec_b32 s0, s1
	s_cbranch_execz .LBB11_16
; %bb.15:                               ;   in Loop: Header=BB11_4 Depth=1
	v_cvt_f32_u32_e32 v3, s16
	s_sub_co_i32 s1, 0, s16
	v_mov_b32_e32 v13, v2
	s_delay_alu instid0(VALU_DEP_2) | instskip(SKIP_1) | instid1(TRANS32_DEP_1)
	v_rcp_iflag_f32_e32 v3, v3
	v_nop
	v_mul_f32_e32 v3, 0x4f7ffffe, v3
	s_delay_alu instid0(VALU_DEP_1) | instskip(NEXT) | instid1(VALU_DEP_1)
	v_cvt_u32_f32_e32 v3, v3
	v_mul_lo_u32 v12, s1, v3
	s_delay_alu instid0(VALU_DEP_1) | instskip(NEXT) | instid1(VALU_DEP_1)
	v_mul_hi_u32 v12, v3, v12
	v_add_nc_u32_e32 v3, v3, v12
	s_delay_alu instid0(VALU_DEP_1) | instskip(NEXT) | instid1(VALU_DEP_1)
	v_mul_hi_u32 v3, v10, v3
	v_mul_lo_u32 v3, v3, s16
	s_delay_alu instid0(VALU_DEP_1) | instskip(NEXT) | instid1(VALU_DEP_1)
	v_sub_nc_u32_e32 v3, v10, v3
	v_subrev_nc_u32_e32 v12, s16, v3
	v_cmp_le_u32_e32 vcc_lo, s16, v3
	s_delay_alu instid0(VALU_DEP_2) | instskip(NEXT) | instid1(VALU_DEP_1)
	v_cndmask_b32_e32 v3, v3, v12, vcc_lo
	v_subrev_nc_u32_e32 v12, s16, v3
	v_cmp_le_u32_e32 vcc_lo, s16, v3
	s_delay_alu instid0(VALU_DEP_2)
	v_cndmask_b32_e32 v12, v3, v12, vcc_lo
.LBB11_16:                              ;   in Loop: Header=BB11_4 Depth=1
	s_or_b32 exec_lo, exec_lo, s0
	v_mad_nc_u64_u32 v[14:15], s64, v10, v[0:1]
                                        ; implicit-def: $vgpr16_vgpr17
	s_mov_b32 s0, exec_lo
	s_delay_alu instid0(VALU_DEP_1) | instskip(NEXT) | instid1(VALU_DEP_1)
	v_mad_u32 v3, s65, v10, v15
	v_mad_u32 v15, s64, v11, v3
	s_delay_alu instid0(VALU_DEP_1) | instskip(NEXT) | instid1(VALU_DEP_1)
	v_or_b32_e32 v3, s13, v15
	v_cmpx_ne_u64_e32 0, v[2:3]
	s_xor_b32 s1, exec_lo, s0
	s_cbranch_execz .LBB11_18
; %bb.17:                               ;   in Loop: Header=BB11_4 Depth=1
	s_ashr_i32 s2, s13, 31
	v_dual_mov_b32 v19, v2 :: v_dual_ashrrev_i32 v16, 31, v15
	s_mov_b32 s3, s2
	v_mov_b32_e32 v27, v2
	s_add_nc_u64 s[4:5], s[12:13], s[2:3]
	s_delay_alu instid0(VALU_DEP_2) | instskip(SKIP_1) | instid1(SALU_CYCLE_1)
	v_mov_b32_e32 v17, v16
	s_xor_b64 s[4:5], s[4:5], s[2:3]
	s_cvt_f32_u32 s0, s4
	s_cvt_f32_u32 s3, s5
	s_sub_nc_u64 s[70:71], 0, s[4:5]
	v_add_nc_u64_e32 v[14:15], v[14:15], v[16:17]
	v_mov_b32_e32 v23, v2
	s_fmamk_f32 s0, s3, 0x4f800000, s0
	s_delay_alu instid0(SALU_CYCLE_3) | instskip(NEXT) | instid1(VALU_DEP_2)
	v_s_rcp_f32 s0, s0
	v_xor_b32_e32 v18, v14, v16
	s_delay_alu instid0(VALU_DEP_3) | instskip(NEXT) | instid1(TRANS32_DEP_1)
	v_xor_b32_e32 v22, v15, v16
	s_mul_f32 s0, s0, 0x5f7ffffc
	s_delay_alu instid0(SALU_CYCLE_3) | instskip(NEXT) | instid1(SALU_CYCLE_3)
	s_mul_f32 s3, s0, 0x2f800000
	s_trunc_f32 s3, s3
	s_delay_alu instid0(SALU_CYCLE_3) | instskip(SKIP_1) | instid1(SALU_CYCLE_2)
	s_fmamk_f32 s0, s3, 0xcf800000, s0
	s_cvt_u32_f32 s69, s3
	s_cvt_u32_f32 s68, s0
	s_delay_alu instid0(SALU_CYCLE_3) | instskip(NEXT) | instid1(SALU_CYCLE_1)
	s_mul_u64 s[72:73], s[70:71], s[68:69]
	s_mul_hi_u32 s75, s68, s73
	s_mul_i32 s74, s68, s73
	s_mul_hi_u32 s22, s68, s72
	s_mul_i32 s3, s69, s72
	s_add_nc_u64 s[74:75], s[22:23], s[74:75]
	s_mul_hi_u32 s0, s69, s72
	s_mul_hi_u32 s67, s69, s73
	s_add_co_u32 s3, s74, s3
	s_add_co_ci_u32 s22, s75, s0
	s_mul_i32 s72, s69, s73
	s_add_co_ci_u32 s73, s67, 0
	s_delay_alu instid0(SALU_CYCLE_1) | instskip(NEXT) | instid1(SALU_CYCLE_1)
	s_add_nc_u64 s[72:73], s[22:23], s[72:73]
	s_add_co_u32 s68, s68, s72
	s_cselect_b32 s0, -1, 0
	s_delay_alu instid0(SALU_CYCLE_1) | instskip(SKIP_1) | instid1(SALU_CYCLE_1)
	s_cmp_lg_u32 s0, 0
	s_add_co_ci_u32 s69, s69, s73
	s_mul_u64 s[70:71], s[70:71], s[68:69]
	s_delay_alu instid0(SALU_CYCLE_1)
	s_mul_hi_u32 s73, s68, s71
	s_mul_i32 s72, s68, s71
	s_mul_hi_u32 s22, s68, s70
	s_mul_i32 s3, s69, s70
	s_add_nc_u64 s[72:73], s[22:23], s[72:73]
	s_mul_hi_u32 s0, s69, s70
	s_mul_hi_u32 s67, s69, s71
	s_add_co_u32 s3, s72, s3
	s_add_co_ci_u32 s22, s73, s0
	s_mul_i32 s70, s69, s71
	s_add_co_ci_u32 s71, s67, 0
	s_delay_alu instid0(SALU_CYCLE_1) | instskip(NEXT) | instid1(SALU_CYCLE_1)
	s_add_nc_u64 s[70:71], s[22:23], s[70:71]
	s_add_co_u32 s0, s68, s70
	s_cselect_b32 s3, -1, 0
	v_mul_hi_u32 v26, v18, s0
	s_cmp_lg_u32 s3, 0
	s_add_co_ci_u32 s22, s69, s71
	s_and_b64 s[68:69], s[0:1], s[60:61]
	v_mul_u64_e32 v[20:21], s[22:23], v[18:19]
	v_mul_u64_e32 v[14:15], s[68:69], v[22:23]
	;; [unrolled: 1-line block ×3, first 2 shown]
	s_delay_alu instid0(VALU_DEP_3) | instskip(NEXT) | instid1(VALU_DEP_1)
	v_add_nc_u64_e32 v[20:21], v[26:27], v[20:21]
	v_add_co_u32 v3, vcc_lo, v20, v14
	s_delay_alu instid0(VALU_DEP_2) | instskip(NEXT) | instid1(VALU_DEP_4)
	v_add_co_ci_u32_e32 v26, vcc_lo, v21, v15, vcc_lo
	v_add_co_ci_u32_e32 v25, vcc_lo, 0, v25, vcc_lo
	s_delay_alu instid0(VALU_DEP_1) | instskip(NEXT) | instid1(VALU_DEP_1)
	v_add_nc_u64_e32 v[14:15], v[26:27], v[24:25]
	v_mul_u64_e32 v[20:21], s[4:5], v[14:15]
	s_delay_alu instid0(VALU_DEP_1) | instskip(NEXT) | instid1(VALU_DEP_2)
	v_sub_nc_u32_e32 v3, v22, v21
	v_sub_co_u32 v17, vcc_lo, v18, v20
	s_delay_alu instid0(VALU_DEP_1) | instskip(NEXT) | instid1(VALU_DEP_3)
	v_sub_co_ci_u32_e64 v22, null, v22, v21, vcc_lo
	v_subrev_co_ci_u32_e64 v3, null, s5, v3, vcc_lo
	s_delay_alu instid0(VALU_DEP_3) | instskip(SKIP_1) | instid1(VALU_DEP_3)
	v_sub_co_u32 v18, s0, v17, s4
	v_add_nc_u64_e32 v[20:21], 1, v[14:15]
	v_subrev_co_ci_u32_e64 v3, null, 0, v3, s0
	s_delay_alu instid0(VALU_DEP_3) | instskip(SKIP_1) | instid1(VALU_DEP_3)
	v_cmp_le_u32_e32 vcc_lo, s4, v18
	v_cndmask_b32_e64 v18, 0, -1, vcc_lo
	v_cmp_le_u32_e32 vcc_lo, s5, v3
	v_cndmask_b32_e64 v19, 0, -1, vcc_lo
	;; [unrolled: 2-line block ×4, first 2 shown]
	v_cmp_eq_u32_e32 vcc_lo, s5, v3
	v_cndmask_b32_e32 v3, v19, v18, vcc_lo
	v_cmp_eq_u32_e32 vcc_lo, s5, v22
	v_add_nc_u64_e32 v[18:19], 2, v[14:15]
	v_cndmask_b32_e32 v17, v23, v17, vcc_lo
	s_delay_alu instid0(VALU_DEP_4) | instskip(NEXT) | instid1(VALU_DEP_3)
	v_cmp_ne_u32_e32 vcc_lo, 0, v3
	v_cndmask_b32_e32 v3, v21, v19, vcc_lo
	s_delay_alu instid0(VALU_DEP_3) | instskip(SKIP_1) | instid1(VALU_DEP_1)
	v_cmp_ne_u32_e64 s0, 0, v17
	v_dual_cndmask_b32 v17, v20, v18, vcc_lo :: v_dual_bitop2_b32 v16, s2, v16 bitop3:0x14
	v_dual_cndmask_b32 v3, v15, v3, s0 :: v_dual_cndmask_b32 v14, v14, v17, s0
	s_delay_alu instid0(VALU_DEP_1) | instskip(NEXT) | instid1(VALU_DEP_2)
	v_dual_mov_b32 v17, v16 :: v_dual_bitop2_b32 v15, v3, v16 bitop3:0x14
	v_xor_b32_e32 v14, v14, v16
	s_delay_alu instid0(VALU_DEP_1)
	v_sub_nc_u64_e32 v[16:17], v[14:15], v[16:17]
                                        ; implicit-def: $vgpr14_vgpr15
.LBB11_18:                              ;   in Loop: Header=BB11_4 Depth=1
	s_and_not1_saveexec_b32 s0, s1
	s_cbranch_execz .LBB11_20
; %bb.19:                               ;   in Loop: Header=BB11_4 Depth=1
	v_cvt_f32_u32_e32 v3, s12
	s_sub_co_i32 s1, 0, s12
	v_mov_b32_e32 v17, v2
	s_delay_alu instid0(VALU_DEP_2) | instskip(SKIP_1) | instid1(TRANS32_DEP_1)
	v_rcp_iflag_f32_e32 v3, v3
	v_nop
	v_mul_f32_e32 v3, 0x4f7ffffe, v3
	s_delay_alu instid0(VALU_DEP_1) | instskip(NEXT) | instid1(VALU_DEP_1)
	v_cvt_u32_f32_e32 v3, v3
	v_mul_lo_u32 v15, s1, v3
	s_delay_alu instid0(VALU_DEP_1) | instskip(NEXT) | instid1(VALU_DEP_1)
	v_mul_hi_u32 v15, v3, v15
	v_add_nc_u32_e32 v3, v3, v15
	s_delay_alu instid0(VALU_DEP_1) | instskip(NEXT) | instid1(VALU_DEP_1)
	v_mul_hi_u32 v3, v14, v3
	v_mul_lo_u32 v15, v3, s12
	s_delay_alu instid0(VALU_DEP_1) | instskip(SKIP_1) | instid1(VALU_DEP_2)
	v_sub_nc_u32_e32 v14, v14, v15
	v_add_nc_u32_e32 v15, 1, v3
	v_subrev_nc_u32_e32 v16, s12, v14
	v_cmp_le_u32_e32 vcc_lo, s12, v14
	s_delay_alu instid0(VALU_DEP_2) | instskip(NEXT) | instid1(VALU_DEP_1)
	v_dual_cndmask_b32 v14, v14, v16 :: v_dual_cndmask_b32 v3, v3, v15
	v_cmp_le_u32_e32 vcc_lo, s12, v14
	s_delay_alu instid0(VALU_DEP_2) | instskip(NEXT) | instid1(VALU_DEP_1)
	v_add_nc_u32_e32 v15, 1, v3
	v_cndmask_b32_e32 v16, v3, v15, vcc_lo
.LBB11_20:                              ;   in Loop: Header=BB11_4 Depth=1
	s_or_b32 exec_lo, exec_lo, s0
	v_mul_u64_e32 v[14:15], s[52:53], v[10:11]
	v_mul_u64_e32 v[18:19], s[18:19], v[10:11]
	s_delay_alu instid0(VALU_DEP_3)
	v_mul_u64_e32 v[22:23], s[12:13], v[16:17]
	v_cmp_lt_i64_e32 vcc_lo, 0, v[16:17]
	v_cmp_ge_i64_e64 s0, s[6:7], v[16:17]
	s_and_b32 s0, vcc_lo, s0
	v_sub_nc_u64_e32 v[14:15], v[14:15], v[16:17]
	v_sub_nc_u64_e32 v[26:27], v[0:1], v[18:19]
	v_mov_b64_e32 v[18:19], 0
	s_delay_alu instid0(VALU_DEP_3) | instskip(NEXT) | instid1(VALU_DEP_3)
	v_mul_u64_e32 v[20:21], s[12:13], v[14:15]
	v_sub_nc_u64_e32 v[22:23], v[26:27], v[22:23]
	s_delay_alu instid0(VALU_DEP_2) | instskip(SKIP_1) | instid1(VALU_DEP_2)
	v_add_nc_u64_e32 v[24:25], v[0:1], v[20:21]
	v_cmp_eq_u64_e64 s1, v[20:21], v[4:5]
	v_cmp_lt_i64_e64 s2, s[30:31], v[24:25]
	v_cmp_gt_i64_e64 s3, s[24:25], v[24:25]
	v_cmp_le_i64_e64 s4, s[40:41], v[24:25]
	v_add_nc_u64_e32 v[24:25], s[30:31], v[0:1]
	s_or_b32 s2, s1, s2
	s_and_b32 s1, s3, s4
	s_and_saveexec_b32 s3, s0
	s_cbranch_execz .LBB11_28
; %bb.21:                               ;   in Loop: Header=BB11_4 Depth=1
	v_sub_nc_u64_e32 v[18:19], s[6:7], v[16:17]
	s_mov_b32 s0, exec_lo
	s_delay_alu instid0(VALU_DEP_1) | instskip(NEXT) | instid1(VALU_DEP_1)
	v_mul_u64_e32 v[26:27], s[36:37], v[18:19]
	v_add_nc_u64_e32 v[18:19], v[20:21], v[26:27]
	s_delay_alu instid0(VALU_DEP_1) | instskip(SKIP_1) | instid1(VALU_DEP_2)
	v_add_nc_u64_e32 v[28:29], v[24:25], v[18:19]
	v_mov_b64_e32 v[18:19], 0
	v_cmpx_gt_i64_e64 s[42:43], v[28:29]
	s_cbranch_execz .LBB11_23
; %bb.22:                               ;   in Loop: Header=BB11_4 Depth=1
	v_mul_u64_e32 v[18:19], s[46:47], v[8:9]
	v_mul_u64_e32 v[32:33], s[42:43], v[12:13]
	s_delay_alu instid0(VALU_DEP_2) | instskip(NEXT) | instid1(VALU_DEP_1)
	v_lshl_add_u64 v[18:19], v[18:19], 3, s[10:11]
	v_lshl_add_u64 v[18:19], v[32:33], 3, v[18:19]
	s_delay_alu instid0(VALU_DEP_1)
	v_lshl_add_u64 v[18:19], v[28:29], 3, v[18:19]
	global_load_b64 v[18:19], v[18:19], off
	s_wait_loadcnt 0x0
	s_wait_xcnt 0x0
	v_add_f64_e32 v[18:19], 0, v[18:19]
.LBB11_23:                              ;   in Loop: Header=BB11_4 Depth=1
	s_or_b32 exec_lo, exec_lo, s0
	s_mov_b32 s5, 0
                                        ; implicit-def: $vgpr28_vgpr29
	s_and_saveexec_b32 s0, s2
	s_delay_alu instid0(SALU_CYCLE_1)
	s_xor_b32 s4, exec_lo, s0
	s_cbranch_execnz .LBB11_45
; %bb.24:                               ;   in Loop: Header=BB11_4 Depth=1
	s_and_not1_saveexec_b32 s4, s4
	s_cbranch_execnz .LBB11_48
.LBB11_25:                              ;   in Loop: Header=BB11_4 Depth=1
	s_or_b32 exec_lo, exec_lo, s4
	s_and_saveexec_b32 s0, s5
	s_cbranch_execz .LBB11_27
.LBB11_26:                              ;   in Loop: Header=BB11_4 Depth=1
	v_mul_u64_e32 v[26:27], s[46:47], v[8:9]
	v_mul_u64_e32 v[32:33], s[42:43], v[12:13]
	s_delay_alu instid0(VALU_DEP_2) | instskip(NEXT) | instid1(VALU_DEP_1)
	v_lshl_add_u64 v[26:27], v[26:27], 3, s[10:11]
	v_lshl_add_u64 v[26:27], v[32:33], 3, v[26:27]
	s_delay_alu instid0(VALU_DEP_1)
	v_lshl_add_u64 v[26:27], v[28:29], 3, v[26:27]
	global_load_b64 v[26:27], v[26:27], off
	s_wait_loadcnt 0x0
	v_add_f64_e32 v[18:19], v[18:19], v[26:27]
.LBB11_27:                              ;   in Loop: Header=BB11_4 Depth=1
	s_wait_xcnt 0x0
	s_or_b32 exec_lo, exec_lo, s0
.LBB11_28:                              ;   in Loop: Header=BB11_4 Depth=1
	s_delay_alu instid0(SALU_CYCLE_1) | instskip(SKIP_3) | instid1(SALU_CYCLE_1)
	s_or_b32 exec_lo, exec_lo, s3
	v_cmp_gt_i64_e32 vcc_lo, s[28:29], v[16:17]
	v_cmp_le_i64_e64 s0, s[38:39], v[16:17]
	s_and_b32 s0, vcc_lo, s0
	s_and_saveexec_b32 s3, s0
	s_cbranch_execz .LBB11_36
; %bb.29:                               ;   in Loop: Header=BB11_4 Depth=1
	v_sub_nc_u64_e32 v[26:27], s[48:49], v[16:17]
	s_delay_alu instid0(VALU_DEP_1) | instskip(NEXT) | instid1(VALU_DEP_1)
	v_mul_u64_e32 v[26:27], s[36:37], v[26:27]
	v_add_nc_u64_e32 v[28:29], v[26:27], v[20:21]
	s_delay_alu instid0(VALU_DEP_1) | instskip(NEXT) | instid1(VALU_DEP_1)
	v_add_nc_u64_e32 v[24:25], v[24:25], v[28:29]
	v_cmp_lt_i64_e32 vcc_lo, -1, v[24:25]
	v_cmp_gt_i64_e64 s0, s[42:43], v[24:25]
	s_and_b32 s4, vcc_lo, s0
	s_delay_alu instid0(SALU_CYCLE_1)
	s_and_saveexec_b32 s0, s4
	s_cbranch_execz .LBB11_31
; %bb.30:                               ;   in Loop: Header=BB11_4 Depth=1
	v_mul_u64_e32 v[28:29], s[46:47], v[8:9]
	v_mul_u64_e32 v[32:33], s[42:43], v[12:13]
	s_delay_alu instid0(VALU_DEP_2) | instskip(NEXT) | instid1(VALU_DEP_1)
	v_lshl_add_u64 v[28:29], v[28:29], 3, s[10:11]
	v_lshl_add_u64 v[28:29], v[32:33], 3, v[28:29]
	s_delay_alu instid0(VALU_DEP_1)
	v_lshl_add_u64 v[24:25], v[24:25], 3, v[28:29]
	global_load_b64 v[24:25], v[24:25], off
	s_wait_loadcnt 0x0
	v_add_f64_e32 v[18:19], v[18:19], v[24:25]
.LBB11_31:                              ;   in Loop: Header=BB11_4 Depth=1
	s_wait_xcnt 0x0
	s_or_b32 exec_lo, exec_lo, s0
	s_mov_b32 s5, 0
                                        ; implicit-def: $vgpr24_vgpr25
	s_and_saveexec_b32 s0, s2
	s_delay_alu instid0(SALU_CYCLE_1)
	s_xor_b32 s4, exec_lo, s0
	s_cbranch_execnz .LBB11_49
; %bb.32:                               ;   in Loop: Header=BB11_4 Depth=1
	s_and_not1_saveexec_b32 s4, s4
	s_cbranch_execnz .LBB11_52
.LBB11_33:                              ;   in Loop: Header=BB11_4 Depth=1
	s_or_b32 exec_lo, exec_lo, s4
	s_and_saveexec_b32 s0, s5
	s_cbranch_execz .LBB11_35
.LBB11_34:                              ;   in Loop: Header=BB11_4 Depth=1
	v_mul_u64_e32 v[22:23], s[46:47], v[8:9]
	v_mul_u64_e32 v[26:27], s[42:43], v[12:13]
	s_delay_alu instid0(VALU_DEP_2) | instskip(NEXT) | instid1(VALU_DEP_1)
	v_lshl_add_u64 v[22:23], v[22:23], 3, s[10:11]
	v_lshl_add_u64 v[22:23], v[26:27], 3, v[22:23]
	s_delay_alu instid0(VALU_DEP_1)
	v_lshl_add_u64 v[22:23], v[24:25], 3, v[22:23]
	global_load_b64 v[22:23], v[22:23], off
	s_wait_loadcnt 0x0
	v_add_f64_e32 v[18:19], v[18:19], v[22:23]
.LBB11_35:                              ;   in Loop: Header=BB11_4 Depth=1
	s_wait_xcnt 0x0
	s_or_b32 exec_lo, exec_lo, s0
.LBB11_36:                              ;   in Loop: Header=BB11_4 Depth=1
	s_delay_alu instid0(SALU_CYCLE_1) | instskip(SKIP_1) | instid1(VALU_DEP_1)
	s_or_b32 exec_lo, exec_lo, s3
	v_add_nc_u64_e32 v[24:25], s[6:7], v[16:17]
	v_mul_u64_e32 v[22:23], s[36:37], v[24:25]
	s_and_saveexec_b32 s0, s2
	s_delay_alu instid0(SALU_CYCLE_1)
	s_xor_b32 s0, exec_lo, s0
	s_cbranch_execnz .LBB11_39
; %bb.37:                               ;   in Loop: Header=BB11_4 Depth=1
	s_or_saveexec_b32 s2, s0
	v_add_nc_u64_e32 v[24:25], s[30:31], v[4:5]
	s_xor_b32 exec_lo, exec_lo, s2
	s_cbranch_execnz .LBB11_40
.LBB11_38:                              ;   in Loop: Header=BB11_4 Depth=1
	s_or_b32 exec_lo, exec_lo, s2
	s_and_saveexec_b32 s2, s1
	s_cbranch_execz .LBB11_3
	s_branch .LBB11_43
.LBB11_39:                              ;   in Loop: Header=BB11_4 Depth=1
	v_mul_u64_e32 v[22:23], s[36:37], v[24:25]
                                        ; implicit-def: $vgpr20_vgpr21
	s_or_saveexec_b32 s2, s0
	v_add_nc_u64_e32 v[24:25], s[30:31], v[4:5]
	s_xor_b32 exec_lo, exec_lo, s2
	s_cbranch_execz .LBB11_38
.LBB11_40:                              ;   in Loop: Header=BB11_4 Depth=1
	s_delay_alu instid0(VALU_DEP_2) | instskip(NEXT) | instid1(VALU_DEP_1)
	v_sub_nc_u64_e32 v[20:21], v[22:23], v[20:21]
	v_add_nc_u64_e32 v[20:21], v[24:25], v[20:21]
	s_delay_alu instid0(VALU_DEP_1) | instskip(SKIP_2) | instid1(SALU_CYCLE_1)
	v_cmp_lt_i64_e32 vcc_lo, -1, v[20:21]
	v_cmp_gt_i64_e64 s0, s[42:43], v[20:21]
	s_and_b32 s3, vcc_lo, s0
	s_and_saveexec_b32 s0, s3
	s_cbranch_execz .LBB11_42
; %bb.41:                               ;   in Loop: Header=BB11_4 Depth=1
	v_mul_u64_e32 v[26:27], s[46:47], v[8:9]
	v_mul_u64_e32 v[28:29], s[42:43], v[12:13]
	s_delay_alu instid0(VALU_DEP_2) | instskip(NEXT) | instid1(VALU_DEP_1)
	v_lshl_add_u64 v[26:27], v[26:27], 3, s[10:11]
	v_lshl_add_u64 v[26:27], v[28:29], 3, v[26:27]
	s_delay_alu instid0(VALU_DEP_1)
	v_lshl_add_u64 v[20:21], v[20:21], 3, v[26:27]
	global_load_b64 v[20:21], v[20:21], off
	s_wait_loadcnt 0x0
	v_add_f64_e32 v[18:19], v[18:19], v[20:21]
.LBB11_42:                              ;   in Loop: Header=BB11_4 Depth=1
	s_wait_xcnt 0x0
	s_or_b32 exec_lo, exec_lo, s0
	s_delay_alu instid0(SALU_CYCLE_1)
	s_or_b32 exec_lo, exec_lo, s2
	s_and_saveexec_b32 s2, s1
	s_cbranch_execz .LBB11_3
.LBB11_43:                              ;   in Loop: Header=BB11_4 Depth=1
	v_mad_nc_u64_u32 v[16:17], s14, v10, v[16:17]
	s_delay_alu instid0(VALU_DEP_1) | instskip(NEXT) | instid1(VALU_DEP_1)
	v_mad_u32 v3, s15, v10, v17
	v_mad_u32 v17, s14, v11, v3
	s_delay_alu instid0(VALU_DEP_1) | instskip(NEXT) | instid1(VALU_DEP_1)
	v_add_nc_u64_e32 v[10:11], 2, v[16:17]
	v_mad_nc_u64_u32 v[16:17], s12, v10, v[22:23]
	s_delay_alu instid0(VALU_DEP_1) | instskip(NEXT) | instid1(VALU_DEP_1)
	v_mad_u32 v3, s13, v10, v17
	v_mad_u32 v17, s12, v11, v3
	s_delay_alu instid0(VALU_DEP_1) | instskip(NEXT) | instid1(VALU_DEP_1)
	v_add_nc_u64_e32 v[10:11], v[24:25], v[16:17]
	v_add_nc_u64_e32 v[10:11], -2, v[10:11]
	s_delay_alu instid0(VALU_DEP_1) | instskip(SKIP_2) | instid1(SALU_CYCLE_1)
	v_cmp_lt_i64_e32 vcc_lo, -1, v[10:11]
	v_cmp_gt_i64_e64 s0, s[42:43], v[10:11]
	s_and_b32 s1, vcc_lo, s0
	s_and_saveexec_b32 s0, s1
	s_cbranch_execz .LBB11_2
; %bb.44:                               ;   in Loop: Header=BB11_4 Depth=1
	v_mul_u64_e32 v[16:17], s[46:47], v[8:9]
	v_mul_u64_e32 v[20:21], s[42:43], v[12:13]
	s_delay_alu instid0(VALU_DEP_2) | instskip(NEXT) | instid1(VALU_DEP_1)
	v_lshl_add_u64 v[16:17], v[16:17], 3, s[10:11]
	v_lshl_add_u64 v[16:17], v[20:21], 3, v[16:17]
	s_delay_alu instid0(VALU_DEP_1)
	v_lshl_add_u64 v[10:11], v[10:11], 3, v[16:17]
	global_load_b64 v[10:11], v[10:11], off
	s_wait_loadcnt 0x0
	v_add_f64_e32 v[18:19], v[18:19], v[10:11]
	s_branch .LBB11_2
.LBB11_45:                              ;   in Loop: Header=BB11_4 Depth=1
	s_mov_b32 s0, 0
                                        ; implicit-def: $vgpr28_vgpr29
	s_and_saveexec_b32 s5, s1
	s_delay_alu instid0(SALU_CYCLE_1)
	s_xor_b32 s5, exec_lo, s5
	s_cbranch_execz .LBB11_47
; %bb.46:                               ;   in Loop: Header=BB11_4 Depth=1
	v_mad_nc_u64_u32 v[28:29], s14, v10, v[16:17]
	s_delay_alu instid0(VALU_DEP_1) | instskip(NEXT) | instid1(VALU_DEP_1)
	v_mad_u32 v3, s15, v10, v29
	v_mad_u32 v29, s14, v11, v3
	s_delay_alu instid0(VALU_DEP_1) | instskip(NEXT) | instid1(VALU_DEP_1)
	v_add_nc_u64_e32 v[28:29], 2, v[28:29]
	v_mad_nc_u64_u32 v[32:33], s12, v28, v[26:27]
	s_delay_alu instid0(VALU_DEP_1) | instskip(NEXT) | instid1(VALU_DEP_1)
	v_mad_u32 v3, s13, v28, v33
	v_mad_u32 v33, s12, v29, v3
	v_add_nc_u64_e32 v[28:29], s[30:31], v[4:5]
	s_delay_alu instid0(VALU_DEP_1) | instskip(SKIP_1) | instid1(VALU_DEP_2)
	v_add_nc_u64_e32 v[28:29], v[28:29], v[32:33]
	v_sub_nc_u64_e32 v[32:33], s[44:45], v[22:23]
	v_add_nc_u64_e32 v[28:29], -2, v[28:29]
	s_delay_alu instid0(VALU_DEP_1) | instskip(SKIP_1) | instid1(VALU_DEP_4)
	v_cmp_lt_i64_e32 vcc_lo, -1, v[28:29]
	v_cmp_gt_i64_e64 s0, s[42:43], v[28:29]
	v_add_nc_u64_e32 v[28:29], v[32:33], v[26:27]
	s_and_b32 s0, vcc_lo, s0
	s_delay_alu instid0(SALU_CYCLE_1)
	s_and_b32 s0, s0, exec_lo
.LBB11_47:                              ;   in Loop: Header=BB11_4 Depth=1
	s_or_b32 exec_lo, exec_lo, s5
	s_delay_alu instid0(SALU_CYCLE_1)
	s_and_b32 s5, s0, exec_lo
                                        ; implicit-def: $vgpr26_vgpr27
	s_and_not1_saveexec_b32 s4, s4
	s_cbranch_execz .LBB11_25
.LBB11_48:                              ;   in Loop: Header=BB11_4 Depth=1
	v_sub_nc_u64_e32 v[26:27], v[26:27], v[20:21]
	v_add_nc_u64_e32 v[28:29], s[30:31], v[4:5]
	s_and_not1_b32 s5, s5, exec_lo
	s_delay_alu instid0(VALU_DEP_1) | instskip(NEXT) | instid1(VALU_DEP_1)
	v_add_nc_u64_e32 v[28:29], v[28:29], v[26:27]
	v_cmp_lt_i64_e32 vcc_lo, -1, v[28:29]
	v_cmp_gt_i64_e64 s0, s[42:43], v[28:29]
	s_and_b32 s0, vcc_lo, s0
	s_delay_alu instid0(SALU_CYCLE_1) | instskip(NEXT) | instid1(SALU_CYCLE_1)
	s_and_b32 s0, s0, exec_lo
	s_or_b32 s5, s5, s0
	s_or_b32 exec_lo, exec_lo, s4
	s_and_saveexec_b32 s0, s5
	s_cbranch_execnz .LBB11_26
	s_branch .LBB11_27
.LBB11_49:                              ;   in Loop: Header=BB11_4 Depth=1
	s_mov_b32 s0, 0
                                        ; implicit-def: $vgpr24_vgpr25
	s_and_saveexec_b32 s5, s1
	s_delay_alu instid0(SALU_CYCLE_1)
	s_xor_b32 s5, exec_lo, s5
	s_cbranch_execz .LBB11_51
; %bb.50:                               ;   in Loop: Header=BB11_4 Depth=1
	v_mad_nc_u64_u32 v[24:25], s14, v10, v[16:17]
	s_delay_alu instid0(VALU_DEP_1) | instskip(NEXT) | instid1(VALU_DEP_1)
	v_mad_u32 v3, s15, v10, v25
	v_mad_u32 v25, s14, v11, v3
	s_delay_alu instid0(VALU_DEP_1) | instskip(NEXT) | instid1(VALU_DEP_1)
	v_add_nc_u64_e32 v[24:25], 2, v[24:25]
	v_mad_nc_u64_u32 v[28:29], s12, v24, v[26:27]
	v_add_nc_u64_e32 v[26:27], s[50:51], v[26:27]
	s_delay_alu instid0(VALU_DEP_2) | instskip(NEXT) | instid1(VALU_DEP_1)
	v_mad_u32 v3, s13, v24, v29
	v_mad_u32 v29, s12, v25, v3
	v_add_nc_u64_e32 v[24:25], s[30:31], v[4:5]
	s_delay_alu instid0(VALU_DEP_1) | instskip(NEXT) | instid1(VALU_DEP_1)
	v_add_nc_u64_e32 v[24:25], v[24:25], v[28:29]
	v_add_nc_u64_e32 v[24:25], -2, v[24:25]
	s_delay_alu instid0(VALU_DEP_1) | instskip(SKIP_3) | instid1(SALU_CYCLE_1)
	v_cmp_lt_i64_e32 vcc_lo, -1, v[24:25]
	v_cmp_gt_i64_e64 s0, s[42:43], v[24:25]
	v_sub_nc_u64_e32 v[24:25], v[26:27], v[22:23]
	s_and_b32 s0, vcc_lo, s0
	s_and_b32 s0, s0, exec_lo
.LBB11_51:                              ;   in Loop: Header=BB11_4 Depth=1
	s_or_b32 exec_lo, exec_lo, s5
	s_delay_alu instid0(SALU_CYCLE_1)
	s_and_b32 s5, s0, exec_lo
                                        ; implicit-def: $vgpr26_vgpr27
	s_and_not1_saveexec_b32 s4, s4
	s_cbranch_execz .LBB11_33
.LBB11_52:                              ;   in Loop: Header=BB11_4 Depth=1
	v_sub_nc_u64_e32 v[22:23], v[26:27], v[20:21]
	v_add_nc_u64_e32 v[24:25], s[30:31], v[4:5]
	s_and_not1_b32 s5, s5, exec_lo
	s_delay_alu instid0(VALU_DEP_1) | instskip(NEXT) | instid1(VALU_DEP_1)
	v_add_nc_u64_e32 v[24:25], v[24:25], v[22:23]
	v_cmp_lt_i64_e32 vcc_lo, -1, v[24:25]
	v_cmp_gt_i64_e64 s0, s[42:43], v[24:25]
	s_and_b32 s0, vcc_lo, s0
	s_delay_alu instid0(SALU_CYCLE_1) | instskip(NEXT) | instid1(SALU_CYCLE_1)
	s_and_b32 s0, s0, exec_lo
	s_or_b32 s5, s5, s0
	s_or_b32 exec_lo, exec_lo, s4
	s_and_saveexec_b32 s0, s5
	s_cbranch_execnz .LBB11_34
	s_branch .LBB11_35
.LBB11_53:
	s_endpgm
	.section	.rodata,"a",@progbits
	.p2align	6, 0x0
	.amdhsa_kernel _ZN2at6native12_GLOBAL__N_140reflection_pad2d_backward_det_out_kernelIdEEvPT_PKS3_lliiiiiii
		.amdhsa_group_segment_fixed_size 0
		.amdhsa_private_segment_fixed_size 0
		.amdhsa_kernarg_size 320
		.amdhsa_user_sgpr_count 2
		.amdhsa_user_sgpr_dispatch_ptr 0
		.amdhsa_user_sgpr_queue_ptr 0
		.amdhsa_user_sgpr_kernarg_segment_ptr 1
		.amdhsa_user_sgpr_dispatch_id 0
		.amdhsa_user_sgpr_kernarg_preload_length 0
		.amdhsa_user_sgpr_kernarg_preload_offset 0
		.amdhsa_user_sgpr_private_segment_size 0
		.amdhsa_wavefront_size32 1
		.amdhsa_uses_dynamic_stack 0
		.amdhsa_enable_private_segment 0
		.amdhsa_system_sgpr_workgroup_id_x 1
		.amdhsa_system_sgpr_workgroup_id_y 0
		.amdhsa_system_sgpr_workgroup_id_z 0
		.amdhsa_system_sgpr_workgroup_info 0
		.amdhsa_system_vgpr_workitem_id 0
		.amdhsa_next_free_vgpr 34
		.amdhsa_next_free_sgpr 76
		.amdhsa_named_barrier_count 0
		.amdhsa_reserve_vcc 1
		.amdhsa_float_round_mode_32 0
		.amdhsa_float_round_mode_16_64 0
		.amdhsa_float_denorm_mode_32 3
		.amdhsa_float_denorm_mode_16_64 3
		.amdhsa_fp16_overflow 0
		.amdhsa_memory_ordered 1
		.amdhsa_forward_progress 1
		.amdhsa_inst_pref_size 39
		.amdhsa_round_robin_scheduling 0
		.amdhsa_exception_fp_ieee_invalid_op 0
		.amdhsa_exception_fp_denorm_src 0
		.amdhsa_exception_fp_ieee_div_zero 0
		.amdhsa_exception_fp_ieee_overflow 0
		.amdhsa_exception_fp_ieee_underflow 0
		.amdhsa_exception_fp_ieee_inexact 0
		.amdhsa_exception_int_div_zero 0
	.end_amdhsa_kernel
	.section	.text._ZN2at6native12_GLOBAL__N_140reflection_pad2d_backward_det_out_kernelIdEEvPT_PKS3_lliiiiiii,"axG",@progbits,_ZN2at6native12_GLOBAL__N_140reflection_pad2d_backward_det_out_kernelIdEEvPT_PKS3_lliiiiiii,comdat
.Lfunc_end11:
	.size	_ZN2at6native12_GLOBAL__N_140reflection_pad2d_backward_det_out_kernelIdEEvPT_PKS3_lliiiiiii, .Lfunc_end11-_ZN2at6native12_GLOBAL__N_140reflection_pad2d_backward_det_out_kernelIdEEvPT_PKS3_lliiiiiii
                                        ; -- End function
	.set _ZN2at6native12_GLOBAL__N_140reflection_pad2d_backward_det_out_kernelIdEEvPT_PKS3_lliiiiiii.num_vgpr, 34
	.set _ZN2at6native12_GLOBAL__N_140reflection_pad2d_backward_det_out_kernelIdEEvPT_PKS3_lliiiiiii.num_agpr, 0
	.set _ZN2at6native12_GLOBAL__N_140reflection_pad2d_backward_det_out_kernelIdEEvPT_PKS3_lliiiiiii.numbered_sgpr, 76
	.set _ZN2at6native12_GLOBAL__N_140reflection_pad2d_backward_det_out_kernelIdEEvPT_PKS3_lliiiiiii.num_named_barrier, 0
	.set _ZN2at6native12_GLOBAL__N_140reflection_pad2d_backward_det_out_kernelIdEEvPT_PKS3_lliiiiiii.private_seg_size, 0
	.set _ZN2at6native12_GLOBAL__N_140reflection_pad2d_backward_det_out_kernelIdEEvPT_PKS3_lliiiiiii.uses_vcc, 1
	.set _ZN2at6native12_GLOBAL__N_140reflection_pad2d_backward_det_out_kernelIdEEvPT_PKS3_lliiiiiii.uses_flat_scratch, 0
	.set _ZN2at6native12_GLOBAL__N_140reflection_pad2d_backward_det_out_kernelIdEEvPT_PKS3_lliiiiiii.has_dyn_sized_stack, 0
	.set _ZN2at6native12_GLOBAL__N_140reflection_pad2d_backward_det_out_kernelIdEEvPT_PKS3_lliiiiiii.has_recursion, 0
	.set _ZN2at6native12_GLOBAL__N_140reflection_pad2d_backward_det_out_kernelIdEEvPT_PKS3_lliiiiiii.has_indirect_call, 0
	.section	.AMDGPU.csdata,"",@progbits
; Kernel info:
; codeLenInByte = 4928
; TotalNumSgprs: 78
; NumVgprs: 34
; ScratchSize: 0
; MemoryBound: 0
; FloatMode: 240
; IeeeMode: 1
; LDSByteSize: 0 bytes/workgroup (compile time only)
; SGPRBlocks: 0
; VGPRBlocks: 2
; NumSGPRsForWavesPerEU: 78
; NumVGPRsForWavesPerEU: 34
; NamedBarCnt: 0
; Occupancy: 16
; WaveLimiterHint : 0
; COMPUTE_PGM_RSRC2:SCRATCH_EN: 0
; COMPUTE_PGM_RSRC2:USER_SGPR: 2
; COMPUTE_PGM_RSRC2:TRAP_HANDLER: 0
; COMPUTE_PGM_RSRC2:TGID_X_EN: 1
; COMPUTE_PGM_RSRC2:TGID_Y_EN: 0
; COMPUTE_PGM_RSRC2:TGID_Z_EN: 0
; COMPUTE_PGM_RSRC2:TIDIG_COMP_CNT: 0
	.section	.text._ZN2at6native12_GLOBAL__N_136reflection_pad2d_backward_out_kernelIdEEvPT_PKS3_lliiiiiii,"axG",@progbits,_ZN2at6native12_GLOBAL__N_136reflection_pad2d_backward_out_kernelIdEEvPT_PKS3_lliiiiiii,comdat
	.globl	_ZN2at6native12_GLOBAL__N_136reflection_pad2d_backward_out_kernelIdEEvPT_PKS3_lliiiiiii ; -- Begin function _ZN2at6native12_GLOBAL__N_136reflection_pad2d_backward_out_kernelIdEEvPT_PKS3_lliiiiiii
	.p2align	8
	.type	_ZN2at6native12_GLOBAL__N_136reflection_pad2d_backward_out_kernelIdEEvPT_PKS3_lliiiiiii,@function
_ZN2at6native12_GLOBAL__N_136reflection_pad2d_backward_out_kernelIdEEvPT_PKS3_lliiiiiii: ; @_ZN2at6native12_GLOBAL__N_136reflection_pad2d_backward_out_kernelIdEEvPT_PKS3_lliiiiiii
; %bb.0:
	s_clause 0x2
	s_load_b32 s2, s[0:1], 0x4c
	s_load_b128 s[24:27], s[0:1], 0x20
	s_load_b256 s[4:11], s[0:1], 0x0
	s_bfe_u32 s3, ttmp6, 0x4000c
	s_and_b32 s12, ttmp6, 15
	s_add_co_i32 s3, s3, 1
	s_getreg_b32 s15, hwreg(HW_REG_IB_STS2, 6, 4)
	s_mul_i32 s3, ttmp9, s3
	v_mov_b32_e32 v1, 0
	s_add_co_i32 s3, s12, s3
	s_wait_kmcnt 0x0
	s_and_b32 s14, s2, 0xffff
	s_cmp_eq_u32 s15, 0
	s_mov_b32 s2, s26
	s_cselect_b32 s16, ttmp9, s3
	s_ashr_i32 s3, s26, 31
	v_mad_u32 v0, s16, s14, v0
	s_mov_b32 s12, s27
	s_ashr_i32 s13, s27, 31
	s_add_nc_u64 s[16:17], s[8:9], s[2:3]
	s_ashr_i32 s19, s24, 31
	s_mov_b32 s18, s24
	s_add_nc_u64 s[22:23], s[16:17], s[12:13]
	s_add_nc_u64 s[20:21], s[10:11], s[18:19]
	s_ashr_i32 s13, s25, 31
	s_mov_b32 s12, s25
	s_delay_alu instid0(SALU_CYCLE_1) | instskip(NEXT) | instid1(SALU_CYCLE_1)
	s_add_nc_u64 s[24:25], s[20:21], s[12:13]
	s_mul_u64 s[12:13], s[22:23], s[24:25]
	s_delay_alu instid0(SALU_CYCLE_1)
	v_cmp_gt_i64_e32 vcc_lo, s[12:13], v[0:1]
	s_and_saveexec_b32 s12, vcc_lo
	s_cbranch_execz .LBB12_5
; %bb.1:
	s_load_b96 s[12:14], s[0:1], 0x30
	s_wait_xcnt 0x0
	s_and_b64 s[0:1], s[22:23], 0xffffffff00000000
	s_delay_alu instid0(SALU_CYCLE_1)
	s_cmp_lg_u64 s[0:1], 0
	s_cbranch_scc0 .LBB12_6
; %bb.2:
	s_ashr_i32 s26, s23, 31
	v_add_nc_u64_e32 v[2:3], 0, v[0:1]
	s_mov_b32 s27, s26
	v_mov_b32_e32 v5, 0
	s_add_nc_u64 s[0:1], s[22:23], s[26:27]
	s_delay_alu instid0(SALU_CYCLE_1) | instskip(NEXT) | instid1(VALU_DEP_2)
	s_xor_b64 s[28:29], s[0:1], s[26:27]
	v_mov_b32_e32 v4, v2
	s_cvt_f32_u32 s0, s28
	s_cvt_f32_u32 s1, s29
	s_sub_nc_u64 s[34:35], 0, s[28:29]
	s_delay_alu instid0(SALU_CYCLE_2) | instskip(NEXT) | instid1(SALU_CYCLE_3)
	s_fmamk_f32 s0, s1, 0x4f800000, s0
	v_s_rcp_f32 s0, s0
	s_delay_alu instid0(TRANS32_DEP_1) | instskip(NEXT) | instid1(SALU_CYCLE_3)
	s_mul_f32 s0, s0, 0x5f7ffffc
	s_mul_f32 s1, s0, 0x2f800000
	s_delay_alu instid0(SALU_CYCLE_3) | instskip(NEXT) | instid1(SALU_CYCLE_3)
	s_trunc_f32 s1, s1
	s_fmamk_f32 s0, s1, 0xcf800000, s0
	s_cvt_u32_f32 s31, s1
	s_mov_b32 s1, 0
	s_delay_alu instid0(SALU_CYCLE_1) | instskip(NEXT) | instid1(SALU_CYCLE_3)
	s_cvt_u32_f32 s30, s0
	s_mul_u64 s[36:37], s[34:35], s[30:31]
	s_delay_alu instid0(SALU_CYCLE_1)
	s_mul_hi_u32 s39, s30, s37
	s_mul_i32 s38, s30, s37
	s_mul_hi_u32 s0, s30, s36
	s_mul_i32 s33, s31, s36
	s_add_nc_u64 s[38:39], s[0:1], s[38:39]
	s_mul_hi_u32 s27, s31, s36
	s_mul_hi_u32 s40, s31, s37
	s_add_co_u32 s0, s38, s33
	s_add_co_ci_u32 s0, s39, s27
	s_mul_i32 s36, s31, s37
	s_add_co_ci_u32 s37, s40, 0
	s_delay_alu instid0(SALU_CYCLE_1) | instskip(NEXT) | instid1(SALU_CYCLE_1)
	s_add_nc_u64 s[36:37], s[0:1], s[36:37]
	s_add_co_u32 s30, s30, s36
	s_cselect_b32 s0, -1, 0
	s_delay_alu instid0(SALU_CYCLE_1) | instskip(SKIP_1) | instid1(SALU_CYCLE_1)
	s_cmp_lg_u32 s0, 0
	s_add_co_ci_u32 s31, s31, s37
	s_mul_u64 s[34:35], s[34:35], s[30:31]
	s_delay_alu instid0(SALU_CYCLE_1)
	s_mul_hi_u32 s37, s30, s35
	s_mul_i32 s36, s30, s35
	s_mul_hi_u32 s0, s30, s34
	s_mul_i32 s33, s31, s34
	s_add_nc_u64 s[36:37], s[0:1], s[36:37]
	s_mul_hi_u32 s27, s31, s34
	s_mul_hi_u32 s38, s31, s35
	s_add_co_u32 s0, s36, s33
	s_add_co_ci_u32 s0, s37, s27
	s_mul_i32 s34, s31, s35
	s_add_co_ci_u32 s35, s38, 0
	s_delay_alu instid0(SALU_CYCLE_1) | instskip(NEXT) | instid1(SALU_CYCLE_1)
	s_add_nc_u64 s[34:35], s[0:1], s[34:35]
	s_add_co_u32 s30, s30, s34
	s_cselect_b32 s0, -1, 0
	s_delay_alu instid0(SALU_CYCLE_1)
	s_cmp_lg_u32 s0, 0
	s_add_co_ci_u32 s0, s31, s35
	s_mov_b64 s[34:35], 0xffffffff
	v_nop
	v_mul_u64_e32 v[6:7], s[0:1], v[4:5]
	v_mul_hi_u32 v4, v2, s30
	s_and_b64 s[30:31], s[30:31], s[34:35]
	s_delay_alu instid0(VALU_DEP_1) | instskip(SKIP_1) | instid1(VALU_DEP_1)
	v_add_nc_u64_e32 v[6:7], v[4:5], v[6:7]
	v_mov_b32_e32 v4, v3
	v_mul_u64_e32 v[8:9], s[30:31], v[4:5]
	v_mul_u64_e32 v[10:11], s[0:1], v[4:5]
	s_delay_alu instid0(VALU_DEP_2) | instskip(NEXT) | instid1(VALU_DEP_3)
	v_add_co_u32 v4, vcc_lo, v6, v8
	v_add_co_ci_u32_e32 v4, vcc_lo, v7, v9, vcc_lo
	s_delay_alu instid0(VALU_DEP_3) | instskip(NEXT) | instid1(VALU_DEP_1)
	v_add_co_ci_u32_e32 v11, vcc_lo, 0, v11, vcc_lo
	v_add_nc_u64_e32 v[4:5], v[4:5], v[10:11]
	s_delay_alu instid0(VALU_DEP_1) | instskip(NEXT) | instid1(VALU_DEP_1)
	v_mul_u64_e32 v[6:7], s[28:29], v[4:5]
	v_sub_nc_u32_e32 v8, v3, v7
	s_delay_alu instid0(VALU_DEP_2) | instskip(NEXT) | instid1(VALU_DEP_1)
	v_sub_co_u32 v2, vcc_lo, v2, v6
	v_sub_co_ci_u32_e64 v7, null, v3, v7, vcc_lo
	s_delay_alu instid0(VALU_DEP_3) | instskip(NEXT) | instid1(VALU_DEP_3)
	v_subrev_co_ci_u32_e64 v6, null, s29, v8, vcc_lo
	v_sub_co_u32 v10, s0, v2, s28
	v_cmp_le_u32_e32 vcc_lo, s28, v2
	s_delay_alu instid0(VALU_DEP_3) | instskip(NEXT) | instid1(VALU_DEP_3)
	v_subrev_co_ci_u32_e64 v6, null, 0, v6, s0
	v_cmp_le_u32_e64 s0, s28, v10
	v_add_nc_u64_e32 v[8:9], 2, v[4:5]
	v_cndmask_b32_e64 v12, 0, -1, vcc_lo
	s_delay_alu instid0(VALU_DEP_4) | instskip(SKIP_3) | instid1(VALU_DEP_1)
	v_cmp_eq_u32_e32 vcc_lo, s29, v6
	v_add_nc_u64_e32 v[2:3], 1, v[4:5]
	v_cndmask_b32_e64 v10, 0, -1, s0
	v_cmp_le_u32_e64 s0, s29, v6
	v_cndmask_b32_e64 v11, 0, -1, s0
	v_cmp_eq_u32_e64 s0, s29, v7
	s_delay_alu instid0(VALU_DEP_2) | instskip(SKIP_2) | instid1(VALU_DEP_3)
	v_cndmask_b32_e32 v6, v11, v10, vcc_lo
	v_cmp_le_u32_e32 vcc_lo, s29, v7
	v_cndmask_b32_e64 v10, 0, -1, vcc_lo
	v_cmp_ne_u32_e32 vcc_lo, 0, v6
	s_delay_alu instid0(VALU_DEP_2) | instskip(SKIP_1) | instid1(VALU_DEP_2)
	v_dual_cndmask_b32 v6, v10, v12, s0 :: v_dual_cndmask_b32 v3, v3, v9, vcc_lo
	v_cndmask_b32_e32 v2, v2, v8, vcc_lo
	v_cmp_ne_u32_e32 vcc_lo, 0, v6
	s_delay_alu instid0(VALU_DEP_2) | instskip(SKIP_1) | instid1(VALU_DEP_2)
	v_dual_cndmask_b32 v5, v5, v3 :: v_dual_cndmask_b32 v4, v4, v2
	v_dual_mov_b32 v3, s26 :: v_dual_mov_b32 v2, s26
	v_xor_b32_e32 v5, s26, v5
	s_delay_alu instid0(VALU_DEP_3) | instskip(NEXT) | instid1(VALU_DEP_1)
	v_xor_b32_e32 v4, s26, v4
	v_sub_nc_u64_e32 v[2:3], v[4:5], v[2:3]
	s_cbranch_execnz .LBB12_4
.LBB12_3:
	v_cvt_f32_u32_e32 v2, s22
	s_sub_co_i32 s0, 0, s22
	s_delay_alu instid0(VALU_DEP_1) | instskip(SKIP_1) | instid1(TRANS32_DEP_1)
	v_rcp_iflag_f32_e32 v2, v2
	v_nop
	v_mul_f32_e32 v2, 0x4f7ffffe, v2
	s_delay_alu instid0(VALU_DEP_1) | instskip(NEXT) | instid1(VALU_DEP_1)
	v_cvt_u32_f32_e32 v2, v2
	v_mul_lo_u32 v3, s0, v2
	s_delay_alu instid0(VALU_DEP_1) | instskip(NEXT) | instid1(VALU_DEP_1)
	v_mul_hi_u32 v3, v2, v3
	v_add_nc_u32_e32 v2, v2, v3
	s_delay_alu instid0(VALU_DEP_1) | instskip(NEXT) | instid1(VALU_DEP_1)
	v_mul_hi_u32 v2, v0, v2
	v_mul_lo_u32 v3, v2, s22
	s_delay_alu instid0(VALU_DEP_1) | instskip(NEXT) | instid1(VALU_DEP_1)
	v_dual_add_nc_u32 v4, 1, v2 :: v_dual_sub_nc_u32 v3, v0, v3
	v_subrev_nc_u32_e32 v5, s22, v3
	v_cmp_le_u32_e32 vcc_lo, s22, v3
	s_delay_alu instid0(VALU_DEP_2) | instskip(NEXT) | instid1(VALU_DEP_1)
	v_dual_cndmask_b32 v3, v3, v5 :: v_dual_cndmask_b32 v2, v2, v4
	v_cmp_le_u32_e32 vcc_lo, s22, v3
	s_delay_alu instid0(VALU_DEP_2) | instskip(NEXT) | instid1(VALU_DEP_1)
	v_dual_mov_b32 v3, 0 :: v_dual_add_nc_u32 v4, 1, v2
	v_cndmask_b32_e32 v2, v2, v4, vcc_lo
.LBB12_4:
	s_bfe_u32 s0, ttmp6, 0x40010
	s_bfe_u32 s26, ttmp6, 0x40014
	s_and_b32 s1, ttmp7, 0xffff
	s_add_co_i32 s0, s0, 1
	s_lshr_b32 s27, ttmp7, 16
	s_add_co_i32 s26, s26, 1
	s_mul_i32 s0, s1, s0
	s_bfe_u32 s28, ttmp6, 0x40004
	s_mul_i32 s26, s27, s26
	s_bfe_u32 s29, ttmp6, 0x40008
	s_add_co_i32 s28, s28, s0
	s_add_co_i32 s29, s29, s26
	s_cmp_eq_u32 s15, 0
	v_mul_u64_e32 v[6:7], s[22:23], v[2:3]
	s_cselect_b32 s0, s27, s29
	s_cselect_b32 s1, s1, s28
	s_wait_kmcnt 0x0
	s_add_co_i32 s0, s13, s0
	s_add_co_i32 s1, s12, s1
	s_mul_i32 s0, s0, s14
	v_sub_nc_u64_e64 v[8:9], v[2:3], s[20:21]
	s_add_co_i32 s0, s1, s0
	v_sub_nc_u64_e64 v[14:15], v[2:3], s[18:19]
	v_mad_nc_u64_u32 v[4:5], s24, s0, v[2:3]
	s_mov_b32 s1, 0
	s_delay_alu instid0(VALU_DEP_3) | instskip(SKIP_2) | instid1(VALU_DEP_4)
	v_add_nc_u64_e32 v[12:13], 1, v[8:9]
	v_not_b32_e32 v9, v9
	v_not_b32_e32 v8, v8
	v_mad_u32 v5, s25, s0, v5
	s_delay_alu instid0(VALU_DEP_2) | instskip(SKIP_2) | instid1(VALU_DEP_1)
	v_max_i64 v[8:9], v[12:13], v[8:9]
	v_sub_nc_u64_e32 v[12:13], 0, v[14:15]
	s_mul_u64 s[0:1], s[10:11], s[0:1]
	v_max_i64 v[12:13], v[14:15], v[12:13]
	v_max_i64 v[14:15], s[2:3], 0
	v_mul_u64_e32 v[4:5], s[22:23], v[4:5]
	v_sub_nc_u64_e32 v[0:1], v[0:1], v[6:7]
	v_max_i64 v[6:7], s[18:19], 0
	s_delay_alu instid0(VALU_DEP_2) | instskip(NEXT) | instid1(VALU_DEP_1)
	v_sub_nc_u64_e64 v[16:17], v[0:1], s[16:17]
	v_add_nc_u64_e32 v[18:19], 1, v[16:17]
	v_not_b32_e32 v17, v17
	v_not_b32_e32 v16, v16
	v_add_nc_u64_e32 v[2:3], v[2:3], v[8:9]
	v_sub_nc_u64_e64 v[8:9], v[0:1], s[2:3]
	v_lshl_add_u64 v[4:5], v[4:5], 3, s[6:7]
	s_sub_nc_u64 s[6:7], 0, s[18:19]
	v_not_b32_e32 v6, v6
	v_max_i64 v[10:11], s[6:7], 0
	v_not_b32_e32 v7, v7
	v_lshl_add_u64 v[4:5], v[0:1], 3, v[4:5]
	s_add_nc_u64 s[6:7], s[20:21], s[18:19]
	s_delay_alu instid0(VALU_DEP_2) | instid1(SALU_CYCLE_1)
	v_add_nc_u64_e32 v[6:7], s[6:7], v[6:7]
	global_load_b64 v[4:5], v[4:5], off
	s_sub_nc_u64 s[6:7], 0, s[2:3]
	v_add_nc_u64_e32 v[6:7], v[6:7], v[10:11]
	v_max_i64 v[10:11], v[18:19], v[16:17]
	v_max_i64 v[16:17], s[6:7], 0
	s_delay_alu instid0(VALU_DEP_3) | instskip(SKIP_1) | instid1(VALU_DEP_1)
	v_add_nc_u64_e32 v[6:7], s[0:1], v[6:7]
	s_add_nc_u64 s[0:1], s[16:17], s[2:3]
	v_sub_nc_u64_e32 v[2:3], v[6:7], v[2:3]
	v_sub_nc_u64_e32 v[6:7], 0, v[8:9]
	s_delay_alu instid0(VALU_DEP_2) | instskip(NEXT) | instid1(VALU_DEP_2)
	v_add_nc_u64_e32 v[2:3], v[2:3], v[12:13]
	v_max_i64 v[6:7], v[8:9], v[6:7]
	v_not_b32_e32 v8, v14
	v_not_b32_e32 v9, v15
	s_delay_alu instid0(VALU_DEP_4) | instskip(NEXT) | instid1(VALU_DEP_2)
	v_mul_u64_e32 v[2:3], s[8:9], v[2:3]
	v_add_nc_u64_e32 v[8:9], s[0:1], v[8:9]
	v_add_nc_u64_e32 v[0:1], v[0:1], v[10:11]
	s_delay_alu instid0(VALU_DEP_2) | instskip(NEXT) | instid1(VALU_DEP_1)
	v_add_nc_u64_e32 v[8:9], v[8:9], v[16:17]
	v_sub_nc_u64_e32 v[0:1], v[8:9], v[0:1]
	s_delay_alu instid0(VALU_DEP_1) | instskip(NEXT) | instid1(VALU_DEP_1)
	v_lshl_add_u64 v[0:1], v[0:1], 3, s[4:5]
	v_lshl_add_u64 v[0:1], v[6:7], 3, v[0:1]
	s_delay_alu instid0(VALU_DEP_1)
	v_lshl_add_u64 v[0:1], v[2:3], 3, v[0:1]
	s_wait_xcnt 0x0
	s_wait_loadcnt 0x0
	global_atomic_add_f64 v[0:1], v[4:5], off scope:SCOPE_DEV
.LBB12_5:
	s_endpgm
.LBB12_6:
                                        ; implicit-def: $vgpr2_vgpr3
	s_branch .LBB12_3
	.section	.rodata,"a",@progbits
	.p2align	6, 0x0
	.amdhsa_kernel _ZN2at6native12_GLOBAL__N_136reflection_pad2d_backward_out_kernelIdEEvPT_PKS3_lliiiiiii
		.amdhsa_group_segment_fixed_size 0
		.amdhsa_private_segment_fixed_size 0
		.amdhsa_kernarg_size 320
		.amdhsa_user_sgpr_count 2
		.amdhsa_user_sgpr_dispatch_ptr 0
		.amdhsa_user_sgpr_queue_ptr 0
		.amdhsa_user_sgpr_kernarg_segment_ptr 1
		.amdhsa_user_sgpr_dispatch_id 0
		.amdhsa_user_sgpr_kernarg_preload_length 0
		.amdhsa_user_sgpr_kernarg_preload_offset 0
		.amdhsa_user_sgpr_private_segment_size 0
		.amdhsa_wavefront_size32 1
		.amdhsa_uses_dynamic_stack 0
		.amdhsa_enable_private_segment 0
		.amdhsa_system_sgpr_workgroup_id_x 1
		.amdhsa_system_sgpr_workgroup_id_y 1
		.amdhsa_system_sgpr_workgroup_id_z 1
		.amdhsa_system_sgpr_workgroup_info 0
		.amdhsa_system_vgpr_workitem_id 0
		.amdhsa_next_free_vgpr 20
		.amdhsa_next_free_sgpr 41
		.amdhsa_named_barrier_count 0
		.amdhsa_reserve_vcc 1
		.amdhsa_float_round_mode_32 0
		.amdhsa_float_round_mode_16_64 0
		.amdhsa_float_denorm_mode_32 3
		.amdhsa_float_denorm_mode_16_64 3
		.amdhsa_fp16_overflow 0
		.amdhsa_memory_ordered 1
		.amdhsa_forward_progress 1
		.amdhsa_inst_pref_size 11
		.amdhsa_round_robin_scheduling 0
		.amdhsa_exception_fp_ieee_invalid_op 0
		.amdhsa_exception_fp_denorm_src 0
		.amdhsa_exception_fp_ieee_div_zero 0
		.amdhsa_exception_fp_ieee_overflow 0
		.amdhsa_exception_fp_ieee_underflow 0
		.amdhsa_exception_fp_ieee_inexact 0
		.amdhsa_exception_int_div_zero 0
	.end_amdhsa_kernel
	.section	.text._ZN2at6native12_GLOBAL__N_136reflection_pad2d_backward_out_kernelIdEEvPT_PKS3_lliiiiiii,"axG",@progbits,_ZN2at6native12_GLOBAL__N_136reflection_pad2d_backward_out_kernelIdEEvPT_PKS3_lliiiiiii,comdat
.Lfunc_end12:
	.size	_ZN2at6native12_GLOBAL__N_136reflection_pad2d_backward_out_kernelIdEEvPT_PKS3_lliiiiiii, .Lfunc_end12-_ZN2at6native12_GLOBAL__N_136reflection_pad2d_backward_out_kernelIdEEvPT_PKS3_lliiiiiii
                                        ; -- End function
	.set _ZN2at6native12_GLOBAL__N_136reflection_pad2d_backward_out_kernelIdEEvPT_PKS3_lliiiiiii.num_vgpr, 20
	.set _ZN2at6native12_GLOBAL__N_136reflection_pad2d_backward_out_kernelIdEEvPT_PKS3_lliiiiiii.num_agpr, 0
	.set _ZN2at6native12_GLOBAL__N_136reflection_pad2d_backward_out_kernelIdEEvPT_PKS3_lliiiiiii.numbered_sgpr, 41
	.set _ZN2at6native12_GLOBAL__N_136reflection_pad2d_backward_out_kernelIdEEvPT_PKS3_lliiiiiii.num_named_barrier, 0
	.set _ZN2at6native12_GLOBAL__N_136reflection_pad2d_backward_out_kernelIdEEvPT_PKS3_lliiiiiii.private_seg_size, 0
	.set _ZN2at6native12_GLOBAL__N_136reflection_pad2d_backward_out_kernelIdEEvPT_PKS3_lliiiiiii.uses_vcc, 1
	.set _ZN2at6native12_GLOBAL__N_136reflection_pad2d_backward_out_kernelIdEEvPT_PKS3_lliiiiiii.uses_flat_scratch, 0
	.set _ZN2at6native12_GLOBAL__N_136reflection_pad2d_backward_out_kernelIdEEvPT_PKS3_lliiiiiii.has_dyn_sized_stack, 0
	.set _ZN2at6native12_GLOBAL__N_136reflection_pad2d_backward_out_kernelIdEEvPT_PKS3_lliiiiiii.has_recursion, 0
	.set _ZN2at6native12_GLOBAL__N_136reflection_pad2d_backward_out_kernelIdEEvPT_PKS3_lliiiiiii.has_indirect_call, 0
	.section	.AMDGPU.csdata,"",@progbits
; Kernel info:
; codeLenInByte = 1364
; TotalNumSgprs: 43
; NumVgprs: 20
; ScratchSize: 0
; MemoryBound: 0
; FloatMode: 240
; IeeeMode: 1
; LDSByteSize: 0 bytes/workgroup (compile time only)
; SGPRBlocks: 0
; VGPRBlocks: 1
; NumSGPRsForWavesPerEU: 43
; NumVGPRsForWavesPerEU: 20
; NamedBarCnt: 0
; Occupancy: 16
; WaveLimiterHint : 0
; COMPUTE_PGM_RSRC2:SCRATCH_EN: 0
; COMPUTE_PGM_RSRC2:USER_SGPR: 2
; COMPUTE_PGM_RSRC2:TRAP_HANDLER: 0
; COMPUTE_PGM_RSRC2:TGID_X_EN: 1
; COMPUTE_PGM_RSRC2:TGID_Y_EN: 1
; COMPUTE_PGM_RSRC2:TGID_Z_EN: 1
; COMPUTE_PGM_RSRC2:TIDIG_COMP_CNT: 0
	.section	.text._ZN2at6native12_GLOBAL__N_140reflection_pad2d_backward_det_out_kernelIfEEvPT_PKS3_lliiiiiii,"axG",@progbits,_ZN2at6native12_GLOBAL__N_140reflection_pad2d_backward_det_out_kernelIfEEvPT_PKS3_lliiiiiii,comdat
	.globl	_ZN2at6native12_GLOBAL__N_140reflection_pad2d_backward_det_out_kernelIfEEvPT_PKS3_lliiiiiii ; -- Begin function _ZN2at6native12_GLOBAL__N_140reflection_pad2d_backward_det_out_kernelIfEEvPT_PKS3_lliiiiiii
	.p2align	8
	.type	_ZN2at6native12_GLOBAL__N_140reflection_pad2d_backward_det_out_kernelIfEEvPT_PKS3_lliiiiiii,@function
_ZN2at6native12_GLOBAL__N_140reflection_pad2d_backward_det_out_kernelIfEEvPT_PKS3_lliiiiiii: ; @_ZN2at6native12_GLOBAL__N_140reflection_pad2d_backward_det_out_kernelIfEEvPT_PKS3_lliiiiiii
; %bb.0:
	s_clause 0x2
	s_load_b32 s2, s[0:1], 0x4c
	s_load_b64 s[4:5], s[0:1], 0x30
	s_load_b256 s[8:15], s[0:1], 0x0
	s_bfe_u32 s3, ttmp6, 0x4000c
	s_and_b32 s6, ttmp6, 15
	s_add_co_i32 s3, s3, 1
	s_getreg_b32 s7, hwreg(HW_REG_IB_STS2, 6, 4)
	s_mul_i32 s3, ttmp9, s3
	v_mov_b32_e32 v2, 0
	s_add_co_i32 s6, s6, s3
	s_mov_b32 s23, 0
	s_delay_alu instid0(VALU_DEP_1)
	v_mov_b32_e32 v1, v2
	s_wait_kmcnt 0x0
	s_and_b32 s2, s2, 0xffff
	s_cmp_eq_u32 s7, 0
	s_mul_u64 s[18:19], s[14:15], s[12:13]
	s_cselect_b32 s3, ttmp9, s6
	s_ashr_i32 s7, s4, 31
	v_mad_u32 v0, s3, s2, v0
	s_mov_b32 s6, s4
	s_ashr_i32 s17, s5, 31
	s_mov_b32 s16, s5
	s_mul_u64 s[4:5], s[18:19], s[6:7]
	s_mov_b32 s3, exec_lo
	s_mul_u64 s[20:21], s[4:5], s[16:17]
	s_delay_alu instid0(VALU_DEP_1) | instid1(SALU_CYCLE_1)
	v_cmpx_gt_i64_e64 s[20:21], v[0:1]
	s_cbranch_execz .LBB13_53
; %bb.1:
	s_load_b128 s[4:7], s[0:1], 0x20
	s_wait_xcnt 0x0
	s_add_nc_u64 s[0:1], s[0:1], 64
	s_mul_u64 s[26:27], s[18:19], s[16:17]
	s_load_b32 s22, s[0:1], 0x0
	v_cvt_f32_u32_e32 v3, s26
	s_mov_b32 s3, s23
	s_add_nc_u64 s[28:29], s[14:15], -1
	v_sub_nc_u64_e32 v[4:5], 0, v[0:1]
	v_lshlrev_b64_e32 v[6:7], 2, v[0:1]
	v_rcp_iflag_f32_e32 v3, v3
	s_add_nc_u64 s[24:25], s[12:13], -1
	s_sub_nc_u64 s[52:53], 0, s[14:15]
	s_lshl_b64 s[54:55], s[16:17], 2
	s_lshl_b64 s[56:57], s[12:13], 2
	s_mov_b64 s[60:61], 0xffffffff
	s_sub_nc_u64 s[64:65], 0, s[18:19]
	v_nop
	v_mul_f32_e32 v3, 0x4f7ffffe, v3
	s_ashr_i32 s66, s27, 31
	s_mov_b32 s33, 0
	s_wait_kmcnt 0x0
	s_ashr_i32 s31, s6, 31
	s_mov_b32 s30, s6
	s_ashr_i32 s1, s7, 31
	s_mov_b32 s0, s7
	;; [unrolled: 2-line block ×4, first 2 shown]
	s_add_nc_u64 s[4:5], s[12:13], s[30:31]
	s_add_nc_u64 s[40:41], s[14:15], s[6:7]
	s_not_b64 s[42:43], s[0:1]
	s_add_nc_u64 s[36:37], s[4:5], s[0:1]
	s_add_nc_u64 s[0:1], s[40:41], s[38:39]
	s_mul_u64 s[34:35], s[2:3], s[22:23]
	s_not_b64 s[2:3], s[38:39]
	s_add_nc_u64 s[40:41], s[12:13], s[42:43]
	s_mul_u64 s[42:43], s[36:37], s[0:1]
	s_lshl_b64 s[0:1], s[28:29], 1
	v_cvt_u32_f32_e32 v28, v3
	s_add_nc_u64 s[4:5], s[4:5], s[24:25]
	s_add_nc_u64 s[38:39], s[14:15], s[2:3]
	s_lshl_b64 s[2:3], s[24:25], 1
	s_add_nc_u64 s[48:49], s[0:1], s[6:7]
	s_lshl_b64 s[0:1], s[30:31], 2
	s_add_nc_u64 s[44:45], s[4:5], -1
	s_mul_u64 s[46:47], s[42:43], s[16:17]
	s_add_nc_u64 s[50:51], s[2:3], s[30:31]
	s_add_nc_u64 s[58:59], s[10:11], s[0:1]
	s_lshl_b64 s[62:63], s[34:35], 2
	s_branch .LBB13_4
.LBB13_2:                               ;   in Loop: Header=BB13_4 Depth=1
	s_wait_xcnt 0x0
	s_or_b32 exec_lo, exec_lo, s0
.LBB13_3:                               ;   in Loop: Header=BB13_4 Depth=1
	s_delay_alu instid0(SALU_CYCLE_1) | instskip(SKIP_4) | instid1(VALU_DEP_3)
	s_or_b32 exec_lo, exec_lo, s2
	v_mul_u64_e32 v[10:11], s[56:57], v[14:15]
	v_lshlrev_b64_e32 v[12:13], 2, v[12:13]
	v_add_nc_u64_e32 v[0:1], s[34:35], v[0:1]
	v_sub_nc_u64_e64 v[4:5], v[4:5], s[34:35]
	v_mad_nc_u64_u32 v[12:13], s54, v8, v[12:13]
	s_delay_alu instid0(VALU_DEP_3) | instskip(SKIP_1) | instid1(VALU_DEP_2)
	v_cmp_le_i64_e32 vcc_lo, s[20:21], v[0:1]
	s_or_b32 s33, vcc_lo, s33
	v_mad_u32 v8, s55, v8, v13
	s_delay_alu instid0(VALU_DEP_1) | instskip(NEXT) | instid1(VALU_DEP_4)
	v_mad_u32 v8, s54, v9, v8
	v_mad_nc_u64_u32 v[10:11], s42, v12, v[10:11]
	s_delay_alu instid0(VALU_DEP_1) | instskip(NEXT) | instid1(VALU_DEP_1)
	v_mad_u32 v9, s43, v12, v11
	v_mad_u32 v11, s42, v8, v9
	s_delay_alu instid0(VALU_DEP_1) | instskip(SKIP_1) | instid1(VALU_DEP_2)
	v_lshl_add_u64 v[8:9], v[20:21], 2, v[10:11]
	v_add_nc_u64_e32 v[10:11], s[8:9], v[6:7]
	v_add_nc_u64_e32 v[8:9], v[6:7], v[8:9]
	;; [unrolled: 1-line block ×3, first 2 shown]
	s_delay_alu instid0(VALU_DEP_2)
	v_add_nc_u64_e32 v[8:9], s[58:59], v[8:9]
	global_load_b32 v8, v[8:9], off
	global_load_b32 v9, v[10:11], off
	s_wait_loadcnt 0x1
	v_add_f32_e32 v3, v3, v8
	s_wait_loadcnt 0x0
	s_delay_alu instid0(VALU_DEP_1)
	v_add_f32_e32 v3, v9, v3
	global_store_b32 v[10:11], v3, off
	s_wait_xcnt 0x0
	s_and_not1_b32 exec_lo, exec_lo, s33
	s_cbranch_execz .LBB13_53
.LBB13_4:                               ; =>This Inner Loop Header: Depth=1
	v_dual_ashrrev_i32 v12, 31, v1 :: v_dual_bitop2_b32 v3, s27, v1 bitop3:0x54
                                        ; implicit-def: $vgpr8_vgpr9
	s_mov_b32 s0, exec_lo
	s_delay_alu instid0(VALU_DEP_1)
	v_cmpx_ne_u64_e32 0, v[2:3]
	s_xor_b32 s1, exec_lo, s0
	s_cbranch_execz .LBB13_6
; %bb.5:                                ;   in Loop: Header=BB13_4 Depth=1
	s_mov_b32 s67, s66
	v_dual_mov_b32 v13, v12 :: v_dual_mov_b32 v11, v2
	s_add_nc_u64 s[2:3], s[26:27], s[66:67]
	v_mov_b32_e32 v17, v2
	s_xor_b64 s[2:3], s[2:3], s[66:67]
	s_delay_alu instid0(VALU_DEP_2) | instskip(SKIP_4) | instid1(SALU_CYCLE_1)
	v_add_nc_u64_e32 v[8:9], v[0:1], v[12:13]
	s_cvt_f32_u32 s0, s2
	s_cvt_f32_u32 s4, s3
	s_sub_nc_u64 s[68:69], 0, s[2:3]
	v_mov_b32_e32 v21, v2
	s_fmamk_f32 s0, s4, 0x4f800000, s0
	s_delay_alu instid0(VALU_DEP_2) | instskip(SKIP_1) | instid1(SALU_CYCLE_1)
	v_xor_b32_e32 v10, v8, v12
	v_xor_b32_e32 v16, v9, v12
	v_s_rcp_f32 s0, s0
	s_delay_alu instid0(TRANS32_DEP_1) | instskip(NEXT) | instid1(SALU_CYCLE_3)
	s_mul_f32 s0, s0, 0x5f7ffffc
	s_mul_f32 s4, s0, 0x2f800000
	s_delay_alu instid0(SALU_CYCLE_3) | instskip(NEXT) | instid1(SALU_CYCLE_3)
	s_trunc_f32 s4, s4
	s_fmamk_f32 s0, s4, 0xcf800000, s0
	s_cvt_u32_f32 s5, s4
	s_delay_alu instid0(SALU_CYCLE_2) | instskip(NEXT) | instid1(SALU_CYCLE_3)
	s_cvt_u32_f32 s4, s0
	s_mul_u64 s[70:71], s[68:69], s[4:5]
	s_delay_alu instid0(SALU_CYCLE_1)
	s_mul_hi_u32 s73, s4, s71
	s_mul_i32 s72, s4, s71
	s_mul_hi_u32 s22, s4, s70
	s_mul_i32 s67, s5, s70
	s_add_nc_u64 s[72:73], s[22:23], s[72:73]
	s_mul_hi_u32 s0, s5, s70
	s_mul_hi_u32 s74, s5, s71
	s_add_co_u32 s22, s72, s67
	s_add_co_ci_u32 s22, s73, s0
	s_mul_i32 s70, s5, s71
	s_add_co_ci_u32 s71, s74, 0
	s_delay_alu instid0(SALU_CYCLE_1) | instskip(NEXT) | instid1(SALU_CYCLE_1)
	s_add_nc_u64 s[70:71], s[22:23], s[70:71]
	s_add_co_u32 s4, s4, s70
	s_cselect_b32 s0, -1, 0
	s_delay_alu instid0(SALU_CYCLE_1) | instskip(SKIP_1) | instid1(SALU_CYCLE_1)
	s_cmp_lg_u32 s0, 0
	s_add_co_ci_u32 s5, s5, s71
	s_mul_u64 s[68:69], s[68:69], s[4:5]
	s_delay_alu instid0(SALU_CYCLE_1)
	s_mul_hi_u32 s71, s4, s69
	s_mul_i32 s70, s4, s69
	s_mul_hi_u32 s22, s4, s68
	s_mul_i32 s67, s5, s68
	s_add_nc_u64 s[70:71], s[22:23], s[70:71]
	s_mul_hi_u32 s0, s5, s68
	s_mul_hi_u32 s72, s5, s69
	s_add_co_u32 s22, s70, s67
	s_add_co_ci_u32 s22, s71, s0
	s_mul_i32 s68, s5, s69
	s_add_co_ci_u32 s69, s72, 0
	s_delay_alu instid0(SALU_CYCLE_1) | instskip(NEXT) | instid1(SALU_CYCLE_1)
	s_add_nc_u64 s[68:69], s[22:23], s[68:69]
	s_add_co_u32 s0, s4, s68
	s_cselect_b32 s4, -1, 0
	v_nop
	v_mul_hi_u32 v20, v10, s0
	s_cmp_lg_u32 s4, 0
	s_add_co_ci_u32 s22, s5, s69
	s_and_b64 s[4:5], s[0:1], s[60:61]
	v_mul_u64_e32 v[14:15], s[22:23], v[10:11]
	v_mul_u64_e32 v[8:9], s[4:5], v[16:17]
	;; [unrolled: 1-line block ×3, first 2 shown]
	s_delay_alu instid0(VALU_DEP_3) | instskip(NEXT) | instid1(VALU_DEP_1)
	v_add_nc_u64_e32 v[14:15], v[20:21], v[14:15]
	v_add_co_u32 v3, vcc_lo, v14, v8
	s_delay_alu instid0(VALU_DEP_2) | instskip(NEXT) | instid1(VALU_DEP_4)
	v_add_co_ci_u32_e32 v20, vcc_lo, v15, v9, vcc_lo
	v_add_co_ci_u32_e32 v19, vcc_lo, 0, v19, vcc_lo
	s_delay_alu instid0(VALU_DEP_1) | instskip(NEXT) | instid1(VALU_DEP_1)
	v_add_nc_u64_e32 v[8:9], v[20:21], v[18:19]
	v_mul_u64_e32 v[14:15], s[2:3], v[8:9]
	s_delay_alu instid0(VALU_DEP_1) | instskip(NEXT) | instid1(VALU_DEP_2)
	v_sub_nc_u32_e32 v3, v16, v15
	v_sub_co_u32 v10, vcc_lo, v10, v14
	s_delay_alu instid0(VALU_DEP_1) | instskip(NEXT) | instid1(VALU_DEP_3)
	v_sub_co_ci_u32_e64 v13, null, v16, v15, vcc_lo
	v_subrev_co_ci_u32_e64 v3, null, s3, v3, vcc_lo
	s_delay_alu instid0(VALU_DEP_3) | instskip(NEXT) | instid1(VALU_DEP_1)
	v_sub_co_u32 v11, s0, v10, s2
	v_subrev_co_ci_u32_e64 v3, null, 0, v3, s0
	s_delay_alu instid0(VALU_DEP_2) | instskip(SKIP_1) | instid1(VALU_DEP_3)
	v_cmp_le_u32_e32 vcc_lo, s2, v11
	v_cndmask_b32_e64 v11, 0, -1, vcc_lo
	v_cmp_le_u32_e32 vcc_lo, s3, v3
	v_cndmask_b32_e64 v14, 0, -1, vcc_lo
	;; [unrolled: 2-line block ×4, first 2 shown]
	v_cmp_eq_u32_e32 vcc_lo, s3, v3
	v_cndmask_b32_e32 v3, v14, v11, vcc_lo
	v_cmp_eq_u32_e32 vcc_lo, s3, v13
	v_add_nc_u64_e32 v[10:11], 2, v[8:9]
	v_add_nc_u64_e32 v[14:15], 1, v[8:9]
	v_cndmask_b32_e32 v13, v17, v16, vcc_lo
	v_cmp_ne_u32_e32 vcc_lo, 0, v3
	s_delay_alu instid0(VALU_DEP_2) | instskip(NEXT) | instid1(VALU_DEP_4)
	v_cmp_ne_u32_e64 s0, 0, v13
	v_dual_cndmask_b32 v3, v15, v11, vcc_lo :: v_dual_cndmask_b32 v11, v14, v10, vcc_lo
	s_delay_alu instid0(VALU_DEP_1) | instskip(NEXT) | instid1(VALU_DEP_1)
	v_dual_cndmask_b32 v3, v9, v3, s0 :: v_dual_bitop2_b32 v10, s66, v12 bitop3:0x14
	v_dual_cndmask_b32 v8, v8, v11, s0 :: v_dual_mov_b32 v11, v10
	s_delay_alu instid0(VALU_DEP_2) | instskip(NEXT) | instid1(VALU_DEP_2)
	v_xor_b32_e32 v9, v3, v10
	v_xor_b32_e32 v8, v8, v10
	s_delay_alu instid0(VALU_DEP_1)
	v_sub_nc_u64_e32 v[8:9], v[8:9], v[10:11]
.LBB13_6:                               ;   in Loop: Header=BB13_4 Depth=1
	s_and_not1_saveexec_b32 s0, s1
	s_cbranch_execz .LBB13_8
; %bb.7:                                ;   in Loop: Header=BB13_4 Depth=1
	s_sub_co_i32 s1, 0, s26
	s_delay_alu instid0(SALU_CYCLE_1) | instskip(NEXT) | instid1(VALU_DEP_1)
	v_mul_lo_u32 v3, s1, v28
	v_mul_hi_u32 v3, v28, v3
	s_delay_alu instid0(VALU_DEP_1) | instskip(NEXT) | instid1(VALU_DEP_1)
	v_add_nc_u32_e32 v3, v28, v3
	v_mul_hi_u32 v3, v0, v3
	s_delay_alu instid0(VALU_DEP_1) | instskip(NEXT) | instid1(VALU_DEP_1)
	v_mul_lo_u32 v8, v3, s26
	v_dual_add_nc_u32 v9, 1, v3 :: v_dual_sub_nc_u32 v8, v0, v8
	s_delay_alu instid0(VALU_DEP_1) | instskip(SKIP_1) | instid1(VALU_DEP_2)
	v_subrev_nc_u32_e32 v10, s26, v8
	v_cmp_le_u32_e32 vcc_lo, s26, v8
	v_dual_cndmask_b32 v8, v8, v10 :: v_dual_cndmask_b32 v3, v3, v9
	s_delay_alu instid0(VALU_DEP_1) | instskip(NEXT) | instid1(VALU_DEP_2)
	v_cmp_le_u32_e32 vcc_lo, s26, v8
	v_add_nc_u32_e32 v9, 1, v3
	s_delay_alu instid0(VALU_DEP_1)
	v_dual_cndmask_b32 v8, v3, v9 :: v_dual_mov_b32 v9, v2
.LBB13_8:                               ;   in Loop: Header=BB13_4 Depth=1
	s_or_b32 exec_lo, exec_lo, s0
	v_or_b32_e32 v3, s19, v1
                                        ; implicit-def: $vgpr10_vgpr11
	s_mov_b32 s0, exec_lo
	s_delay_alu instid0(VALU_DEP_1)
	v_cmpx_ne_u64_e32 0, v[2:3]
	s_xor_b32 s1, exec_lo, s0
	s_cbranch_execz .LBB13_10
; %bb.9:                                ;   in Loop: Header=BB13_4 Depth=1
	s_ashr_i32 s2, s19, 31
	v_dual_mov_b32 v13, v12 :: v_dual_mov_b32 v15, v2
	s_mov_b32 s3, s2
	v_mov_b32_e32 v23, v2
	s_add_nc_u64 s[4:5], s[18:19], s[2:3]
	s_delay_alu instid0(VALU_DEP_2)
	v_add_nc_u64_e32 v[10:11], v[0:1], v[12:13]
	s_xor_b64 s[4:5], s[4:5], s[2:3]
	v_mov_b32_e32 v19, v2
	s_cvt_f32_u32 s0, s4
	s_cvt_f32_u32 s3, s5
	s_sub_nc_u64 s[70:71], 0, s[4:5]
	s_delay_alu instid0(VALU_DEP_2) | instskip(NEXT) | instid1(SALU_CYCLE_1)
	v_xor_b32_e32 v14, v10, v12
	s_fmamk_f32 s0, s3, 0x4f800000, s0
	v_xor_b32_e32 v18, v11, v12
	v_xor_b32_e32 v12, s2, v12
	s_delay_alu instid0(SALU_CYCLE_1) | instskip(NEXT) | instid1(TRANS32_DEP_1)
	v_s_rcp_f32 s0, s0
	s_mul_f32 s0, s0, 0x5f7ffffc
	s_delay_alu instid0(SALU_CYCLE_3) | instskip(NEXT) | instid1(SALU_CYCLE_3)
	s_mul_f32 s3, s0, 0x2f800000
	s_trunc_f32 s3, s3
	s_delay_alu instid0(SALU_CYCLE_3) | instskip(SKIP_1) | instid1(SALU_CYCLE_2)
	s_fmamk_f32 s0, s3, 0xcf800000, s0
	s_cvt_u32_f32 s69, s3
	s_cvt_u32_f32 s68, s0
	s_delay_alu instid0(SALU_CYCLE_3) | instskip(NEXT) | instid1(SALU_CYCLE_1)
	s_mul_u64 s[72:73], s[70:71], s[68:69]
	s_mul_hi_u32 s75, s68, s73
	s_mul_i32 s74, s68, s73
	s_mul_hi_u32 s22, s68, s72
	s_mul_i32 s3, s69, s72
	s_add_nc_u64 s[74:75], s[22:23], s[74:75]
	s_mul_hi_u32 s0, s69, s72
	s_mul_hi_u32 s67, s69, s73
	s_add_co_u32 s3, s74, s3
	s_add_co_ci_u32 s22, s75, s0
	s_mul_i32 s72, s69, s73
	s_add_co_ci_u32 s73, s67, 0
	s_delay_alu instid0(SALU_CYCLE_1) | instskip(NEXT) | instid1(SALU_CYCLE_1)
	s_add_nc_u64 s[72:73], s[22:23], s[72:73]
	s_add_co_u32 s68, s68, s72
	s_cselect_b32 s0, -1, 0
	s_delay_alu instid0(SALU_CYCLE_1) | instskip(SKIP_1) | instid1(SALU_CYCLE_1)
	s_cmp_lg_u32 s0, 0
	s_add_co_ci_u32 s69, s69, s73
	s_mul_u64 s[70:71], s[70:71], s[68:69]
	s_delay_alu instid0(SALU_CYCLE_1)
	s_mul_hi_u32 s73, s68, s71
	s_mul_i32 s72, s68, s71
	s_mul_hi_u32 s22, s68, s70
	s_mul_i32 s3, s69, s70
	s_add_nc_u64 s[72:73], s[22:23], s[72:73]
	s_mul_hi_u32 s0, s69, s70
	s_mul_hi_u32 s67, s69, s71
	s_add_co_u32 s3, s72, s3
	s_add_co_ci_u32 s22, s73, s0
	s_mul_i32 s70, s69, s71
	s_add_co_ci_u32 s71, s67, 0
	s_delay_alu instid0(SALU_CYCLE_1) | instskip(NEXT) | instid1(SALU_CYCLE_1)
	s_add_nc_u64 s[70:71], s[22:23], s[70:71]
	s_add_co_u32 s0, s68, s70
	s_cselect_b32 s3, -1, 0
	v_nop
	v_mul_hi_u32 v22, v14, s0
	s_cmp_lg_u32 s3, 0
	s_add_co_ci_u32 s22, s69, s71
	s_and_b64 s[68:69], s[0:1], s[60:61]
	v_mul_u64_e32 v[16:17], s[22:23], v[14:15]
	v_mul_u64_e32 v[10:11], s[68:69], v[18:19]
	v_mul_u64_e32 v[20:21], s[22:23], v[18:19]
	s_delay_alu instid0(VALU_DEP_3) | instskip(NEXT) | instid1(VALU_DEP_1)
	v_add_nc_u64_e32 v[16:17], v[22:23], v[16:17]
	v_add_co_u32 v3, vcc_lo, v16, v10
	s_delay_alu instid0(VALU_DEP_2) | instskip(NEXT) | instid1(VALU_DEP_4)
	v_add_co_ci_u32_e32 v22, vcc_lo, v17, v11, vcc_lo
	v_add_co_ci_u32_e32 v21, vcc_lo, 0, v21, vcc_lo
	s_delay_alu instid0(VALU_DEP_1) | instskip(NEXT) | instid1(VALU_DEP_1)
	v_add_nc_u64_e32 v[10:11], v[22:23], v[20:21]
	v_mul_u64_e32 v[16:17], s[4:5], v[10:11]
	s_delay_alu instid0(VALU_DEP_1) | instskip(NEXT) | instid1(VALU_DEP_2)
	v_sub_nc_u32_e32 v3, v18, v17
	v_sub_co_u32 v13, vcc_lo, v14, v16
	s_delay_alu instid0(VALU_DEP_1) | instskip(NEXT) | instid1(VALU_DEP_3)
	v_sub_co_ci_u32_e64 v18, null, v18, v17, vcc_lo
	v_subrev_co_ci_u32_e64 v3, null, s5, v3, vcc_lo
	s_delay_alu instid0(VALU_DEP_3) | instskip(SKIP_1) | instid1(VALU_DEP_3)
	v_sub_co_u32 v14, s0, v13, s4
	v_add_nc_u64_e32 v[16:17], 1, v[10:11]
	v_subrev_co_ci_u32_e64 v3, null, 0, v3, s0
	s_delay_alu instid0(VALU_DEP_3) | instskip(SKIP_1) | instid1(VALU_DEP_3)
	v_cmp_le_u32_e32 vcc_lo, s4, v14
	v_cndmask_b32_e64 v14, 0, -1, vcc_lo
	v_cmp_le_u32_e32 vcc_lo, s5, v3
	v_cndmask_b32_e64 v15, 0, -1, vcc_lo
	;; [unrolled: 2-line block ×4, first 2 shown]
	v_cmp_eq_u32_e32 vcc_lo, s5, v3
	v_cndmask_b32_e32 v3, v15, v14, vcc_lo
	v_cmp_eq_u32_e32 vcc_lo, s5, v18
	v_add_nc_u64_e32 v[14:15], 2, v[10:11]
	v_cndmask_b32_e32 v13, v19, v13, vcc_lo
	s_delay_alu instid0(VALU_DEP_4) | instskip(NEXT) | instid1(VALU_DEP_2)
	v_cmp_ne_u32_e32 vcc_lo, 0, v3
	v_cmp_ne_u32_e64 s0, 0, v13
	s_delay_alu instid0(VALU_DEP_4) | instskip(NEXT) | instid1(VALU_DEP_1)
	v_dual_cndmask_b32 v3, v17, v15, vcc_lo :: v_dual_cndmask_b32 v13, v16, v14, vcc_lo
	v_dual_cndmask_b32 v3, v11, v3, s0 :: v_dual_cndmask_b32 v10, v10, v13, s0
	s_delay_alu instid0(VALU_DEP_1) | instskip(NEXT) | instid1(VALU_DEP_2)
	v_dual_mov_b32 v13, v12 :: v_dual_bitop2_b32 v11, v3, v12 bitop3:0x14
	v_xor_b32_e32 v10, v10, v12
	s_delay_alu instid0(VALU_DEP_1)
	v_sub_nc_u64_e32 v[10:11], v[10:11], v[12:13]
.LBB13_10:                              ;   in Loop: Header=BB13_4 Depth=1
	s_and_not1_saveexec_b32 s0, s1
	s_cbranch_execz .LBB13_12
; %bb.11:                               ;   in Loop: Header=BB13_4 Depth=1
	v_cvt_f32_u32_e32 v3, s18
	s_sub_co_i32 s1, 0, s18
	s_delay_alu instid0(VALU_DEP_1) | instskip(SKIP_1) | instid1(TRANS32_DEP_1)
	v_rcp_iflag_f32_e32 v3, v3
	v_nop
	v_mul_f32_e32 v3, 0x4f7ffffe, v3
	s_delay_alu instid0(VALU_DEP_1) | instskip(NEXT) | instid1(VALU_DEP_1)
	v_cvt_u32_f32_e32 v3, v3
	v_mul_lo_u32 v10, s1, v3
	s_delay_alu instid0(VALU_DEP_1) | instskip(NEXT) | instid1(VALU_DEP_1)
	v_mul_hi_u32 v10, v3, v10
	v_add_nc_u32_e32 v3, v3, v10
	s_delay_alu instid0(VALU_DEP_1) | instskip(NEXT) | instid1(VALU_DEP_1)
	v_mul_hi_u32 v3, v0, v3
	v_mul_lo_u32 v10, v3, s18
	s_delay_alu instid0(VALU_DEP_1) | instskip(NEXT) | instid1(VALU_DEP_1)
	v_dual_add_nc_u32 v11, 1, v3 :: v_dual_sub_nc_u32 v10, v0, v10
	v_subrev_nc_u32_e32 v12, s18, v10
	v_cmp_le_u32_e32 vcc_lo, s18, v10
	s_delay_alu instid0(VALU_DEP_2) | instskip(NEXT) | instid1(VALU_DEP_1)
	v_dual_cndmask_b32 v10, v10, v12 :: v_dual_cndmask_b32 v3, v3, v11
	v_cmp_le_u32_e32 vcc_lo, s18, v10
	s_delay_alu instid0(VALU_DEP_2) | instskip(NEXT) | instid1(VALU_DEP_1)
	v_add_nc_u32_e32 v11, 1, v3
	v_dual_cndmask_b32 v10, v3, v11 :: v_dual_mov_b32 v11, v2
.LBB13_12:                              ;   in Loop: Header=BB13_4 Depth=1
	s_or_b32 exec_lo, exec_lo, s0
	s_delay_alu instid0(VALU_DEP_1) | instskip(SKIP_1) | instid1(VALU_DEP_1)
	v_or_b32_e32 v3, s17, v11
                                        ; implicit-def: $vgpr12_vgpr13
	s_mov_b32 s0, exec_lo
	v_cmpx_ne_u64_e32 0, v[2:3]
	s_xor_b32 s1, exec_lo, s0
	s_cbranch_execz .LBB13_14
; %bb.13:                               ;   in Loop: Header=BB13_4 Depth=1
	s_ashr_i32 s2, s17, 31
	v_dual_mov_b32 v17, v2 :: v_dual_ashrrev_i32 v12, 31, v11
	s_mov_b32 s3, s2
	s_delay_alu instid0(SALU_CYCLE_1) | instskip(NEXT) | instid1(VALU_DEP_1)
	s_add_nc_u64 s[4:5], s[16:17], s[2:3]
	v_mov_b32_e32 v13, v12
	s_xor_b64 s[2:3], s[4:5], s[2:3]
	s_delay_alu instid0(SALU_CYCLE_1)
	s_cvt_f32_u32 s0, s2
	s_cvt_f32_u32 s4, s3
	s_sub_nc_u64 s[68:69], 0, s[2:3]
	v_add_nc_u64_e32 v[14:15], v[10:11], v[12:13]
	v_mov_b32_e32 v21, v2
	s_fmamk_f32 s0, s4, 0x4f800000, s0
	s_delay_alu instid0(SALU_CYCLE_3) | instskip(NEXT) | instid1(VALU_DEP_2)
	v_s_rcp_f32 s0, s0
	v_xor_b32_e32 v16, v14, v12
	s_delay_alu instid0(VALU_DEP_3) | instskip(NEXT) | instid1(TRANS32_DEP_1)
	v_dual_mov_b32 v25, v2 :: v_dual_bitop2_b32 v20, v15, v12 bitop3:0x14
	s_mul_f32 s0, s0, 0x5f7ffffc
	s_delay_alu instid0(SALU_CYCLE_3) | instskip(NEXT) | instid1(SALU_CYCLE_3)
	s_mul_f32 s4, s0, 0x2f800000
	s_trunc_f32 s4, s4
	s_delay_alu instid0(SALU_CYCLE_3) | instskip(SKIP_1) | instid1(SALU_CYCLE_2)
	s_fmamk_f32 s0, s4, 0xcf800000, s0
	s_cvt_u32_f32 s5, s4
	s_cvt_u32_f32 s4, s0
	s_delay_alu instid0(SALU_CYCLE_3) | instskip(NEXT) | instid1(SALU_CYCLE_1)
	s_mul_u64 s[70:71], s[68:69], s[4:5]
	s_mul_hi_u32 s73, s4, s71
	s_mul_i32 s72, s4, s71
	s_mul_hi_u32 s22, s4, s70
	s_mul_i32 s67, s5, s70
	s_add_nc_u64 s[72:73], s[22:23], s[72:73]
	s_mul_hi_u32 s0, s5, s70
	s_mul_hi_u32 s74, s5, s71
	s_add_co_u32 s22, s72, s67
	s_add_co_ci_u32 s22, s73, s0
	s_mul_i32 s70, s5, s71
	s_add_co_ci_u32 s71, s74, 0
	s_delay_alu instid0(SALU_CYCLE_1) | instskip(NEXT) | instid1(SALU_CYCLE_1)
	s_add_nc_u64 s[70:71], s[22:23], s[70:71]
	s_add_co_u32 s4, s4, s70
	s_cselect_b32 s0, -1, 0
	s_delay_alu instid0(SALU_CYCLE_1) | instskip(SKIP_1) | instid1(SALU_CYCLE_1)
	s_cmp_lg_u32 s0, 0
	s_add_co_ci_u32 s5, s5, s71
	s_mul_u64 s[68:69], s[68:69], s[4:5]
	s_delay_alu instid0(SALU_CYCLE_1)
	s_mul_hi_u32 s71, s4, s69
	s_mul_i32 s70, s4, s69
	s_mul_hi_u32 s22, s4, s68
	s_mul_i32 s67, s5, s68
	s_add_nc_u64 s[70:71], s[22:23], s[70:71]
	s_mul_hi_u32 s0, s5, s68
	s_mul_hi_u32 s72, s5, s69
	s_add_co_u32 s22, s70, s67
	s_add_co_ci_u32 s22, s71, s0
	s_mul_i32 s68, s5, s69
	s_add_co_ci_u32 s69, s72, 0
	s_delay_alu instid0(SALU_CYCLE_1) | instskip(NEXT) | instid1(SALU_CYCLE_1)
	s_add_nc_u64 s[68:69], s[22:23], s[68:69]
	s_add_co_u32 s0, s4, s68
	s_cselect_b32 s4, -1, 0
	v_mul_hi_u32 v24, v16, s0
	s_cmp_lg_u32 s4, 0
	s_add_co_ci_u32 s22, s5, s69
	s_and_b64 s[4:5], s[0:1], s[60:61]
	v_mul_u64_e32 v[18:19], s[22:23], v[16:17]
	v_mul_u64_e32 v[14:15], s[4:5], v[20:21]
	;; [unrolled: 1-line block ×3, first 2 shown]
	s_delay_alu instid0(VALU_DEP_3) | instskip(NEXT) | instid1(VALU_DEP_1)
	v_add_nc_u64_e32 v[18:19], v[24:25], v[18:19]
	v_add_co_u32 v3, vcc_lo, v18, v14
	s_delay_alu instid0(VALU_DEP_2) | instskip(NEXT) | instid1(VALU_DEP_4)
	v_add_co_ci_u32_e32 v24, vcc_lo, v19, v15, vcc_lo
	v_add_co_ci_u32_e32 v23, vcc_lo, 0, v23, vcc_lo
	s_delay_alu instid0(VALU_DEP_1) | instskip(NEXT) | instid1(VALU_DEP_1)
	v_add_nc_u64_e32 v[14:15], v[24:25], v[22:23]
	v_mul_u64_e32 v[14:15], s[2:3], v[14:15]
	s_delay_alu instid0(VALU_DEP_1) | instskip(NEXT) | instid1(VALU_DEP_2)
	v_sub_nc_u32_e32 v3, v20, v15
	v_sub_co_u32 v14, vcc_lo, v16, v14
	s_delay_alu instid0(VALU_DEP_1) | instskip(NEXT) | instid1(VALU_DEP_3)
	v_sub_co_ci_u32_e64 v15, null, v20, v15, vcc_lo
	v_subrev_co_ci_u32_e64 v3, null, s3, v3, vcc_lo
	s_delay_alu instid0(VALU_DEP_3) | instskip(SKIP_1) | instid1(VALU_DEP_3)
	v_sub_co_u32 v16, vcc_lo, v14, s2
	v_cmp_le_u32_e64 s0, s2, v14
	v_subrev_co_ci_u32_e64 v17, null, 0, v3, vcc_lo
	v_subrev_co_ci_u32_e64 v3, null, s3, v3, vcc_lo
	s_delay_alu instid0(VALU_DEP_3) | instskip(SKIP_2) | instid1(VALU_DEP_2)
	v_cndmask_b32_e64 v18, 0, -1, s0
	v_cmp_le_u32_e64 s0, s2, v16
	v_cmp_le_u32_e32 vcc_lo, s3, v15
	v_cndmask_b32_e64 v19, 0, -1, s0
	v_cmp_le_u32_e64 s0, s3, v17
	v_cndmask_b32_e64 v21, 0, -1, vcc_lo
	v_cmp_eq_u32_e32 vcc_lo, s3, v17
	s_delay_alu instid0(VALU_DEP_3) | instskip(SKIP_1) | instid1(VALU_DEP_1)
	v_cndmask_b32_e64 v20, 0, -1, s0
	v_cmp_eq_u32_e64 s0, s3, v15
	v_dual_cndmask_b32 v19, v20, v19, vcc_lo :: v_dual_cndmask_b32 v18, v21, v18, s0
	v_sub_co_u32 v20, vcc_lo, v16, s2
	s_delay_alu instid0(VALU_DEP_1) | instskip(NEXT) | instid1(VALU_DEP_3)
	v_subrev_co_ci_u32_e64 v3, null, 0, v3, vcc_lo
	v_cmp_ne_u32_e32 vcc_lo, 0, v19
	s_delay_alu instid0(VALU_DEP_2) | instskip(SKIP_1) | instid1(VALU_DEP_2)
	v_dual_cndmask_b32 v3, v17, v3 :: v_dual_cndmask_b32 v16, v16, v20
	v_cmp_ne_u32_e32 vcc_lo, 0, v18
	v_dual_cndmask_b32 v3, v15, v3 :: v_dual_cndmask_b32 v14, v14, v16
	s_delay_alu instid0(VALU_DEP_1) | instskip(NEXT) | instid1(VALU_DEP_2)
	v_xor_b32_e32 v15, v3, v12
	v_xor_b32_e32 v14, v14, v12
	s_delay_alu instid0(VALU_DEP_1)
	v_sub_nc_u64_e32 v[12:13], v[14:15], v[12:13]
.LBB13_14:                              ;   in Loop: Header=BB13_4 Depth=1
	s_and_not1_saveexec_b32 s0, s1
	s_cbranch_execz .LBB13_16
; %bb.15:                               ;   in Loop: Header=BB13_4 Depth=1
	v_cvt_f32_u32_e32 v3, s16
	s_sub_co_i32 s1, 0, s16
	v_mov_b32_e32 v13, v2
	s_delay_alu instid0(VALU_DEP_2) | instskip(SKIP_1) | instid1(TRANS32_DEP_1)
	v_rcp_iflag_f32_e32 v3, v3
	v_nop
	v_mul_f32_e32 v3, 0x4f7ffffe, v3
	s_delay_alu instid0(VALU_DEP_1) | instskip(NEXT) | instid1(VALU_DEP_1)
	v_cvt_u32_f32_e32 v3, v3
	v_mul_lo_u32 v12, s1, v3
	s_delay_alu instid0(VALU_DEP_1) | instskip(NEXT) | instid1(VALU_DEP_1)
	v_mul_hi_u32 v12, v3, v12
	v_add_nc_u32_e32 v3, v3, v12
	s_delay_alu instid0(VALU_DEP_1) | instskip(NEXT) | instid1(VALU_DEP_1)
	v_mul_hi_u32 v3, v10, v3
	v_mul_lo_u32 v3, v3, s16
	s_delay_alu instid0(VALU_DEP_1) | instskip(NEXT) | instid1(VALU_DEP_1)
	v_sub_nc_u32_e32 v3, v10, v3
	v_subrev_nc_u32_e32 v12, s16, v3
	v_cmp_le_u32_e32 vcc_lo, s16, v3
	s_delay_alu instid0(VALU_DEP_2) | instskip(NEXT) | instid1(VALU_DEP_1)
	v_cndmask_b32_e32 v3, v3, v12, vcc_lo
	v_subrev_nc_u32_e32 v12, s16, v3
	v_cmp_le_u32_e32 vcc_lo, s16, v3
	s_delay_alu instid0(VALU_DEP_2)
	v_cndmask_b32_e32 v12, v3, v12, vcc_lo
.LBB13_16:                              ;   in Loop: Header=BB13_4 Depth=1
	s_or_b32 exec_lo, exec_lo, s0
	v_mad_nc_u64_u32 v[14:15], s64, v10, v[0:1]
                                        ; implicit-def: $vgpr16_vgpr17
	s_mov_b32 s0, exec_lo
	s_delay_alu instid0(VALU_DEP_1) | instskip(NEXT) | instid1(VALU_DEP_1)
	v_mad_u32 v3, s65, v10, v15
	v_mad_u32 v15, s64, v11, v3
	s_delay_alu instid0(VALU_DEP_1) | instskip(NEXT) | instid1(VALU_DEP_1)
	v_or_b32_e32 v3, s13, v15
	v_cmpx_ne_u64_e32 0, v[2:3]
	s_xor_b32 s1, exec_lo, s0
	s_cbranch_execz .LBB13_18
; %bb.17:                               ;   in Loop: Header=BB13_4 Depth=1
	s_ashr_i32 s2, s13, 31
	v_dual_mov_b32 v19, v2 :: v_dual_ashrrev_i32 v16, 31, v15
	s_mov_b32 s3, s2
	v_mov_b32_e32 v27, v2
	s_add_nc_u64 s[4:5], s[12:13], s[2:3]
	s_delay_alu instid0(VALU_DEP_2) | instskip(SKIP_1) | instid1(SALU_CYCLE_1)
	v_mov_b32_e32 v17, v16
	s_xor_b64 s[4:5], s[4:5], s[2:3]
	s_cvt_f32_u32 s0, s4
	s_cvt_f32_u32 s3, s5
	s_sub_nc_u64 s[70:71], 0, s[4:5]
	v_add_nc_u64_e32 v[14:15], v[14:15], v[16:17]
	v_mov_b32_e32 v23, v2
	s_fmamk_f32 s0, s3, 0x4f800000, s0
	s_delay_alu instid0(SALU_CYCLE_3) | instskip(NEXT) | instid1(VALU_DEP_2)
	v_s_rcp_f32 s0, s0
	v_xor_b32_e32 v18, v14, v16
	s_delay_alu instid0(VALU_DEP_3) | instskip(NEXT) | instid1(TRANS32_DEP_1)
	v_xor_b32_e32 v22, v15, v16
	s_mul_f32 s0, s0, 0x5f7ffffc
	s_delay_alu instid0(SALU_CYCLE_3) | instskip(NEXT) | instid1(SALU_CYCLE_3)
	s_mul_f32 s3, s0, 0x2f800000
	s_trunc_f32 s3, s3
	s_delay_alu instid0(SALU_CYCLE_3) | instskip(SKIP_1) | instid1(SALU_CYCLE_2)
	s_fmamk_f32 s0, s3, 0xcf800000, s0
	s_cvt_u32_f32 s69, s3
	s_cvt_u32_f32 s68, s0
	s_delay_alu instid0(SALU_CYCLE_3) | instskip(NEXT) | instid1(SALU_CYCLE_1)
	s_mul_u64 s[72:73], s[70:71], s[68:69]
	s_mul_hi_u32 s75, s68, s73
	s_mul_i32 s74, s68, s73
	s_mul_hi_u32 s22, s68, s72
	s_mul_i32 s3, s69, s72
	s_add_nc_u64 s[74:75], s[22:23], s[74:75]
	s_mul_hi_u32 s0, s69, s72
	s_mul_hi_u32 s67, s69, s73
	s_add_co_u32 s3, s74, s3
	s_add_co_ci_u32 s22, s75, s0
	s_mul_i32 s72, s69, s73
	s_add_co_ci_u32 s73, s67, 0
	s_delay_alu instid0(SALU_CYCLE_1) | instskip(NEXT) | instid1(SALU_CYCLE_1)
	s_add_nc_u64 s[72:73], s[22:23], s[72:73]
	s_add_co_u32 s68, s68, s72
	s_cselect_b32 s0, -1, 0
	s_delay_alu instid0(SALU_CYCLE_1) | instskip(SKIP_1) | instid1(SALU_CYCLE_1)
	s_cmp_lg_u32 s0, 0
	s_add_co_ci_u32 s69, s69, s73
	s_mul_u64 s[70:71], s[70:71], s[68:69]
	s_delay_alu instid0(SALU_CYCLE_1)
	s_mul_hi_u32 s73, s68, s71
	s_mul_i32 s72, s68, s71
	s_mul_hi_u32 s22, s68, s70
	s_mul_i32 s3, s69, s70
	s_add_nc_u64 s[72:73], s[22:23], s[72:73]
	s_mul_hi_u32 s0, s69, s70
	s_mul_hi_u32 s67, s69, s71
	s_add_co_u32 s3, s72, s3
	s_add_co_ci_u32 s22, s73, s0
	s_mul_i32 s70, s69, s71
	s_add_co_ci_u32 s71, s67, 0
	s_delay_alu instid0(SALU_CYCLE_1) | instskip(NEXT) | instid1(SALU_CYCLE_1)
	s_add_nc_u64 s[70:71], s[22:23], s[70:71]
	s_add_co_u32 s0, s68, s70
	s_cselect_b32 s3, -1, 0
	v_mul_hi_u32 v26, v18, s0
	s_cmp_lg_u32 s3, 0
	s_add_co_ci_u32 s22, s69, s71
	s_and_b64 s[68:69], s[0:1], s[60:61]
	v_mul_u64_e32 v[20:21], s[22:23], v[18:19]
	v_mul_u64_e32 v[14:15], s[68:69], v[22:23]
	;; [unrolled: 1-line block ×3, first 2 shown]
	s_delay_alu instid0(VALU_DEP_3) | instskip(NEXT) | instid1(VALU_DEP_1)
	v_add_nc_u64_e32 v[20:21], v[26:27], v[20:21]
	v_add_co_u32 v3, vcc_lo, v20, v14
	s_delay_alu instid0(VALU_DEP_2) | instskip(NEXT) | instid1(VALU_DEP_4)
	v_add_co_ci_u32_e32 v26, vcc_lo, v21, v15, vcc_lo
	v_add_co_ci_u32_e32 v25, vcc_lo, 0, v25, vcc_lo
	s_delay_alu instid0(VALU_DEP_1) | instskip(NEXT) | instid1(VALU_DEP_1)
	v_add_nc_u64_e32 v[14:15], v[26:27], v[24:25]
	v_mul_u64_e32 v[20:21], s[4:5], v[14:15]
	s_delay_alu instid0(VALU_DEP_1) | instskip(NEXT) | instid1(VALU_DEP_2)
	v_sub_nc_u32_e32 v3, v22, v21
	v_sub_co_u32 v17, vcc_lo, v18, v20
	s_delay_alu instid0(VALU_DEP_1) | instskip(NEXT) | instid1(VALU_DEP_3)
	v_sub_co_ci_u32_e64 v22, null, v22, v21, vcc_lo
	v_subrev_co_ci_u32_e64 v3, null, s5, v3, vcc_lo
	s_delay_alu instid0(VALU_DEP_3) | instskip(SKIP_1) | instid1(VALU_DEP_3)
	v_sub_co_u32 v18, s0, v17, s4
	v_add_nc_u64_e32 v[20:21], 1, v[14:15]
	v_subrev_co_ci_u32_e64 v3, null, 0, v3, s0
	s_delay_alu instid0(VALU_DEP_3) | instskip(SKIP_1) | instid1(VALU_DEP_3)
	v_cmp_le_u32_e32 vcc_lo, s4, v18
	v_cndmask_b32_e64 v18, 0, -1, vcc_lo
	v_cmp_le_u32_e32 vcc_lo, s5, v3
	v_cndmask_b32_e64 v19, 0, -1, vcc_lo
	;; [unrolled: 2-line block ×4, first 2 shown]
	v_cmp_eq_u32_e32 vcc_lo, s5, v3
	v_cndmask_b32_e32 v3, v19, v18, vcc_lo
	v_cmp_eq_u32_e32 vcc_lo, s5, v22
	v_add_nc_u64_e32 v[18:19], 2, v[14:15]
	v_cndmask_b32_e32 v17, v23, v17, vcc_lo
	s_delay_alu instid0(VALU_DEP_4) | instskip(NEXT) | instid1(VALU_DEP_3)
	v_cmp_ne_u32_e32 vcc_lo, 0, v3
	v_cndmask_b32_e32 v3, v21, v19, vcc_lo
	s_delay_alu instid0(VALU_DEP_3) | instskip(SKIP_1) | instid1(VALU_DEP_1)
	v_cmp_ne_u32_e64 s0, 0, v17
	v_dual_cndmask_b32 v17, v20, v18, vcc_lo :: v_dual_bitop2_b32 v16, s2, v16 bitop3:0x14
	v_dual_cndmask_b32 v3, v15, v3, s0 :: v_dual_cndmask_b32 v14, v14, v17, s0
	s_delay_alu instid0(VALU_DEP_1) | instskip(NEXT) | instid1(VALU_DEP_2)
	v_dual_mov_b32 v17, v16 :: v_dual_bitop2_b32 v15, v3, v16 bitop3:0x14
	v_xor_b32_e32 v14, v14, v16
	s_delay_alu instid0(VALU_DEP_1)
	v_sub_nc_u64_e32 v[16:17], v[14:15], v[16:17]
                                        ; implicit-def: $vgpr14_vgpr15
.LBB13_18:                              ;   in Loop: Header=BB13_4 Depth=1
	s_and_not1_saveexec_b32 s0, s1
	s_cbranch_execz .LBB13_20
; %bb.19:                               ;   in Loop: Header=BB13_4 Depth=1
	v_cvt_f32_u32_e32 v3, s12
	s_sub_co_i32 s1, 0, s12
	v_mov_b32_e32 v17, v2
	s_delay_alu instid0(VALU_DEP_2) | instskip(SKIP_1) | instid1(TRANS32_DEP_1)
	v_rcp_iflag_f32_e32 v3, v3
	v_nop
	v_mul_f32_e32 v3, 0x4f7ffffe, v3
	s_delay_alu instid0(VALU_DEP_1) | instskip(NEXT) | instid1(VALU_DEP_1)
	v_cvt_u32_f32_e32 v3, v3
	v_mul_lo_u32 v15, s1, v3
	s_delay_alu instid0(VALU_DEP_1) | instskip(NEXT) | instid1(VALU_DEP_1)
	v_mul_hi_u32 v15, v3, v15
	v_add_nc_u32_e32 v3, v3, v15
	s_delay_alu instid0(VALU_DEP_1) | instskip(NEXT) | instid1(VALU_DEP_1)
	v_mul_hi_u32 v3, v14, v3
	v_mul_lo_u32 v15, v3, s12
	s_delay_alu instid0(VALU_DEP_1) | instskip(SKIP_1) | instid1(VALU_DEP_2)
	v_sub_nc_u32_e32 v14, v14, v15
	v_add_nc_u32_e32 v15, 1, v3
	v_subrev_nc_u32_e32 v16, s12, v14
	v_cmp_le_u32_e32 vcc_lo, s12, v14
	s_delay_alu instid0(VALU_DEP_2) | instskip(NEXT) | instid1(VALU_DEP_1)
	v_dual_cndmask_b32 v14, v14, v16 :: v_dual_cndmask_b32 v3, v3, v15
	v_cmp_le_u32_e32 vcc_lo, s12, v14
	s_delay_alu instid0(VALU_DEP_2) | instskip(NEXT) | instid1(VALU_DEP_1)
	v_add_nc_u32_e32 v15, 1, v3
	v_cndmask_b32_e32 v16, v3, v15, vcc_lo
.LBB13_20:                              ;   in Loop: Header=BB13_4 Depth=1
	s_or_b32 exec_lo, exec_lo, s0
	v_mul_u64_e32 v[14:15], s[52:53], v[10:11]
	v_mul_u64_e32 v[20:21], s[18:19], v[10:11]
	s_delay_alu instid0(VALU_DEP_3)
	v_mul_u64_e32 v[24:25], s[12:13], v[16:17]
	v_cmp_lt_i64_e32 vcc_lo, 0, v[16:17]
	v_cmp_ge_i64_e64 s0, s[6:7], v[16:17]
	v_mov_b32_e32 v3, 0
	s_and_b32 s0, vcc_lo, s0
	v_sub_nc_u64_e32 v[14:15], v[14:15], v[16:17]
	v_sub_nc_u64_e32 v[20:21], v[0:1], v[20:21]
	s_delay_alu instid0(VALU_DEP_2) | instskip(NEXT) | instid1(VALU_DEP_2)
	v_mul_u64_e32 v[18:19], s[12:13], v[14:15]
	v_sub_nc_u64_e32 v[20:21], v[20:21], v[24:25]
	s_delay_alu instid0(VALU_DEP_2) | instskip(SKIP_1) | instid1(VALU_DEP_2)
	v_add_nc_u64_e32 v[22:23], v[0:1], v[18:19]
	v_cmp_eq_u64_e64 s1, v[18:19], v[4:5]
	v_cmp_lt_i64_e64 s2, s[30:31], v[22:23]
	v_cmp_gt_i64_e64 s3, s[24:25], v[22:23]
	v_cmp_le_i64_e64 s4, s[40:41], v[22:23]
	v_add_nc_u64_e32 v[22:23], s[30:31], v[0:1]
	s_or_b32 s2, s1, s2
	s_and_b32 s1, s3, s4
	s_and_saveexec_b32 s3, s0
	s_cbranch_execz .LBB13_28
; %bb.21:                               ;   in Loop: Header=BB13_4 Depth=1
	v_sub_nc_u64_e32 v[24:25], s[6:7], v[16:17]
	v_mov_b32_e32 v3, 0
	s_mov_b32 s0, exec_lo
	s_delay_alu instid0(VALU_DEP_2) | instskip(NEXT) | instid1(VALU_DEP_1)
	v_mul_u64_e32 v[24:25], s[36:37], v[24:25]
	v_add_nc_u64_e32 v[26:27], v[18:19], v[24:25]
	s_delay_alu instid0(VALU_DEP_1) | instskip(NEXT) | instid1(VALU_DEP_1)
	v_add_nc_u64_e32 v[26:27], v[22:23], v[26:27]
	v_cmpx_gt_i64_e64 s[42:43], v[26:27]
	s_cbranch_execz .LBB13_23
; %bb.22:                               ;   in Loop: Header=BB13_4 Depth=1
	v_mul_u64_e32 v[30:31], s[46:47], v[8:9]
	v_mul_u64_e32 v[32:33], s[42:43], v[12:13]
	s_delay_alu instid0(VALU_DEP_2) | instskip(NEXT) | instid1(VALU_DEP_1)
	v_lshl_add_u64 v[30:31], v[30:31], 2, s[10:11]
	v_lshl_add_u64 v[30:31], v[32:33], 2, v[30:31]
	s_delay_alu instid0(VALU_DEP_1)
	v_lshl_add_u64 v[26:27], v[26:27], 2, v[30:31]
	global_load_b32 v3, v[26:27], off
	s_wait_loadcnt 0x0
	v_add_f32_e32 v3, 0, v3
.LBB13_23:                              ;   in Loop: Header=BB13_4 Depth=1
	s_wait_xcnt 0x0
	s_or_b32 exec_lo, exec_lo, s0
	s_mov_b32 s5, 0
                                        ; implicit-def: $vgpr26_vgpr27
	s_and_saveexec_b32 s0, s2
	s_delay_alu instid0(SALU_CYCLE_1)
	s_xor_b32 s4, exec_lo, s0
	s_cbranch_execnz .LBB13_45
; %bb.24:                               ;   in Loop: Header=BB13_4 Depth=1
	s_and_not1_saveexec_b32 s4, s4
	s_cbranch_execnz .LBB13_48
.LBB13_25:                              ;   in Loop: Header=BB13_4 Depth=1
	s_or_b32 exec_lo, exec_lo, s4
	s_and_saveexec_b32 s0, s5
	s_cbranch_execz .LBB13_27
.LBB13_26:                              ;   in Loop: Header=BB13_4 Depth=1
	v_mul_u64_e32 v[24:25], s[46:47], v[8:9]
	v_mul_u64_e32 v[30:31], s[42:43], v[12:13]
	s_delay_alu instid0(VALU_DEP_2) | instskip(NEXT) | instid1(VALU_DEP_1)
	v_lshl_add_u64 v[24:25], v[24:25], 2, s[10:11]
	v_lshl_add_u64 v[24:25], v[30:31], 2, v[24:25]
	s_delay_alu instid0(VALU_DEP_1)
	v_lshl_add_u64 v[24:25], v[26:27], 2, v[24:25]
	global_load_b32 v24, v[24:25], off
	s_wait_loadcnt 0x0
	v_add_f32_e32 v3, v3, v24
.LBB13_27:                              ;   in Loop: Header=BB13_4 Depth=1
	s_wait_xcnt 0x0
	s_or_b32 exec_lo, exec_lo, s0
.LBB13_28:                              ;   in Loop: Header=BB13_4 Depth=1
	s_delay_alu instid0(SALU_CYCLE_1) | instskip(SKIP_3) | instid1(SALU_CYCLE_1)
	s_or_b32 exec_lo, exec_lo, s3
	v_cmp_gt_i64_e32 vcc_lo, s[28:29], v[16:17]
	v_cmp_le_i64_e64 s0, s[38:39], v[16:17]
	s_and_b32 s0, vcc_lo, s0
	s_and_saveexec_b32 s3, s0
	s_cbranch_execz .LBB13_36
; %bb.29:                               ;   in Loop: Header=BB13_4 Depth=1
	v_sub_nc_u64_e32 v[24:25], s[48:49], v[16:17]
	s_delay_alu instid0(VALU_DEP_1) | instskip(NEXT) | instid1(VALU_DEP_1)
	v_mul_u64_e32 v[24:25], s[36:37], v[24:25]
	v_add_nc_u64_e32 v[26:27], v[24:25], v[18:19]
	s_delay_alu instid0(VALU_DEP_1) | instskip(NEXT) | instid1(VALU_DEP_1)
	v_add_nc_u64_e32 v[22:23], v[22:23], v[26:27]
	v_cmp_lt_i64_e32 vcc_lo, -1, v[22:23]
	v_cmp_gt_i64_e64 s0, s[42:43], v[22:23]
	s_and_b32 s4, vcc_lo, s0
	s_delay_alu instid0(SALU_CYCLE_1)
	s_and_saveexec_b32 s0, s4
	s_cbranch_execz .LBB13_31
; %bb.30:                               ;   in Loop: Header=BB13_4 Depth=1
	v_mul_u64_e32 v[26:27], s[46:47], v[8:9]
	v_mul_u64_e32 v[30:31], s[42:43], v[12:13]
	s_delay_alu instid0(VALU_DEP_2) | instskip(NEXT) | instid1(VALU_DEP_1)
	v_lshl_add_u64 v[26:27], v[26:27], 2, s[10:11]
	v_lshl_add_u64 v[26:27], v[30:31], 2, v[26:27]
	s_delay_alu instid0(VALU_DEP_1)
	v_lshl_add_u64 v[22:23], v[22:23], 2, v[26:27]
	global_load_b32 v22, v[22:23], off
	s_wait_loadcnt 0x0
	v_add_f32_e32 v3, v3, v22
.LBB13_31:                              ;   in Loop: Header=BB13_4 Depth=1
	s_wait_xcnt 0x0
	s_or_b32 exec_lo, exec_lo, s0
	s_mov_b32 s5, 0
                                        ; implicit-def: $vgpr22_vgpr23
	s_and_saveexec_b32 s0, s2
	s_delay_alu instid0(SALU_CYCLE_1)
	s_xor_b32 s4, exec_lo, s0
	s_cbranch_execnz .LBB13_49
; %bb.32:                               ;   in Loop: Header=BB13_4 Depth=1
	s_and_not1_saveexec_b32 s4, s4
	s_cbranch_execnz .LBB13_52
.LBB13_33:                              ;   in Loop: Header=BB13_4 Depth=1
	s_or_b32 exec_lo, exec_lo, s4
	s_and_saveexec_b32 s0, s5
	s_cbranch_execz .LBB13_35
.LBB13_34:                              ;   in Loop: Header=BB13_4 Depth=1
	v_mul_u64_e32 v[20:21], s[46:47], v[8:9]
	v_mul_u64_e32 v[24:25], s[42:43], v[12:13]
	s_delay_alu instid0(VALU_DEP_2) | instskip(NEXT) | instid1(VALU_DEP_1)
	v_lshl_add_u64 v[20:21], v[20:21], 2, s[10:11]
	v_lshl_add_u64 v[20:21], v[24:25], 2, v[20:21]
	s_delay_alu instid0(VALU_DEP_1)
	v_lshl_add_u64 v[20:21], v[22:23], 2, v[20:21]
	global_load_b32 v20, v[20:21], off
	s_wait_loadcnt 0x0
	v_add_f32_e32 v3, v3, v20
.LBB13_35:                              ;   in Loop: Header=BB13_4 Depth=1
	s_wait_xcnt 0x0
	s_or_b32 exec_lo, exec_lo, s0
.LBB13_36:                              ;   in Loop: Header=BB13_4 Depth=1
	s_delay_alu instid0(SALU_CYCLE_1) | instskip(SKIP_1) | instid1(VALU_DEP_1)
	s_or_b32 exec_lo, exec_lo, s3
	v_add_nc_u64_e32 v[22:23], s[6:7], v[16:17]
	v_mul_u64_e32 v[20:21], s[36:37], v[22:23]
	s_and_saveexec_b32 s0, s2
	s_delay_alu instid0(SALU_CYCLE_1)
	s_xor_b32 s0, exec_lo, s0
	s_cbranch_execnz .LBB13_39
; %bb.37:                               ;   in Loop: Header=BB13_4 Depth=1
	s_or_saveexec_b32 s2, s0
	v_add_nc_u64_e32 v[22:23], s[30:31], v[4:5]
	s_xor_b32 exec_lo, exec_lo, s2
	s_cbranch_execnz .LBB13_40
.LBB13_38:                              ;   in Loop: Header=BB13_4 Depth=1
	s_or_b32 exec_lo, exec_lo, s2
	s_and_saveexec_b32 s2, s1
	s_cbranch_execz .LBB13_3
	s_branch .LBB13_43
.LBB13_39:                              ;   in Loop: Header=BB13_4 Depth=1
	v_mul_u64_e32 v[20:21], s[36:37], v[22:23]
                                        ; implicit-def: $vgpr18_vgpr19
	s_or_saveexec_b32 s2, s0
	v_add_nc_u64_e32 v[22:23], s[30:31], v[4:5]
	s_xor_b32 exec_lo, exec_lo, s2
	s_cbranch_execz .LBB13_38
.LBB13_40:                              ;   in Loop: Header=BB13_4 Depth=1
	s_delay_alu instid0(VALU_DEP_2) | instskip(NEXT) | instid1(VALU_DEP_1)
	v_sub_nc_u64_e32 v[18:19], v[20:21], v[18:19]
	v_add_nc_u64_e32 v[18:19], v[22:23], v[18:19]
	s_delay_alu instid0(VALU_DEP_1) | instskip(SKIP_2) | instid1(SALU_CYCLE_1)
	v_cmp_lt_i64_e32 vcc_lo, -1, v[18:19]
	v_cmp_gt_i64_e64 s0, s[42:43], v[18:19]
	s_and_b32 s3, vcc_lo, s0
	s_and_saveexec_b32 s0, s3
	s_cbranch_execz .LBB13_42
; %bb.41:                               ;   in Loop: Header=BB13_4 Depth=1
	v_mul_u64_e32 v[24:25], s[46:47], v[8:9]
	v_mul_u64_e32 v[26:27], s[42:43], v[12:13]
	s_delay_alu instid0(VALU_DEP_2) | instskip(NEXT) | instid1(VALU_DEP_1)
	v_lshl_add_u64 v[24:25], v[24:25], 2, s[10:11]
	v_lshl_add_u64 v[24:25], v[26:27], 2, v[24:25]
	s_delay_alu instid0(VALU_DEP_1)
	v_lshl_add_u64 v[18:19], v[18:19], 2, v[24:25]
	global_load_b32 v18, v[18:19], off
	s_wait_loadcnt 0x0
	v_add_f32_e32 v3, v3, v18
.LBB13_42:                              ;   in Loop: Header=BB13_4 Depth=1
	s_wait_xcnt 0x0
	s_or_b32 exec_lo, exec_lo, s0
	s_delay_alu instid0(SALU_CYCLE_1)
	s_or_b32 exec_lo, exec_lo, s2
	s_and_saveexec_b32 s2, s1
	s_cbranch_execz .LBB13_3
.LBB13_43:                              ;   in Loop: Header=BB13_4 Depth=1
	v_mad_nc_u64_u32 v[16:17], s14, v10, v[16:17]
	s_delay_alu instid0(VALU_DEP_1) | instskip(NEXT) | instid1(VALU_DEP_1)
	v_mad_u32 v10, s15, v10, v17
	v_mad_u32 v17, s14, v11, v10
	s_delay_alu instid0(VALU_DEP_1) | instskip(NEXT) | instid1(VALU_DEP_1)
	v_add_nc_u64_e32 v[10:11], 2, v[16:17]
	v_mad_nc_u64_u32 v[16:17], s12, v10, v[20:21]
	s_delay_alu instid0(VALU_DEP_1) | instskip(NEXT) | instid1(VALU_DEP_1)
	v_mad_u32 v10, s13, v10, v17
	v_mad_u32 v17, s12, v11, v10
	s_delay_alu instid0(VALU_DEP_1) | instskip(NEXT) | instid1(VALU_DEP_1)
	v_add_nc_u64_e32 v[10:11], v[22:23], v[16:17]
	v_add_nc_u64_e32 v[10:11], -2, v[10:11]
	s_delay_alu instid0(VALU_DEP_1) | instskip(SKIP_2) | instid1(SALU_CYCLE_1)
	v_cmp_lt_i64_e32 vcc_lo, -1, v[10:11]
	v_cmp_gt_i64_e64 s0, s[42:43], v[10:11]
	s_and_b32 s1, vcc_lo, s0
	s_and_saveexec_b32 s0, s1
	s_cbranch_execz .LBB13_2
; %bb.44:                               ;   in Loop: Header=BB13_4 Depth=1
	v_mul_u64_e32 v[16:17], s[46:47], v[8:9]
	v_mul_u64_e32 v[18:19], s[42:43], v[12:13]
	s_delay_alu instid0(VALU_DEP_2) | instskip(NEXT) | instid1(VALU_DEP_1)
	v_lshl_add_u64 v[16:17], v[16:17], 2, s[10:11]
	v_lshl_add_u64 v[16:17], v[18:19], 2, v[16:17]
	s_delay_alu instid0(VALU_DEP_1)
	v_lshl_add_u64 v[10:11], v[10:11], 2, v[16:17]
	global_load_b32 v10, v[10:11], off
	s_wait_loadcnt 0x0
	v_add_f32_e32 v3, v3, v10
	s_branch .LBB13_2
.LBB13_45:                              ;   in Loop: Header=BB13_4 Depth=1
	s_mov_b32 s0, 0
                                        ; implicit-def: $vgpr26_vgpr27
	s_and_saveexec_b32 s5, s1
	s_delay_alu instid0(SALU_CYCLE_1)
	s_xor_b32 s5, exec_lo, s5
	s_cbranch_execz .LBB13_47
; %bb.46:                               ;   in Loop: Header=BB13_4 Depth=1
	v_mad_nc_u64_u32 v[26:27], s14, v10, v[16:17]
	s_delay_alu instid0(VALU_DEP_1) | instskip(NEXT) | instid1(VALU_DEP_1)
	v_mad_u32 v27, s15, v10, v27
	v_mad_u32 v27, s14, v11, v27
	s_delay_alu instid0(VALU_DEP_1) | instskip(NEXT) | instid1(VALU_DEP_1)
	v_add_nc_u64_e32 v[26:27], 2, v[26:27]
	v_mad_nc_u64_u32 v[30:31], s12, v26, v[24:25]
	s_delay_alu instid0(VALU_DEP_1) | instskip(NEXT) | instid1(VALU_DEP_1)
	v_mad_u32 v26, s13, v26, v31
	v_mad_u32 v31, s12, v27, v26
	v_add_nc_u64_e32 v[26:27], s[30:31], v[4:5]
	s_delay_alu instid0(VALU_DEP_1) | instskip(SKIP_1) | instid1(VALU_DEP_2)
	v_add_nc_u64_e32 v[26:27], v[26:27], v[30:31]
	v_sub_nc_u64_e32 v[30:31], s[44:45], v[20:21]
	v_add_nc_u64_e32 v[26:27], -2, v[26:27]
	s_delay_alu instid0(VALU_DEP_1) | instskip(SKIP_1) | instid1(VALU_DEP_4)
	v_cmp_lt_i64_e32 vcc_lo, -1, v[26:27]
	v_cmp_gt_i64_e64 s0, s[42:43], v[26:27]
	v_add_nc_u64_e32 v[26:27], v[30:31], v[24:25]
	s_and_b32 s0, vcc_lo, s0
	s_delay_alu instid0(SALU_CYCLE_1)
	s_and_b32 s0, s0, exec_lo
.LBB13_47:                              ;   in Loop: Header=BB13_4 Depth=1
	s_or_b32 exec_lo, exec_lo, s5
	s_delay_alu instid0(SALU_CYCLE_1)
	s_and_b32 s5, s0, exec_lo
                                        ; implicit-def: $vgpr24_vgpr25
	s_and_not1_saveexec_b32 s4, s4
	s_cbranch_execz .LBB13_25
.LBB13_48:                              ;   in Loop: Header=BB13_4 Depth=1
	v_sub_nc_u64_e32 v[24:25], v[24:25], v[18:19]
	v_add_nc_u64_e32 v[26:27], s[30:31], v[4:5]
	s_and_not1_b32 s5, s5, exec_lo
	s_delay_alu instid0(VALU_DEP_1) | instskip(NEXT) | instid1(VALU_DEP_1)
	v_add_nc_u64_e32 v[26:27], v[26:27], v[24:25]
	v_cmp_lt_i64_e32 vcc_lo, -1, v[26:27]
	v_cmp_gt_i64_e64 s0, s[42:43], v[26:27]
	s_and_b32 s0, vcc_lo, s0
	s_delay_alu instid0(SALU_CYCLE_1) | instskip(NEXT) | instid1(SALU_CYCLE_1)
	s_and_b32 s0, s0, exec_lo
	s_or_b32 s5, s5, s0
	s_or_b32 exec_lo, exec_lo, s4
	s_and_saveexec_b32 s0, s5
	s_cbranch_execnz .LBB13_26
	s_branch .LBB13_27
.LBB13_49:                              ;   in Loop: Header=BB13_4 Depth=1
	s_mov_b32 s0, 0
                                        ; implicit-def: $vgpr22_vgpr23
	s_and_saveexec_b32 s5, s1
	s_delay_alu instid0(SALU_CYCLE_1)
	s_xor_b32 s5, exec_lo, s5
	s_cbranch_execz .LBB13_51
; %bb.50:                               ;   in Loop: Header=BB13_4 Depth=1
	v_mad_nc_u64_u32 v[22:23], s14, v10, v[16:17]
	s_delay_alu instid0(VALU_DEP_1) | instskip(NEXT) | instid1(VALU_DEP_1)
	v_mad_u32 v23, s15, v10, v23
	v_mad_u32 v23, s14, v11, v23
	s_delay_alu instid0(VALU_DEP_1) | instskip(NEXT) | instid1(VALU_DEP_1)
	v_add_nc_u64_e32 v[22:23], 2, v[22:23]
	v_mad_nc_u64_u32 v[26:27], s12, v22, v[24:25]
	v_add_nc_u64_e32 v[24:25], s[50:51], v[24:25]
	s_delay_alu instid0(VALU_DEP_2) | instskip(NEXT) | instid1(VALU_DEP_1)
	v_mad_u32 v22, s13, v22, v27
	v_mad_u32 v27, s12, v23, v22
	v_add_nc_u64_e32 v[22:23], s[30:31], v[4:5]
	s_delay_alu instid0(VALU_DEP_1) | instskip(NEXT) | instid1(VALU_DEP_1)
	v_add_nc_u64_e32 v[22:23], v[22:23], v[26:27]
	v_add_nc_u64_e32 v[22:23], -2, v[22:23]
	s_delay_alu instid0(VALU_DEP_1) | instskip(SKIP_3) | instid1(SALU_CYCLE_1)
	v_cmp_lt_i64_e32 vcc_lo, -1, v[22:23]
	v_cmp_gt_i64_e64 s0, s[42:43], v[22:23]
	v_sub_nc_u64_e32 v[22:23], v[24:25], v[20:21]
	s_and_b32 s0, vcc_lo, s0
	s_and_b32 s0, s0, exec_lo
.LBB13_51:                              ;   in Loop: Header=BB13_4 Depth=1
	s_or_b32 exec_lo, exec_lo, s5
	s_delay_alu instid0(SALU_CYCLE_1)
	s_and_b32 s5, s0, exec_lo
                                        ; implicit-def: $vgpr24_vgpr25
	s_and_not1_saveexec_b32 s4, s4
	s_cbranch_execz .LBB13_33
.LBB13_52:                              ;   in Loop: Header=BB13_4 Depth=1
	v_sub_nc_u64_e32 v[20:21], v[24:25], v[18:19]
	v_add_nc_u64_e32 v[22:23], s[30:31], v[4:5]
	s_and_not1_b32 s5, s5, exec_lo
	s_delay_alu instid0(VALU_DEP_1) | instskip(NEXT) | instid1(VALU_DEP_1)
	v_add_nc_u64_e32 v[22:23], v[22:23], v[20:21]
	v_cmp_lt_i64_e32 vcc_lo, -1, v[22:23]
	v_cmp_gt_i64_e64 s0, s[42:43], v[22:23]
	s_and_b32 s0, vcc_lo, s0
	s_delay_alu instid0(SALU_CYCLE_1) | instskip(NEXT) | instid1(SALU_CYCLE_1)
	s_and_b32 s0, s0, exec_lo
	s_or_b32 s5, s5, s0
	s_or_b32 exec_lo, exec_lo, s4
	s_and_saveexec_b32 s0, s5
	s_cbranch_execnz .LBB13_34
	s_branch .LBB13_35
.LBB13_53:
	s_endpgm
	.section	.rodata,"a",@progbits
	.p2align	6, 0x0
	.amdhsa_kernel _ZN2at6native12_GLOBAL__N_140reflection_pad2d_backward_det_out_kernelIfEEvPT_PKS3_lliiiiiii
		.amdhsa_group_segment_fixed_size 0
		.amdhsa_private_segment_fixed_size 0
		.amdhsa_kernarg_size 320
		.amdhsa_user_sgpr_count 2
		.amdhsa_user_sgpr_dispatch_ptr 0
		.amdhsa_user_sgpr_queue_ptr 0
		.amdhsa_user_sgpr_kernarg_segment_ptr 1
		.amdhsa_user_sgpr_dispatch_id 0
		.amdhsa_user_sgpr_kernarg_preload_length 0
		.amdhsa_user_sgpr_kernarg_preload_offset 0
		.amdhsa_user_sgpr_private_segment_size 0
		.amdhsa_wavefront_size32 1
		.amdhsa_uses_dynamic_stack 0
		.amdhsa_enable_private_segment 0
		.amdhsa_system_sgpr_workgroup_id_x 1
		.amdhsa_system_sgpr_workgroup_id_y 0
		.amdhsa_system_sgpr_workgroup_id_z 0
		.amdhsa_system_sgpr_workgroup_info 0
		.amdhsa_system_vgpr_workitem_id 0
		.amdhsa_next_free_vgpr 34
		.amdhsa_next_free_sgpr 76
		.amdhsa_named_barrier_count 0
		.amdhsa_reserve_vcc 1
		.amdhsa_float_round_mode_32 0
		.amdhsa_float_round_mode_16_64 0
		.amdhsa_float_denorm_mode_32 3
		.amdhsa_float_denorm_mode_16_64 3
		.amdhsa_fp16_overflow 0
		.amdhsa_memory_ordered 1
		.amdhsa_forward_progress 1
		.amdhsa_inst_pref_size 39
		.amdhsa_round_robin_scheduling 0
		.amdhsa_exception_fp_ieee_invalid_op 0
		.amdhsa_exception_fp_denorm_src 0
		.amdhsa_exception_fp_ieee_div_zero 0
		.amdhsa_exception_fp_ieee_overflow 0
		.amdhsa_exception_fp_ieee_underflow 0
		.amdhsa_exception_fp_ieee_inexact 0
		.amdhsa_exception_int_div_zero 0
	.end_amdhsa_kernel
	.section	.text._ZN2at6native12_GLOBAL__N_140reflection_pad2d_backward_det_out_kernelIfEEvPT_PKS3_lliiiiiii,"axG",@progbits,_ZN2at6native12_GLOBAL__N_140reflection_pad2d_backward_det_out_kernelIfEEvPT_PKS3_lliiiiiii,comdat
.Lfunc_end13:
	.size	_ZN2at6native12_GLOBAL__N_140reflection_pad2d_backward_det_out_kernelIfEEvPT_PKS3_lliiiiiii, .Lfunc_end13-_ZN2at6native12_GLOBAL__N_140reflection_pad2d_backward_det_out_kernelIfEEvPT_PKS3_lliiiiiii
                                        ; -- End function
	.set _ZN2at6native12_GLOBAL__N_140reflection_pad2d_backward_det_out_kernelIfEEvPT_PKS3_lliiiiiii.num_vgpr, 34
	.set _ZN2at6native12_GLOBAL__N_140reflection_pad2d_backward_det_out_kernelIfEEvPT_PKS3_lliiiiiii.num_agpr, 0
	.set _ZN2at6native12_GLOBAL__N_140reflection_pad2d_backward_det_out_kernelIfEEvPT_PKS3_lliiiiiii.numbered_sgpr, 76
	.set _ZN2at6native12_GLOBAL__N_140reflection_pad2d_backward_det_out_kernelIfEEvPT_PKS3_lliiiiiii.num_named_barrier, 0
	.set _ZN2at6native12_GLOBAL__N_140reflection_pad2d_backward_det_out_kernelIfEEvPT_PKS3_lliiiiiii.private_seg_size, 0
	.set _ZN2at6native12_GLOBAL__N_140reflection_pad2d_backward_det_out_kernelIfEEvPT_PKS3_lliiiiiii.uses_vcc, 1
	.set _ZN2at6native12_GLOBAL__N_140reflection_pad2d_backward_det_out_kernelIfEEvPT_PKS3_lliiiiiii.uses_flat_scratch, 0
	.set _ZN2at6native12_GLOBAL__N_140reflection_pad2d_backward_det_out_kernelIfEEvPT_PKS3_lliiiiiii.has_dyn_sized_stack, 0
	.set _ZN2at6native12_GLOBAL__N_140reflection_pad2d_backward_det_out_kernelIfEEvPT_PKS3_lliiiiiii.has_recursion, 0
	.set _ZN2at6native12_GLOBAL__N_140reflection_pad2d_backward_det_out_kernelIfEEvPT_PKS3_lliiiiiii.has_indirect_call, 0
	.section	.AMDGPU.csdata,"",@progbits
; Kernel info:
; codeLenInByte = 4936
; TotalNumSgprs: 78
; NumVgprs: 34
; ScratchSize: 0
; MemoryBound: 0
; FloatMode: 240
; IeeeMode: 1
; LDSByteSize: 0 bytes/workgroup (compile time only)
; SGPRBlocks: 0
; VGPRBlocks: 2
; NumSGPRsForWavesPerEU: 78
; NumVGPRsForWavesPerEU: 34
; NamedBarCnt: 0
; Occupancy: 16
; WaveLimiterHint : 0
; COMPUTE_PGM_RSRC2:SCRATCH_EN: 0
; COMPUTE_PGM_RSRC2:USER_SGPR: 2
; COMPUTE_PGM_RSRC2:TRAP_HANDLER: 0
; COMPUTE_PGM_RSRC2:TGID_X_EN: 1
; COMPUTE_PGM_RSRC2:TGID_Y_EN: 0
; COMPUTE_PGM_RSRC2:TGID_Z_EN: 0
; COMPUTE_PGM_RSRC2:TIDIG_COMP_CNT: 0
	.section	.text._ZN2at6native12_GLOBAL__N_136reflection_pad2d_backward_out_kernelIfEEvPT_PKS3_lliiiiiii,"axG",@progbits,_ZN2at6native12_GLOBAL__N_136reflection_pad2d_backward_out_kernelIfEEvPT_PKS3_lliiiiiii,comdat
	.globl	_ZN2at6native12_GLOBAL__N_136reflection_pad2d_backward_out_kernelIfEEvPT_PKS3_lliiiiiii ; -- Begin function _ZN2at6native12_GLOBAL__N_136reflection_pad2d_backward_out_kernelIfEEvPT_PKS3_lliiiiiii
	.p2align	8
	.type	_ZN2at6native12_GLOBAL__N_136reflection_pad2d_backward_out_kernelIfEEvPT_PKS3_lliiiiiii,@function
_ZN2at6native12_GLOBAL__N_136reflection_pad2d_backward_out_kernelIfEEvPT_PKS3_lliiiiiii: ; @_ZN2at6native12_GLOBAL__N_136reflection_pad2d_backward_out_kernelIfEEvPT_PKS3_lliiiiiii
; %bb.0:
	s_clause 0x2
	s_load_b32 s2, s[0:1], 0x4c
	s_load_b128 s[24:27], s[0:1], 0x20
	s_load_b256 s[4:11], s[0:1], 0x0
	s_bfe_u32 s3, ttmp6, 0x4000c
	s_and_b32 s12, ttmp6, 15
	s_add_co_i32 s3, s3, 1
	s_getreg_b32 s15, hwreg(HW_REG_IB_STS2, 6, 4)
	s_mul_i32 s3, ttmp9, s3
	v_mov_b32_e32 v1, 0
	s_add_co_i32 s3, s12, s3
	s_wait_kmcnt 0x0
	s_and_b32 s14, s2, 0xffff
	s_cmp_eq_u32 s15, 0
	s_mov_b32 s2, s26
	s_cselect_b32 s16, ttmp9, s3
	s_ashr_i32 s3, s26, 31
	v_mad_u32 v0, s16, s14, v0
	s_mov_b32 s12, s27
	s_ashr_i32 s13, s27, 31
	s_add_nc_u64 s[16:17], s[8:9], s[2:3]
	s_ashr_i32 s19, s24, 31
	s_mov_b32 s18, s24
	s_add_nc_u64 s[22:23], s[16:17], s[12:13]
	s_add_nc_u64 s[20:21], s[10:11], s[18:19]
	s_ashr_i32 s13, s25, 31
	s_mov_b32 s12, s25
	s_delay_alu instid0(SALU_CYCLE_1) | instskip(NEXT) | instid1(SALU_CYCLE_1)
	s_add_nc_u64 s[24:25], s[20:21], s[12:13]
	s_mul_u64 s[12:13], s[22:23], s[24:25]
	s_delay_alu instid0(SALU_CYCLE_1)
	v_cmp_gt_i64_e32 vcc_lo, s[12:13], v[0:1]
	s_and_saveexec_b32 s12, vcc_lo
	s_cbranch_execz .LBB14_5
; %bb.1:
	s_load_b96 s[12:14], s[0:1], 0x30
	s_wait_xcnt 0x0
	s_and_b64 s[0:1], s[22:23], 0xffffffff00000000
	s_delay_alu instid0(SALU_CYCLE_1)
	s_cmp_lg_u64 s[0:1], 0
	s_cbranch_scc0 .LBB14_6
; %bb.2:
	s_ashr_i32 s26, s23, 31
	v_add_nc_u64_e32 v[2:3], 0, v[0:1]
	s_mov_b32 s27, s26
	v_mov_b32_e32 v5, 0
	s_add_nc_u64 s[0:1], s[22:23], s[26:27]
	s_delay_alu instid0(SALU_CYCLE_1) | instskip(NEXT) | instid1(VALU_DEP_2)
	s_xor_b64 s[28:29], s[0:1], s[26:27]
	v_mov_b32_e32 v4, v2
	s_cvt_f32_u32 s0, s28
	s_cvt_f32_u32 s1, s29
	s_sub_nc_u64 s[34:35], 0, s[28:29]
	s_delay_alu instid0(SALU_CYCLE_2) | instskip(NEXT) | instid1(SALU_CYCLE_3)
	s_fmamk_f32 s0, s1, 0x4f800000, s0
	v_s_rcp_f32 s0, s0
	s_delay_alu instid0(TRANS32_DEP_1) | instskip(NEXT) | instid1(SALU_CYCLE_3)
	s_mul_f32 s0, s0, 0x5f7ffffc
	s_mul_f32 s1, s0, 0x2f800000
	s_delay_alu instid0(SALU_CYCLE_3) | instskip(NEXT) | instid1(SALU_CYCLE_3)
	s_trunc_f32 s1, s1
	s_fmamk_f32 s0, s1, 0xcf800000, s0
	s_cvt_u32_f32 s31, s1
	s_mov_b32 s1, 0
	s_delay_alu instid0(SALU_CYCLE_1) | instskip(NEXT) | instid1(SALU_CYCLE_3)
	s_cvt_u32_f32 s30, s0
	s_mul_u64 s[36:37], s[34:35], s[30:31]
	s_delay_alu instid0(SALU_CYCLE_1)
	s_mul_hi_u32 s39, s30, s37
	s_mul_i32 s38, s30, s37
	s_mul_hi_u32 s0, s30, s36
	s_mul_i32 s33, s31, s36
	s_add_nc_u64 s[38:39], s[0:1], s[38:39]
	s_mul_hi_u32 s27, s31, s36
	s_mul_hi_u32 s40, s31, s37
	s_add_co_u32 s0, s38, s33
	s_add_co_ci_u32 s0, s39, s27
	s_mul_i32 s36, s31, s37
	s_add_co_ci_u32 s37, s40, 0
	s_delay_alu instid0(SALU_CYCLE_1) | instskip(NEXT) | instid1(SALU_CYCLE_1)
	s_add_nc_u64 s[36:37], s[0:1], s[36:37]
	s_add_co_u32 s30, s30, s36
	s_cselect_b32 s0, -1, 0
	s_delay_alu instid0(SALU_CYCLE_1) | instskip(SKIP_1) | instid1(SALU_CYCLE_1)
	s_cmp_lg_u32 s0, 0
	s_add_co_ci_u32 s31, s31, s37
	s_mul_u64 s[34:35], s[34:35], s[30:31]
	s_delay_alu instid0(SALU_CYCLE_1)
	s_mul_hi_u32 s37, s30, s35
	s_mul_i32 s36, s30, s35
	s_mul_hi_u32 s0, s30, s34
	s_mul_i32 s33, s31, s34
	s_add_nc_u64 s[36:37], s[0:1], s[36:37]
	s_mul_hi_u32 s27, s31, s34
	s_mul_hi_u32 s38, s31, s35
	s_add_co_u32 s0, s36, s33
	s_add_co_ci_u32 s0, s37, s27
	s_mul_i32 s34, s31, s35
	s_add_co_ci_u32 s35, s38, 0
	s_delay_alu instid0(SALU_CYCLE_1) | instskip(NEXT) | instid1(SALU_CYCLE_1)
	s_add_nc_u64 s[34:35], s[0:1], s[34:35]
	s_add_co_u32 s30, s30, s34
	s_cselect_b32 s0, -1, 0
	s_delay_alu instid0(SALU_CYCLE_1)
	s_cmp_lg_u32 s0, 0
	s_add_co_ci_u32 s0, s31, s35
	s_mov_b64 s[34:35], 0xffffffff
	v_nop
	v_mul_u64_e32 v[6:7], s[0:1], v[4:5]
	v_mul_hi_u32 v4, v2, s30
	s_and_b64 s[30:31], s[30:31], s[34:35]
	s_delay_alu instid0(VALU_DEP_1) | instskip(SKIP_1) | instid1(VALU_DEP_1)
	v_add_nc_u64_e32 v[6:7], v[4:5], v[6:7]
	v_mov_b32_e32 v4, v3
	v_mul_u64_e32 v[8:9], s[30:31], v[4:5]
	v_mul_u64_e32 v[10:11], s[0:1], v[4:5]
	s_delay_alu instid0(VALU_DEP_2) | instskip(NEXT) | instid1(VALU_DEP_3)
	v_add_co_u32 v4, vcc_lo, v6, v8
	v_add_co_ci_u32_e32 v4, vcc_lo, v7, v9, vcc_lo
	s_delay_alu instid0(VALU_DEP_3) | instskip(NEXT) | instid1(VALU_DEP_1)
	v_add_co_ci_u32_e32 v11, vcc_lo, 0, v11, vcc_lo
	v_add_nc_u64_e32 v[4:5], v[4:5], v[10:11]
	s_delay_alu instid0(VALU_DEP_1) | instskip(NEXT) | instid1(VALU_DEP_1)
	v_mul_u64_e32 v[6:7], s[28:29], v[4:5]
	v_sub_nc_u32_e32 v8, v3, v7
	s_delay_alu instid0(VALU_DEP_2) | instskip(NEXT) | instid1(VALU_DEP_1)
	v_sub_co_u32 v2, vcc_lo, v2, v6
	v_sub_co_ci_u32_e64 v7, null, v3, v7, vcc_lo
	s_delay_alu instid0(VALU_DEP_3) | instskip(NEXT) | instid1(VALU_DEP_3)
	v_subrev_co_ci_u32_e64 v6, null, s29, v8, vcc_lo
	v_sub_co_u32 v10, s0, v2, s28
	v_cmp_le_u32_e32 vcc_lo, s28, v2
	s_delay_alu instid0(VALU_DEP_3) | instskip(NEXT) | instid1(VALU_DEP_3)
	v_subrev_co_ci_u32_e64 v6, null, 0, v6, s0
	v_cmp_le_u32_e64 s0, s28, v10
	v_add_nc_u64_e32 v[8:9], 2, v[4:5]
	v_cndmask_b32_e64 v12, 0, -1, vcc_lo
	s_delay_alu instid0(VALU_DEP_4) | instskip(SKIP_3) | instid1(VALU_DEP_1)
	v_cmp_eq_u32_e32 vcc_lo, s29, v6
	v_add_nc_u64_e32 v[2:3], 1, v[4:5]
	v_cndmask_b32_e64 v10, 0, -1, s0
	v_cmp_le_u32_e64 s0, s29, v6
	v_cndmask_b32_e64 v11, 0, -1, s0
	v_cmp_eq_u32_e64 s0, s29, v7
	s_delay_alu instid0(VALU_DEP_2) | instskip(SKIP_2) | instid1(VALU_DEP_3)
	v_cndmask_b32_e32 v6, v11, v10, vcc_lo
	v_cmp_le_u32_e32 vcc_lo, s29, v7
	v_cndmask_b32_e64 v10, 0, -1, vcc_lo
	v_cmp_ne_u32_e32 vcc_lo, 0, v6
	s_delay_alu instid0(VALU_DEP_2) | instskip(SKIP_1) | instid1(VALU_DEP_2)
	v_dual_cndmask_b32 v6, v10, v12, s0 :: v_dual_cndmask_b32 v3, v3, v9, vcc_lo
	v_cndmask_b32_e32 v2, v2, v8, vcc_lo
	v_cmp_ne_u32_e32 vcc_lo, 0, v6
	s_delay_alu instid0(VALU_DEP_2) | instskip(SKIP_1) | instid1(VALU_DEP_2)
	v_dual_cndmask_b32 v5, v5, v3 :: v_dual_cndmask_b32 v4, v4, v2
	v_dual_mov_b32 v3, s26 :: v_dual_mov_b32 v2, s26
	v_xor_b32_e32 v5, s26, v5
	s_delay_alu instid0(VALU_DEP_3) | instskip(NEXT) | instid1(VALU_DEP_1)
	v_xor_b32_e32 v4, s26, v4
	v_sub_nc_u64_e32 v[2:3], v[4:5], v[2:3]
	s_cbranch_execnz .LBB14_4
.LBB14_3:
	v_cvt_f32_u32_e32 v2, s22
	s_sub_co_i32 s0, 0, s22
	s_delay_alu instid0(VALU_DEP_1) | instskip(SKIP_1) | instid1(TRANS32_DEP_1)
	v_rcp_iflag_f32_e32 v2, v2
	v_nop
	v_mul_f32_e32 v2, 0x4f7ffffe, v2
	s_delay_alu instid0(VALU_DEP_1) | instskip(NEXT) | instid1(VALU_DEP_1)
	v_cvt_u32_f32_e32 v2, v2
	v_mul_lo_u32 v3, s0, v2
	s_delay_alu instid0(VALU_DEP_1) | instskip(NEXT) | instid1(VALU_DEP_1)
	v_mul_hi_u32 v3, v2, v3
	v_add_nc_u32_e32 v2, v2, v3
	s_delay_alu instid0(VALU_DEP_1) | instskip(NEXT) | instid1(VALU_DEP_1)
	v_mul_hi_u32 v2, v0, v2
	v_mul_lo_u32 v3, v2, s22
	s_delay_alu instid0(VALU_DEP_1) | instskip(NEXT) | instid1(VALU_DEP_1)
	v_dual_add_nc_u32 v4, 1, v2 :: v_dual_sub_nc_u32 v3, v0, v3
	v_subrev_nc_u32_e32 v5, s22, v3
	v_cmp_le_u32_e32 vcc_lo, s22, v3
	s_delay_alu instid0(VALU_DEP_2) | instskip(NEXT) | instid1(VALU_DEP_1)
	v_dual_cndmask_b32 v3, v3, v5 :: v_dual_cndmask_b32 v2, v2, v4
	v_cmp_le_u32_e32 vcc_lo, s22, v3
	s_delay_alu instid0(VALU_DEP_2) | instskip(NEXT) | instid1(VALU_DEP_1)
	v_dual_mov_b32 v3, 0 :: v_dual_add_nc_u32 v4, 1, v2
	v_cndmask_b32_e32 v2, v2, v4, vcc_lo
.LBB14_4:
	s_bfe_u32 s0, ttmp6, 0x40010
	s_bfe_u32 s26, ttmp6, 0x40014
	s_and_b32 s1, ttmp7, 0xffff
	s_add_co_i32 s0, s0, 1
	s_lshr_b32 s27, ttmp7, 16
	s_add_co_i32 s26, s26, 1
	s_mul_i32 s0, s1, s0
	s_bfe_u32 s28, ttmp6, 0x40004
	s_mul_i32 s26, s27, s26
	s_bfe_u32 s29, ttmp6, 0x40008
	s_add_co_i32 s28, s28, s0
	s_add_co_i32 s29, s29, s26
	s_cmp_eq_u32 s15, 0
	v_mul_u64_e32 v[6:7], s[22:23], v[2:3]
	s_cselect_b32 s0, s27, s29
	s_cselect_b32 s1, s1, s28
	s_wait_kmcnt 0x0
	s_add_co_i32 s0, s13, s0
	s_add_co_i32 s1, s12, s1
	s_mul_i32 s0, s0, s14
	v_sub_nc_u64_e64 v[12:13], v[2:3], s[18:19]
	s_add_co_i32 s0, s1, s0
	s_mov_b32 s1, 0
	v_mad_nc_u64_u32 v[4:5], s24, s0, v[2:3]
	s_delay_alu instid0(VALU_DEP_1) | instskip(SKIP_1) | instid1(VALU_DEP_1)
	v_mad_u32 v5, s25, s0, v5
	s_mul_u64 s[0:1], s[10:11], s[0:1]
	v_mul_u64_e32 v[4:5], s[22:23], v[4:5]
	v_sub_nc_u64_e32 v[0:1], v[0:1], v[6:7]
	v_sub_nc_u64_e64 v[6:7], v[2:3], s[20:21]
	s_delay_alu instid0(VALU_DEP_2) | instskip(NEXT) | instid1(VALU_DEP_2)
	v_sub_nc_u64_e64 v[14:15], v[0:1], s[16:17]
	v_add_nc_u64_e32 v[10:11], 1, v[6:7]
	v_not_b32_e32 v7, v7
	v_not_b32_e32 v6, v6
	s_delay_alu instid0(VALU_DEP_4) | instskip(NEXT) | instid1(VALU_DEP_2)
	v_add_nc_u64_e32 v[16:17], 1, v[14:15]
	v_max_i64 v[6:7], v[10:11], v[6:7]
	v_sub_nc_u64_e32 v[10:11], 0, v[12:13]
	v_not_b32_e32 v15, v15
	v_not_b32_e32 v14, v14
	s_delay_alu instid0(VALU_DEP_3) | instskip(SKIP_3) | instid1(SALU_CYCLE_1)
	v_max_i64 v[10:11], v[12:13], v[10:11]
	v_max_i64 v[12:13], s[2:3], 0
	v_lshl_add_u64 v[4:5], v[4:5], 2, s[6:7]
	s_sub_nc_u64 s[6:7], 0, s[18:19]
	v_max_i64 v[8:9], s[6:7], 0
	s_add_nc_u64 s[6:7], s[20:21], s[18:19]
	s_delay_alu instid0(VALU_DEP_2)
	v_lshl_add_u64 v[4:5], v[0:1], 2, v[4:5]
	global_load_b32 v18, v[4:5], off
	s_wait_xcnt 0x0
	v_max_i64 v[4:5], s[18:19], 0
	v_add_nc_u64_e32 v[2:3], v[2:3], v[6:7]
	v_sub_nc_u64_e64 v[6:7], v[0:1], s[2:3]
	s_delay_alu instid0(VALU_DEP_3) | instskip(NEXT) | instid1(VALU_DEP_4)
	v_not_b32_e32 v4, v4
	v_not_b32_e32 v5, v5
	s_delay_alu instid0(VALU_DEP_1) | instskip(SKIP_1) | instid1(VALU_DEP_1)
	v_add_nc_u64_e32 v[4:5], s[6:7], v[4:5]
	s_sub_nc_u64 s[6:7], 0, s[2:3]
	v_add_nc_u64_e32 v[4:5], v[4:5], v[8:9]
	v_max_i64 v[8:9], v[16:17], v[14:15]
	v_max_i64 v[14:15], s[6:7], 0
	s_delay_alu instid0(VALU_DEP_3) | instskip(SKIP_1) | instid1(VALU_DEP_1)
	v_add_nc_u64_e32 v[4:5], s[0:1], v[4:5]
	s_add_nc_u64 s[0:1], s[16:17], s[2:3]
	v_sub_nc_u64_e32 v[2:3], v[4:5], v[2:3]
	v_sub_nc_u64_e32 v[4:5], 0, v[6:7]
	s_delay_alu instid0(VALU_DEP_2) | instskip(NEXT) | instid1(VALU_DEP_2)
	v_add_nc_u64_e32 v[2:3], v[2:3], v[10:11]
	v_max_i64 v[4:5], v[6:7], v[4:5]
	v_not_b32_e32 v6, v12
	v_not_b32_e32 v7, v13
	s_delay_alu instid0(VALU_DEP_4) | instskip(NEXT) | instid1(VALU_DEP_2)
	v_mul_u64_e32 v[2:3], s[8:9], v[2:3]
	v_add_nc_u64_e32 v[6:7], s[0:1], v[6:7]
	v_add_nc_u64_e32 v[0:1], v[0:1], v[8:9]
	s_delay_alu instid0(VALU_DEP_2) | instskip(NEXT) | instid1(VALU_DEP_1)
	v_add_nc_u64_e32 v[6:7], v[6:7], v[14:15]
	v_sub_nc_u64_e32 v[0:1], v[6:7], v[0:1]
	s_delay_alu instid0(VALU_DEP_1) | instskip(NEXT) | instid1(VALU_DEP_1)
	v_lshl_add_u64 v[0:1], v[0:1], 2, s[4:5]
	v_lshl_add_u64 v[0:1], v[4:5], 2, v[0:1]
	s_delay_alu instid0(VALU_DEP_1)
	v_lshl_add_u64 v[0:1], v[2:3], 2, v[0:1]
	s_wait_loadcnt 0x0
	global_atomic_add_f32 v[0:1], v18, off scope:SCOPE_DEV
.LBB14_5:
	s_endpgm
.LBB14_6:
                                        ; implicit-def: $vgpr2_vgpr3
	s_branch .LBB14_3
	.section	.rodata,"a",@progbits
	.p2align	6, 0x0
	.amdhsa_kernel _ZN2at6native12_GLOBAL__N_136reflection_pad2d_backward_out_kernelIfEEvPT_PKS3_lliiiiiii
		.amdhsa_group_segment_fixed_size 0
		.amdhsa_private_segment_fixed_size 0
		.amdhsa_kernarg_size 320
		.amdhsa_user_sgpr_count 2
		.amdhsa_user_sgpr_dispatch_ptr 0
		.amdhsa_user_sgpr_queue_ptr 0
		.amdhsa_user_sgpr_kernarg_segment_ptr 1
		.amdhsa_user_sgpr_dispatch_id 0
		.amdhsa_user_sgpr_kernarg_preload_length 0
		.amdhsa_user_sgpr_kernarg_preload_offset 0
		.amdhsa_user_sgpr_private_segment_size 0
		.amdhsa_wavefront_size32 1
		.amdhsa_uses_dynamic_stack 0
		.amdhsa_enable_private_segment 0
		.amdhsa_system_sgpr_workgroup_id_x 1
		.amdhsa_system_sgpr_workgroup_id_y 1
		.amdhsa_system_sgpr_workgroup_id_z 1
		.amdhsa_system_sgpr_workgroup_info 0
		.amdhsa_system_vgpr_workitem_id 0
		.amdhsa_next_free_vgpr 19
		.amdhsa_next_free_sgpr 41
		.amdhsa_named_barrier_count 0
		.amdhsa_reserve_vcc 1
		.amdhsa_float_round_mode_32 0
		.amdhsa_float_round_mode_16_64 0
		.amdhsa_float_denorm_mode_32 3
		.amdhsa_float_denorm_mode_16_64 3
		.amdhsa_fp16_overflow 0
		.amdhsa_memory_ordered 1
		.amdhsa_forward_progress 1
		.amdhsa_inst_pref_size 11
		.amdhsa_round_robin_scheduling 0
		.amdhsa_exception_fp_ieee_invalid_op 0
		.amdhsa_exception_fp_denorm_src 0
		.amdhsa_exception_fp_ieee_div_zero 0
		.amdhsa_exception_fp_ieee_overflow 0
		.amdhsa_exception_fp_ieee_underflow 0
		.amdhsa_exception_fp_ieee_inexact 0
		.amdhsa_exception_int_div_zero 0
	.end_amdhsa_kernel
	.section	.text._ZN2at6native12_GLOBAL__N_136reflection_pad2d_backward_out_kernelIfEEvPT_PKS3_lliiiiiii,"axG",@progbits,_ZN2at6native12_GLOBAL__N_136reflection_pad2d_backward_out_kernelIfEEvPT_PKS3_lliiiiiii,comdat
.Lfunc_end14:
	.size	_ZN2at6native12_GLOBAL__N_136reflection_pad2d_backward_out_kernelIfEEvPT_PKS3_lliiiiiii, .Lfunc_end14-_ZN2at6native12_GLOBAL__N_136reflection_pad2d_backward_out_kernelIfEEvPT_PKS3_lliiiiiii
                                        ; -- End function
	.set _ZN2at6native12_GLOBAL__N_136reflection_pad2d_backward_out_kernelIfEEvPT_PKS3_lliiiiiii.num_vgpr, 19
	.set _ZN2at6native12_GLOBAL__N_136reflection_pad2d_backward_out_kernelIfEEvPT_PKS3_lliiiiiii.num_agpr, 0
	.set _ZN2at6native12_GLOBAL__N_136reflection_pad2d_backward_out_kernelIfEEvPT_PKS3_lliiiiiii.numbered_sgpr, 41
	.set _ZN2at6native12_GLOBAL__N_136reflection_pad2d_backward_out_kernelIfEEvPT_PKS3_lliiiiiii.num_named_barrier, 0
	.set _ZN2at6native12_GLOBAL__N_136reflection_pad2d_backward_out_kernelIfEEvPT_PKS3_lliiiiiii.private_seg_size, 0
	.set _ZN2at6native12_GLOBAL__N_136reflection_pad2d_backward_out_kernelIfEEvPT_PKS3_lliiiiiii.uses_vcc, 1
	.set _ZN2at6native12_GLOBAL__N_136reflection_pad2d_backward_out_kernelIfEEvPT_PKS3_lliiiiiii.uses_flat_scratch, 0
	.set _ZN2at6native12_GLOBAL__N_136reflection_pad2d_backward_out_kernelIfEEvPT_PKS3_lliiiiiii.has_dyn_sized_stack, 0
	.set _ZN2at6native12_GLOBAL__N_136reflection_pad2d_backward_out_kernelIfEEvPT_PKS3_lliiiiiii.has_recursion, 0
	.set _ZN2at6native12_GLOBAL__N_136reflection_pad2d_backward_out_kernelIfEEvPT_PKS3_lliiiiiii.has_indirect_call, 0
	.section	.AMDGPU.csdata,"",@progbits
; Kernel info:
; codeLenInByte = 1376
; TotalNumSgprs: 43
; NumVgprs: 19
; ScratchSize: 0
; MemoryBound: 0
; FloatMode: 240
; IeeeMode: 1
; LDSByteSize: 0 bytes/workgroup (compile time only)
; SGPRBlocks: 0
; VGPRBlocks: 1
; NumSGPRsForWavesPerEU: 43
; NumVGPRsForWavesPerEU: 19
; NamedBarCnt: 0
; Occupancy: 16
; WaveLimiterHint : 0
; COMPUTE_PGM_RSRC2:SCRATCH_EN: 0
; COMPUTE_PGM_RSRC2:USER_SGPR: 2
; COMPUTE_PGM_RSRC2:TRAP_HANDLER: 0
; COMPUTE_PGM_RSRC2:TGID_X_EN: 1
; COMPUTE_PGM_RSRC2:TGID_Y_EN: 1
; COMPUTE_PGM_RSRC2:TGID_Z_EN: 1
; COMPUTE_PGM_RSRC2:TIDIG_COMP_CNT: 0
	.section	.text._ZN2at6native12_GLOBAL__N_140reflection_pad2d_backward_det_out_kernelIN3c107complexIdEEEEvPT_PKS6_lliiiiiii,"axG",@progbits,_ZN2at6native12_GLOBAL__N_140reflection_pad2d_backward_det_out_kernelIN3c107complexIdEEEEvPT_PKS6_lliiiiiii,comdat
	.globl	_ZN2at6native12_GLOBAL__N_140reflection_pad2d_backward_det_out_kernelIN3c107complexIdEEEEvPT_PKS6_lliiiiiii ; -- Begin function _ZN2at6native12_GLOBAL__N_140reflection_pad2d_backward_det_out_kernelIN3c107complexIdEEEEvPT_PKS6_lliiiiiii
	.p2align	8
	.type	_ZN2at6native12_GLOBAL__N_140reflection_pad2d_backward_det_out_kernelIN3c107complexIdEEEEvPT_PKS6_lliiiiiii,@function
_ZN2at6native12_GLOBAL__N_140reflection_pad2d_backward_det_out_kernelIN3c107complexIdEEEEvPT_PKS6_lliiiiiii: ; @_ZN2at6native12_GLOBAL__N_140reflection_pad2d_backward_det_out_kernelIN3c107complexIdEEEEvPT_PKS6_lliiiiiii
; %bb.0:
	s_clause 0x2
	s_load_b32 s2, s[0:1], 0x4c
	s_load_b64 s[4:5], s[0:1], 0x30
	s_load_b256 s[8:15], s[0:1], 0x0
	s_bfe_u32 s3, ttmp6, 0x4000c
	s_and_b32 s6, ttmp6, 15
	s_add_co_i32 s3, s3, 1
	s_getreg_b32 s7, hwreg(HW_REG_IB_STS2, 6, 4)
	s_mul_i32 s3, ttmp9, s3
	v_mov_b32_e32 v2, 0
	s_add_co_i32 s6, s6, s3
	s_delay_alu instid0(VALU_DEP_1)
	v_mov_b32_e32 v1, v2
	s_wait_kmcnt 0x0
	s_and_b32 s2, s2, 0xffff
	s_cmp_eq_u32 s7, 0
	s_mov_b32 s18, s4
	s_cselect_b32 s3, ttmp9, s6
	s_ashr_i32 s19, s4, 31
	v_mad_u32 v0, s3, s2, v0
	s_mul_u64 s[16:17], s[14:15], s[12:13]
	s_ashr_i32 s7, s5, 31
	s_mov_b32 s6, s5
	s_mul_u64 s[4:5], s[16:17], s[18:19]
	s_mov_b32 s3, exec_lo
	s_mul_u64 s[18:19], s[4:5], s[6:7]
	s_mov_b32 s5, 0
	s_delay_alu instid0(VALU_DEP_1)
	v_cmpx_gt_i64_e64 s[18:19], v[0:1]
	s_cbranch_execz .LBB15_53
; %bb.1:
	s_load_b128 s[36:39], s[0:1], 0x20
	s_wait_xcnt 0x0
	s_add_nc_u64 s[0:1], s[0:1], 64
	s_mul_u64 s[24:25], s[16:17], s[6:7]
	s_load_b32 s4, s[0:1], 0x0
	v_cvt_f32_u32_e32 v3, s24
	v_lshlrev_b64_e32 v[4:5], 4, v[0:1]
	s_mov_b32 s3, s5
	s_add_nc_u64 s[22:23], s[14:15], -1
	v_sub_nc_u64_e32 v[6:7], 0, v[0:1]
	v_rcp_iflag_f32_e32 v3, v3
	s_add_nc_u64 s[20:21], s[12:13], -1
	s_wait_xcnt 0x0
	s_lshl_b64 s[0:1], s[22:23], 1
	v_or_b32_e32 v4, 8, v4
	s_sub_nc_u64 s[50:51], 0, s[14:15]
	s_lshl_b64 s[52:53], s[6:7], 4
	s_lshl_b64 s[54:55], s[12:13], 4
	v_mul_f32_e32 v3, 0x4f7ffffe, v3
	s_mov_b64 s[58:59], 0xffffffff
	s_sub_nc_u64 s[62:63], 0, s[16:17]
	s_ashr_i32 s64, s25, 31
	s_wait_kmcnt 0x0
	s_ashr_i32 s27, s38, 31
	s_mov_b32 s26, s38
	s_ashr_i32 s29, s36, 31
	s_mov_b32 s28, s36
	;; [unrolled: 2-line block ×4, first 2 shown]
	s_add_nc_u64 s[36:37], s[12:13], s[26:27]
	s_add_nc_u64 s[40:41], s[14:15], s[28:29]
	s_mul_u64 s[30:31], s[2:3], s[4:5]
	s_not_b64 s[2:3], s[38:39]
	s_not_b64 s[42:43], s[34:35]
	s_add_nc_u64 s[34:35], s[36:37], s[34:35]
	s_add_nc_u64 s[40:41], s[40:41], s[38:39]
	v_cvt_u32_f32_e32 v32, v3
	s_add_nc_u64 s[44:45], s[36:37], s[20:21]
	s_add_nc_u64 s[36:37], s[14:15], s[2:3]
	s_mul_u64 s[40:41], s[34:35], s[40:41]
	s_lshl_b64 s[2:3], s[20:21], 1
	s_add_nc_u64 s[46:47], s[0:1], s[28:29]
	s_lshl_b64 s[0:1], s[26:27], 4
	s_add_nc_u64 s[38:39], s[12:13], s[42:43]
	s_add_nc_u64 s[42:43], s[44:45], -1
	s_mul_u64 s[44:45], s[40:41], s[6:7]
	s_add_nc_u64 s[48:49], s[2:3], s[26:27]
	s_add_nc_u64 s[56:57], s[10:11], s[0:1]
	s_lshl_b64 s[60:61], s[30:31], 4
	s_mov_b32 s33, 0
	s_branch .LBB15_4
.LBB15_2:                               ;   in Loop: Header=BB15_4 Depth=1
	s_wait_xcnt 0x0
	s_or_b32 exec_lo, exec_lo, s0
.LBB15_3:                               ;   in Loop: Header=BB15_4 Depth=1
	s_delay_alu instid0(SALU_CYCLE_1)
	s_or_b32 exec_lo, exec_lo, s2
	v_mul_u64_e32 v[10:11], s[54:55], v[14:15]
	v_lshlrev_b64_e32 v[12:13], 4, v[12:13]
	v_add_nc_u64_e32 v[18:19], s[8:9], v[4:5]
	v_add_nc_u64_e32 v[0:1], s[30:31], v[0:1]
	v_sub_nc_u64_e64 v[6:7], v[6:7], s[30:31]
	s_delay_alu instid0(VALU_DEP_4) | instskip(NEXT) | instid1(VALU_DEP_3)
	v_mad_nc_u64_u32 v[12:13], s52, v8, v[12:13]
	v_cmp_le_i64_e32 vcc_lo, s[18:19], v[0:1]
	s_or_b32 s33, vcc_lo, s33
	s_delay_alu instid0(VALU_DEP_2) | instskip(NEXT) | instid1(VALU_DEP_1)
	v_mad_u32 v3, s53, v8, v13
	v_mad_u32 v3, s52, v9, v3
	s_delay_alu instid0(VALU_DEP_4) | instskip(NEXT) | instid1(VALU_DEP_1)
	v_mad_nc_u64_u32 v[10:11], s40, v12, v[10:11]
	v_mad_u32 v8, s41, v12, v11
	global_load_b128 v[12:15], v[18:19], off offset:-8
	v_mad_u32 v11, s40, v3, v8
	s_delay_alu instid0(VALU_DEP_1) | instskip(NEXT) | instid1(VALU_DEP_1)
	v_lshl_add_u64 v[8:9], v[24:25], 4, v[10:11]
	v_add_nc_u64_e32 v[8:9], v[4:5], v[8:9]
	v_add_nc_u64_e32 v[4:5], s[60:61], v[4:5]
	s_delay_alu instid0(VALU_DEP_2)
	v_add_nc_u64_e32 v[8:9], s[56:57], v[8:9]
	global_load_b128 v[8:11], v[8:9], off offset:-8
	s_wait_loadcnt 0x0
	s_wait_xcnt 0x0
	v_add_f64_e32 v[8:9], v[20:21], v[8:9]
	v_add_f64_e32 v[10:11], v[16:17], v[10:11]
	s_delay_alu instid0(VALU_DEP_2) | instskip(NEXT) | instid1(VALU_DEP_2)
	v_add_f64_e32 v[8:9], v[8:9], v[12:13]
	v_add_f64_e32 v[10:11], v[10:11], v[14:15]
	global_store_b128 v[18:19], v[8:11], off offset:-8
	s_wait_xcnt 0x0
	s_and_not1_b32 exec_lo, exec_lo, s33
	s_cbranch_execz .LBB15_53
.LBB15_4:                               ; =>This Inner Loop Header: Depth=1
	v_dual_ashrrev_i32 v12, 31, v1 :: v_dual_bitop2_b32 v3, s25, v1 bitop3:0x54
                                        ; implicit-def: $vgpr8_vgpr9
	s_mov_b32 s0, exec_lo
	s_delay_alu instid0(VALU_DEP_1)
	v_cmpx_ne_u64_e32 0, v[2:3]
	s_xor_b32 s1, exec_lo, s0
	s_cbranch_execz .LBB15_6
; %bb.5:                                ;   in Loop: Header=BB15_4 Depth=1
	s_mov_b32 s65, s64
	v_dual_mov_b32 v13, v12 :: v_dual_mov_b32 v11, v2
	s_add_nc_u64 s[2:3], s[24:25], s[64:65]
	v_mov_b32_e32 v17, v2
	s_xor_b64 s[2:3], s[2:3], s[64:65]
	s_delay_alu instid0(VALU_DEP_2) | instskip(SKIP_4) | instid1(SALU_CYCLE_1)
	v_add_nc_u64_e32 v[8:9], v[0:1], v[12:13]
	s_cvt_f32_u32 s0, s2
	s_cvt_f32_u32 s4, s3
	s_sub_nc_u64 s[68:69], 0, s[2:3]
	v_mov_b32_e32 v21, v2
	s_fmamk_f32 s0, s4, 0x4f800000, s0
	s_delay_alu instid0(VALU_DEP_2) | instskip(SKIP_1) | instid1(SALU_CYCLE_1)
	v_xor_b32_e32 v10, v8, v12
	v_xor_b32_e32 v16, v9, v12
	v_s_rcp_f32 s0, s0
	s_delay_alu instid0(TRANS32_DEP_1) | instskip(NEXT) | instid1(SALU_CYCLE_3)
	s_mul_f32 s0, s0, 0x5f7ffffc
	s_mul_f32 s4, s0, 0x2f800000
	s_delay_alu instid0(SALU_CYCLE_3) | instskip(NEXT) | instid1(SALU_CYCLE_3)
	s_trunc_f32 s4, s4
	s_fmamk_f32 s0, s4, 0xcf800000, s0
	s_cvt_u32_f32 s67, s4
	s_delay_alu instid0(SALU_CYCLE_2) | instskip(NEXT) | instid1(SALU_CYCLE_3)
	s_cvt_u32_f32 s66, s0
	s_mul_u64 s[70:71], s[68:69], s[66:67]
	s_delay_alu instid0(SALU_CYCLE_1)
	s_mul_hi_u32 s73, s66, s71
	s_mul_i32 s72, s66, s71
	s_mul_hi_u32 s4, s66, s70
	s_mul_i32 s65, s67, s70
	s_add_nc_u64 s[72:73], s[4:5], s[72:73]
	s_mul_hi_u32 s0, s67, s70
	s_mul_hi_u32 s74, s67, s71
	s_add_co_u32 s4, s72, s65
	s_add_co_ci_u32 s4, s73, s0
	s_mul_i32 s70, s67, s71
	s_add_co_ci_u32 s71, s74, 0
	s_delay_alu instid0(SALU_CYCLE_1) | instskip(NEXT) | instid1(SALU_CYCLE_1)
	s_add_nc_u64 s[70:71], s[4:5], s[70:71]
	s_add_co_u32 s66, s66, s70
	s_cselect_b32 s0, -1, 0
	s_delay_alu instid0(SALU_CYCLE_1) | instskip(SKIP_1) | instid1(SALU_CYCLE_1)
	s_cmp_lg_u32 s0, 0
	s_add_co_ci_u32 s67, s67, s71
	s_mul_u64 s[68:69], s[68:69], s[66:67]
	s_delay_alu instid0(SALU_CYCLE_1)
	s_mul_hi_u32 s71, s66, s69
	s_mul_i32 s70, s66, s69
	s_mul_hi_u32 s4, s66, s68
	s_mul_i32 s65, s67, s68
	s_add_nc_u64 s[70:71], s[4:5], s[70:71]
	s_mul_hi_u32 s0, s67, s68
	s_mul_hi_u32 s72, s67, s69
	s_add_co_u32 s4, s70, s65
	s_add_co_ci_u32 s4, s71, s0
	s_mul_i32 s68, s67, s69
	s_add_co_ci_u32 s69, s72, 0
	s_delay_alu instid0(SALU_CYCLE_1) | instskip(NEXT) | instid1(SALU_CYCLE_1)
	s_add_nc_u64 s[68:69], s[4:5], s[68:69]
	s_add_co_u32 s0, s66, s68
	s_cselect_b32 s4, -1, 0
	v_nop
	v_mul_hi_u32 v20, v10, s0
	s_cmp_lg_u32 s4, 0
	s_add_co_ci_u32 s4, s67, s69
	s_and_b64 s[66:67], s[0:1], s[58:59]
	v_mul_u64_e32 v[14:15], s[4:5], v[10:11]
	v_mul_u64_e32 v[8:9], s[66:67], v[16:17]
	;; [unrolled: 1-line block ×3, first 2 shown]
	s_delay_alu instid0(VALU_DEP_3) | instskip(NEXT) | instid1(VALU_DEP_1)
	v_add_nc_u64_e32 v[14:15], v[20:21], v[14:15]
	v_add_co_u32 v3, vcc_lo, v14, v8
	s_delay_alu instid0(VALU_DEP_2) | instskip(NEXT) | instid1(VALU_DEP_4)
	v_add_co_ci_u32_e32 v20, vcc_lo, v15, v9, vcc_lo
	v_add_co_ci_u32_e32 v19, vcc_lo, 0, v19, vcc_lo
	s_delay_alu instid0(VALU_DEP_1) | instskip(NEXT) | instid1(VALU_DEP_1)
	v_add_nc_u64_e32 v[8:9], v[20:21], v[18:19]
	v_mul_u64_e32 v[14:15], s[2:3], v[8:9]
	s_delay_alu instid0(VALU_DEP_1) | instskip(NEXT) | instid1(VALU_DEP_2)
	v_sub_nc_u32_e32 v3, v16, v15
	v_sub_co_u32 v10, vcc_lo, v10, v14
	s_delay_alu instid0(VALU_DEP_1) | instskip(NEXT) | instid1(VALU_DEP_3)
	v_sub_co_ci_u32_e64 v13, null, v16, v15, vcc_lo
	v_subrev_co_ci_u32_e64 v3, null, s3, v3, vcc_lo
	s_delay_alu instid0(VALU_DEP_3) | instskip(NEXT) | instid1(VALU_DEP_1)
	v_sub_co_u32 v11, s0, v10, s2
	v_subrev_co_ci_u32_e64 v3, null, 0, v3, s0
	s_delay_alu instid0(VALU_DEP_2) | instskip(SKIP_1) | instid1(VALU_DEP_3)
	v_cmp_le_u32_e32 vcc_lo, s2, v11
	v_cndmask_b32_e64 v11, 0, -1, vcc_lo
	v_cmp_le_u32_e32 vcc_lo, s3, v3
	v_cndmask_b32_e64 v14, 0, -1, vcc_lo
	;; [unrolled: 2-line block ×4, first 2 shown]
	v_cmp_eq_u32_e32 vcc_lo, s3, v3
	v_cndmask_b32_e32 v3, v14, v11, vcc_lo
	v_cmp_eq_u32_e32 vcc_lo, s3, v13
	v_add_nc_u64_e32 v[10:11], 2, v[8:9]
	v_add_nc_u64_e32 v[14:15], 1, v[8:9]
	v_cndmask_b32_e32 v13, v17, v16, vcc_lo
	v_cmp_ne_u32_e32 vcc_lo, 0, v3
	s_delay_alu instid0(VALU_DEP_2) | instskip(NEXT) | instid1(VALU_DEP_4)
	v_cmp_ne_u32_e64 s0, 0, v13
	v_dual_cndmask_b32 v3, v15, v11, vcc_lo :: v_dual_cndmask_b32 v11, v14, v10, vcc_lo
	s_delay_alu instid0(VALU_DEP_1) | instskip(NEXT) | instid1(VALU_DEP_1)
	v_dual_cndmask_b32 v3, v9, v3, s0 :: v_dual_bitop2_b32 v10, s64, v12 bitop3:0x14
	v_dual_cndmask_b32 v8, v8, v11, s0 :: v_dual_mov_b32 v11, v10
	s_delay_alu instid0(VALU_DEP_2) | instskip(NEXT) | instid1(VALU_DEP_2)
	v_xor_b32_e32 v9, v3, v10
	v_xor_b32_e32 v8, v8, v10
	s_delay_alu instid0(VALU_DEP_1)
	v_sub_nc_u64_e32 v[8:9], v[8:9], v[10:11]
.LBB15_6:                               ;   in Loop: Header=BB15_4 Depth=1
	s_and_not1_saveexec_b32 s0, s1
	s_cbranch_execz .LBB15_8
; %bb.7:                                ;   in Loop: Header=BB15_4 Depth=1
	s_sub_co_i32 s1, 0, s24
	s_delay_alu instid0(SALU_CYCLE_1) | instskip(NEXT) | instid1(VALU_DEP_1)
	v_mul_lo_u32 v3, s1, v32
	v_mul_hi_u32 v3, v32, v3
	s_delay_alu instid0(VALU_DEP_1) | instskip(NEXT) | instid1(VALU_DEP_1)
	v_add_nc_u32_e32 v3, v32, v3
	v_mul_hi_u32 v3, v0, v3
	s_delay_alu instid0(VALU_DEP_1) | instskip(NEXT) | instid1(VALU_DEP_1)
	v_mul_lo_u32 v8, v3, s24
	v_dual_add_nc_u32 v9, 1, v3 :: v_dual_sub_nc_u32 v8, v0, v8
	s_delay_alu instid0(VALU_DEP_1) | instskip(SKIP_1) | instid1(VALU_DEP_2)
	v_subrev_nc_u32_e32 v10, s24, v8
	v_cmp_le_u32_e32 vcc_lo, s24, v8
	v_dual_cndmask_b32 v8, v8, v10 :: v_dual_cndmask_b32 v3, v3, v9
	s_delay_alu instid0(VALU_DEP_1) | instskip(NEXT) | instid1(VALU_DEP_2)
	v_cmp_le_u32_e32 vcc_lo, s24, v8
	v_add_nc_u32_e32 v9, 1, v3
	s_delay_alu instid0(VALU_DEP_1)
	v_dual_cndmask_b32 v8, v3, v9 :: v_dual_mov_b32 v9, v2
.LBB15_8:                               ;   in Loop: Header=BB15_4 Depth=1
	s_or_b32 exec_lo, exec_lo, s0
	v_or_b32_e32 v3, s17, v1
                                        ; implicit-def: $vgpr10_vgpr11
	s_mov_b32 s0, exec_lo
	s_delay_alu instid0(VALU_DEP_1)
	v_cmpx_ne_u64_e32 0, v[2:3]
	s_xor_b32 s1, exec_lo, s0
	s_cbranch_execz .LBB15_10
; %bb.9:                                ;   in Loop: Header=BB15_4 Depth=1
	s_ashr_i32 s2, s17, 31
	v_dual_mov_b32 v13, v12 :: v_dual_mov_b32 v15, v2
	s_mov_b32 s3, s2
	v_mov_b32_e32 v23, v2
	s_add_nc_u64 s[66:67], s[16:17], s[2:3]
	s_delay_alu instid0(VALU_DEP_2)
	v_add_nc_u64_e32 v[10:11], v[0:1], v[12:13]
	s_xor_b64 s[66:67], s[66:67], s[2:3]
	v_mov_b32_e32 v19, v2
	s_cvt_f32_u32 s0, s66
	s_cvt_f32_u32 s3, s67
	s_sub_nc_u64 s[70:71], 0, s[66:67]
	s_delay_alu instid0(VALU_DEP_2) | instskip(NEXT) | instid1(SALU_CYCLE_1)
	v_xor_b32_e32 v14, v10, v12
	s_fmamk_f32 s0, s3, 0x4f800000, s0
	v_xor_b32_e32 v18, v11, v12
	v_xor_b32_e32 v12, s2, v12
	s_delay_alu instid0(SALU_CYCLE_1) | instskip(NEXT) | instid1(TRANS32_DEP_1)
	v_s_rcp_f32 s0, s0
	s_mul_f32 s0, s0, 0x5f7ffffc
	s_delay_alu instid0(SALU_CYCLE_3) | instskip(NEXT) | instid1(SALU_CYCLE_3)
	s_mul_f32 s3, s0, 0x2f800000
	s_trunc_f32 s3, s3
	s_delay_alu instid0(SALU_CYCLE_3) | instskip(SKIP_1) | instid1(SALU_CYCLE_2)
	s_fmamk_f32 s0, s3, 0xcf800000, s0
	s_cvt_u32_f32 s69, s3
	s_cvt_u32_f32 s68, s0
	s_delay_alu instid0(SALU_CYCLE_3) | instskip(NEXT) | instid1(SALU_CYCLE_1)
	s_mul_u64 s[72:73], s[70:71], s[68:69]
	s_mul_hi_u32 s75, s68, s73
	s_mul_i32 s74, s68, s73
	s_mul_hi_u32 s4, s68, s72
	s_mul_i32 s3, s69, s72
	s_add_nc_u64 s[74:75], s[4:5], s[74:75]
	s_mul_hi_u32 s0, s69, s72
	s_mul_hi_u32 s65, s69, s73
	s_add_co_u32 s3, s74, s3
	s_add_co_ci_u32 s4, s75, s0
	s_mul_i32 s72, s69, s73
	s_add_co_ci_u32 s73, s65, 0
	s_delay_alu instid0(SALU_CYCLE_1) | instskip(NEXT) | instid1(SALU_CYCLE_1)
	s_add_nc_u64 s[72:73], s[4:5], s[72:73]
	s_add_co_u32 s68, s68, s72
	s_cselect_b32 s0, -1, 0
	s_delay_alu instid0(SALU_CYCLE_1) | instskip(SKIP_1) | instid1(SALU_CYCLE_1)
	s_cmp_lg_u32 s0, 0
	s_add_co_ci_u32 s69, s69, s73
	s_mul_u64 s[70:71], s[70:71], s[68:69]
	s_delay_alu instid0(SALU_CYCLE_1)
	s_mul_hi_u32 s73, s68, s71
	s_mul_i32 s72, s68, s71
	s_mul_hi_u32 s4, s68, s70
	s_mul_i32 s3, s69, s70
	s_add_nc_u64 s[72:73], s[4:5], s[72:73]
	s_mul_hi_u32 s0, s69, s70
	s_mul_hi_u32 s65, s69, s71
	s_add_co_u32 s3, s72, s3
	s_add_co_ci_u32 s4, s73, s0
	s_mul_i32 s70, s69, s71
	s_add_co_ci_u32 s71, s65, 0
	s_delay_alu instid0(SALU_CYCLE_1) | instskip(NEXT) | instid1(SALU_CYCLE_1)
	s_add_nc_u64 s[70:71], s[4:5], s[70:71]
	s_add_co_u32 s0, s68, s70
	s_cselect_b32 s3, -1, 0
	v_nop
	v_mul_hi_u32 v22, v14, s0
	s_cmp_lg_u32 s3, 0
	s_add_co_ci_u32 s4, s69, s71
	s_and_b64 s[68:69], s[0:1], s[58:59]
	v_mul_u64_e32 v[16:17], s[4:5], v[14:15]
	v_mul_u64_e32 v[10:11], s[68:69], v[18:19]
	;; [unrolled: 1-line block ×3, first 2 shown]
	s_delay_alu instid0(VALU_DEP_3) | instskip(NEXT) | instid1(VALU_DEP_1)
	v_add_nc_u64_e32 v[16:17], v[22:23], v[16:17]
	v_add_co_u32 v3, vcc_lo, v16, v10
	s_delay_alu instid0(VALU_DEP_2) | instskip(NEXT) | instid1(VALU_DEP_4)
	v_add_co_ci_u32_e32 v22, vcc_lo, v17, v11, vcc_lo
	v_add_co_ci_u32_e32 v21, vcc_lo, 0, v21, vcc_lo
	s_delay_alu instid0(VALU_DEP_1) | instskip(NEXT) | instid1(VALU_DEP_1)
	v_add_nc_u64_e32 v[10:11], v[22:23], v[20:21]
	v_mul_u64_e32 v[16:17], s[66:67], v[10:11]
	s_delay_alu instid0(VALU_DEP_1) | instskip(NEXT) | instid1(VALU_DEP_2)
	v_sub_nc_u32_e32 v3, v18, v17
	v_sub_co_u32 v13, vcc_lo, v14, v16
	s_delay_alu instid0(VALU_DEP_1) | instskip(NEXT) | instid1(VALU_DEP_3)
	v_sub_co_ci_u32_e64 v18, null, v18, v17, vcc_lo
	v_subrev_co_ci_u32_e64 v3, null, s67, v3, vcc_lo
	s_delay_alu instid0(VALU_DEP_3) | instskip(SKIP_1) | instid1(VALU_DEP_3)
	v_sub_co_u32 v14, s0, v13, s66
	v_add_nc_u64_e32 v[16:17], 1, v[10:11]
	v_subrev_co_ci_u32_e64 v3, null, 0, v3, s0
	s_delay_alu instid0(VALU_DEP_3) | instskip(SKIP_1) | instid1(VALU_DEP_3)
	v_cmp_le_u32_e32 vcc_lo, s66, v14
	v_cndmask_b32_e64 v14, 0, -1, vcc_lo
	v_cmp_le_u32_e32 vcc_lo, s67, v3
	v_cndmask_b32_e64 v15, 0, -1, vcc_lo
	;; [unrolled: 2-line block ×4, first 2 shown]
	v_cmp_eq_u32_e32 vcc_lo, s67, v3
	v_cndmask_b32_e32 v3, v15, v14, vcc_lo
	v_cmp_eq_u32_e32 vcc_lo, s67, v18
	v_add_nc_u64_e32 v[14:15], 2, v[10:11]
	v_cndmask_b32_e32 v13, v19, v13, vcc_lo
	s_delay_alu instid0(VALU_DEP_4) | instskip(NEXT) | instid1(VALU_DEP_2)
	v_cmp_ne_u32_e32 vcc_lo, 0, v3
	v_cmp_ne_u32_e64 s0, 0, v13
	s_delay_alu instid0(VALU_DEP_4) | instskip(NEXT) | instid1(VALU_DEP_1)
	v_dual_cndmask_b32 v3, v17, v15, vcc_lo :: v_dual_cndmask_b32 v13, v16, v14, vcc_lo
	v_dual_cndmask_b32 v3, v11, v3, s0 :: v_dual_cndmask_b32 v10, v10, v13, s0
	s_delay_alu instid0(VALU_DEP_1) | instskip(NEXT) | instid1(VALU_DEP_2)
	v_dual_mov_b32 v13, v12 :: v_dual_bitop2_b32 v11, v3, v12 bitop3:0x14
	v_xor_b32_e32 v10, v10, v12
	s_delay_alu instid0(VALU_DEP_1)
	v_sub_nc_u64_e32 v[10:11], v[10:11], v[12:13]
.LBB15_10:                              ;   in Loop: Header=BB15_4 Depth=1
	s_and_not1_saveexec_b32 s0, s1
	s_cbranch_execz .LBB15_12
; %bb.11:                               ;   in Loop: Header=BB15_4 Depth=1
	v_cvt_f32_u32_e32 v3, s16
	s_sub_co_i32 s1, 0, s16
	s_delay_alu instid0(VALU_DEP_1) | instskip(SKIP_1) | instid1(TRANS32_DEP_1)
	v_rcp_iflag_f32_e32 v3, v3
	v_nop
	v_mul_f32_e32 v3, 0x4f7ffffe, v3
	s_delay_alu instid0(VALU_DEP_1) | instskip(NEXT) | instid1(VALU_DEP_1)
	v_cvt_u32_f32_e32 v3, v3
	v_mul_lo_u32 v10, s1, v3
	s_delay_alu instid0(VALU_DEP_1) | instskip(NEXT) | instid1(VALU_DEP_1)
	v_mul_hi_u32 v10, v3, v10
	v_add_nc_u32_e32 v3, v3, v10
	s_delay_alu instid0(VALU_DEP_1) | instskip(NEXT) | instid1(VALU_DEP_1)
	v_mul_hi_u32 v3, v0, v3
	v_mul_lo_u32 v10, v3, s16
	s_delay_alu instid0(VALU_DEP_1) | instskip(NEXT) | instid1(VALU_DEP_1)
	v_dual_add_nc_u32 v11, 1, v3 :: v_dual_sub_nc_u32 v10, v0, v10
	v_subrev_nc_u32_e32 v12, s16, v10
	v_cmp_le_u32_e32 vcc_lo, s16, v10
	s_delay_alu instid0(VALU_DEP_2) | instskip(NEXT) | instid1(VALU_DEP_1)
	v_dual_cndmask_b32 v10, v10, v12 :: v_dual_cndmask_b32 v3, v3, v11
	v_cmp_le_u32_e32 vcc_lo, s16, v10
	s_delay_alu instid0(VALU_DEP_2) | instskip(NEXT) | instid1(VALU_DEP_1)
	v_add_nc_u32_e32 v11, 1, v3
	v_dual_cndmask_b32 v10, v3, v11 :: v_dual_mov_b32 v11, v2
.LBB15_12:                              ;   in Loop: Header=BB15_4 Depth=1
	s_or_b32 exec_lo, exec_lo, s0
	s_delay_alu instid0(VALU_DEP_1) | instskip(SKIP_1) | instid1(VALU_DEP_1)
	v_or_b32_e32 v3, s7, v11
                                        ; implicit-def: $vgpr12_vgpr13
	s_mov_b32 s0, exec_lo
	v_cmpx_ne_u64_e32 0, v[2:3]
	s_xor_b32 s1, exec_lo, s0
	s_cbranch_execz .LBB15_14
; %bb.13:                               ;   in Loop: Header=BB15_4 Depth=1
	s_ashr_i32 s2, s7, 31
	v_dual_mov_b32 v17, v2 :: v_dual_ashrrev_i32 v12, 31, v11
	s_mov_b32 s3, s2
	s_delay_alu instid0(SALU_CYCLE_1) | instskip(NEXT) | instid1(VALU_DEP_1)
	s_add_nc_u64 s[66:67], s[6:7], s[2:3]
	v_mov_b32_e32 v13, v12
	s_xor_b64 s[2:3], s[66:67], s[2:3]
	s_delay_alu instid0(SALU_CYCLE_1)
	s_cvt_f32_u32 s0, s2
	s_cvt_f32_u32 s4, s3
	s_sub_nc_u64 s[68:69], 0, s[2:3]
	v_add_nc_u64_e32 v[14:15], v[10:11], v[12:13]
	v_mov_b32_e32 v21, v2
	s_fmamk_f32 s0, s4, 0x4f800000, s0
	s_delay_alu instid0(SALU_CYCLE_3) | instskip(NEXT) | instid1(VALU_DEP_2)
	v_s_rcp_f32 s0, s0
	v_xor_b32_e32 v16, v14, v12
	s_delay_alu instid0(VALU_DEP_3) | instskip(NEXT) | instid1(TRANS32_DEP_1)
	v_dual_mov_b32 v25, v2 :: v_dual_bitop2_b32 v20, v15, v12 bitop3:0x14
	s_mul_f32 s0, s0, 0x5f7ffffc
	s_delay_alu instid0(SALU_CYCLE_3) | instskip(NEXT) | instid1(SALU_CYCLE_3)
	s_mul_f32 s4, s0, 0x2f800000
	s_trunc_f32 s4, s4
	s_delay_alu instid0(SALU_CYCLE_3) | instskip(SKIP_1) | instid1(SALU_CYCLE_2)
	s_fmamk_f32 s0, s4, 0xcf800000, s0
	s_cvt_u32_f32 s67, s4
	s_cvt_u32_f32 s66, s0
	s_delay_alu instid0(SALU_CYCLE_3) | instskip(NEXT) | instid1(SALU_CYCLE_1)
	s_mul_u64 s[70:71], s[68:69], s[66:67]
	s_mul_hi_u32 s73, s66, s71
	s_mul_i32 s72, s66, s71
	s_mul_hi_u32 s4, s66, s70
	s_mul_i32 s65, s67, s70
	s_add_nc_u64 s[72:73], s[4:5], s[72:73]
	s_mul_hi_u32 s0, s67, s70
	s_mul_hi_u32 s74, s67, s71
	s_add_co_u32 s4, s72, s65
	s_add_co_ci_u32 s4, s73, s0
	s_mul_i32 s70, s67, s71
	s_add_co_ci_u32 s71, s74, 0
	s_delay_alu instid0(SALU_CYCLE_1) | instskip(NEXT) | instid1(SALU_CYCLE_1)
	s_add_nc_u64 s[70:71], s[4:5], s[70:71]
	s_add_co_u32 s66, s66, s70
	s_cselect_b32 s0, -1, 0
	s_delay_alu instid0(SALU_CYCLE_1) | instskip(SKIP_1) | instid1(SALU_CYCLE_1)
	s_cmp_lg_u32 s0, 0
	s_add_co_ci_u32 s67, s67, s71
	s_mul_u64 s[68:69], s[68:69], s[66:67]
	s_delay_alu instid0(SALU_CYCLE_1)
	s_mul_hi_u32 s71, s66, s69
	s_mul_i32 s70, s66, s69
	s_mul_hi_u32 s4, s66, s68
	s_mul_i32 s65, s67, s68
	s_add_nc_u64 s[70:71], s[4:5], s[70:71]
	s_mul_hi_u32 s0, s67, s68
	s_mul_hi_u32 s72, s67, s69
	s_add_co_u32 s4, s70, s65
	s_add_co_ci_u32 s4, s71, s0
	s_mul_i32 s68, s67, s69
	s_add_co_ci_u32 s69, s72, 0
	s_delay_alu instid0(SALU_CYCLE_1) | instskip(NEXT) | instid1(SALU_CYCLE_1)
	s_add_nc_u64 s[68:69], s[4:5], s[68:69]
	s_add_co_u32 s0, s66, s68
	s_cselect_b32 s4, -1, 0
	v_mul_hi_u32 v24, v16, s0
	s_cmp_lg_u32 s4, 0
	s_add_co_ci_u32 s4, s67, s69
	s_and_b64 s[66:67], s[0:1], s[58:59]
	v_mul_u64_e32 v[18:19], s[4:5], v[16:17]
	v_mul_u64_e32 v[14:15], s[66:67], v[20:21]
	;; [unrolled: 1-line block ×3, first 2 shown]
	s_delay_alu instid0(VALU_DEP_3) | instskip(NEXT) | instid1(VALU_DEP_1)
	v_add_nc_u64_e32 v[18:19], v[24:25], v[18:19]
	v_add_co_u32 v3, vcc_lo, v18, v14
	s_delay_alu instid0(VALU_DEP_2) | instskip(NEXT) | instid1(VALU_DEP_4)
	v_add_co_ci_u32_e32 v24, vcc_lo, v19, v15, vcc_lo
	v_add_co_ci_u32_e32 v23, vcc_lo, 0, v23, vcc_lo
	s_delay_alu instid0(VALU_DEP_1) | instskip(NEXT) | instid1(VALU_DEP_1)
	v_add_nc_u64_e32 v[14:15], v[24:25], v[22:23]
	v_mul_u64_e32 v[14:15], s[2:3], v[14:15]
	s_delay_alu instid0(VALU_DEP_1) | instskip(NEXT) | instid1(VALU_DEP_2)
	v_sub_nc_u32_e32 v3, v20, v15
	v_sub_co_u32 v14, vcc_lo, v16, v14
	s_delay_alu instid0(VALU_DEP_1) | instskip(NEXT) | instid1(VALU_DEP_3)
	v_sub_co_ci_u32_e64 v15, null, v20, v15, vcc_lo
	v_subrev_co_ci_u32_e64 v3, null, s3, v3, vcc_lo
	s_delay_alu instid0(VALU_DEP_3) | instskip(SKIP_1) | instid1(VALU_DEP_3)
	v_sub_co_u32 v16, vcc_lo, v14, s2
	v_cmp_le_u32_e64 s0, s2, v14
	v_subrev_co_ci_u32_e64 v17, null, 0, v3, vcc_lo
	v_subrev_co_ci_u32_e64 v3, null, s3, v3, vcc_lo
	s_delay_alu instid0(VALU_DEP_3) | instskip(SKIP_2) | instid1(VALU_DEP_2)
	v_cndmask_b32_e64 v18, 0, -1, s0
	v_cmp_le_u32_e64 s0, s2, v16
	v_cmp_le_u32_e32 vcc_lo, s3, v15
	v_cndmask_b32_e64 v19, 0, -1, s0
	v_cmp_le_u32_e64 s0, s3, v17
	v_cndmask_b32_e64 v21, 0, -1, vcc_lo
	v_cmp_eq_u32_e32 vcc_lo, s3, v17
	s_delay_alu instid0(VALU_DEP_3) | instskip(SKIP_1) | instid1(VALU_DEP_1)
	v_cndmask_b32_e64 v20, 0, -1, s0
	v_cmp_eq_u32_e64 s0, s3, v15
	v_dual_cndmask_b32 v19, v20, v19, vcc_lo :: v_dual_cndmask_b32 v18, v21, v18, s0
	v_sub_co_u32 v20, vcc_lo, v16, s2
	s_delay_alu instid0(VALU_DEP_1) | instskip(NEXT) | instid1(VALU_DEP_3)
	v_subrev_co_ci_u32_e64 v3, null, 0, v3, vcc_lo
	v_cmp_ne_u32_e32 vcc_lo, 0, v19
	s_delay_alu instid0(VALU_DEP_2) | instskip(SKIP_1) | instid1(VALU_DEP_2)
	v_dual_cndmask_b32 v3, v17, v3 :: v_dual_cndmask_b32 v16, v16, v20
	v_cmp_ne_u32_e32 vcc_lo, 0, v18
	v_dual_cndmask_b32 v3, v15, v3 :: v_dual_cndmask_b32 v14, v14, v16
	s_delay_alu instid0(VALU_DEP_1) | instskip(NEXT) | instid1(VALU_DEP_2)
	v_xor_b32_e32 v15, v3, v12
	v_xor_b32_e32 v14, v14, v12
	s_delay_alu instid0(VALU_DEP_1)
	v_sub_nc_u64_e32 v[12:13], v[14:15], v[12:13]
.LBB15_14:                              ;   in Loop: Header=BB15_4 Depth=1
	s_and_not1_saveexec_b32 s0, s1
	s_cbranch_execz .LBB15_16
; %bb.15:                               ;   in Loop: Header=BB15_4 Depth=1
	v_cvt_f32_u32_e32 v3, s6
	s_sub_co_i32 s1, 0, s6
	v_mov_b32_e32 v13, v2
	s_delay_alu instid0(VALU_DEP_2) | instskip(SKIP_1) | instid1(TRANS32_DEP_1)
	v_rcp_iflag_f32_e32 v3, v3
	v_nop
	v_mul_f32_e32 v3, 0x4f7ffffe, v3
	s_delay_alu instid0(VALU_DEP_1) | instskip(NEXT) | instid1(VALU_DEP_1)
	v_cvt_u32_f32_e32 v3, v3
	v_mul_lo_u32 v12, s1, v3
	s_delay_alu instid0(VALU_DEP_1) | instskip(NEXT) | instid1(VALU_DEP_1)
	v_mul_hi_u32 v12, v3, v12
	v_add_nc_u32_e32 v3, v3, v12
	s_delay_alu instid0(VALU_DEP_1) | instskip(NEXT) | instid1(VALU_DEP_1)
	v_mul_hi_u32 v3, v10, v3
	v_mul_lo_u32 v3, v3, s6
	s_delay_alu instid0(VALU_DEP_1) | instskip(NEXT) | instid1(VALU_DEP_1)
	v_sub_nc_u32_e32 v3, v10, v3
	v_subrev_nc_u32_e32 v12, s6, v3
	v_cmp_le_u32_e32 vcc_lo, s6, v3
	s_delay_alu instid0(VALU_DEP_2) | instskip(NEXT) | instid1(VALU_DEP_1)
	v_cndmask_b32_e32 v3, v3, v12, vcc_lo
	v_subrev_nc_u32_e32 v12, s6, v3
	v_cmp_le_u32_e32 vcc_lo, s6, v3
	s_delay_alu instid0(VALU_DEP_2)
	v_cndmask_b32_e32 v12, v3, v12, vcc_lo
.LBB15_16:                              ;   in Loop: Header=BB15_4 Depth=1
	s_or_b32 exec_lo, exec_lo, s0
	v_mad_nc_u64_u32 v[14:15], s62, v10, v[0:1]
                                        ; implicit-def: $vgpr18_vgpr19
	s_mov_b32 s0, exec_lo
	s_delay_alu instid0(VALU_DEP_1) | instskip(NEXT) | instid1(VALU_DEP_1)
	v_mad_u32 v3, s63, v10, v15
	v_mad_u32 v15, s62, v11, v3
	s_delay_alu instid0(VALU_DEP_1) | instskip(NEXT) | instid1(VALU_DEP_1)
	v_or_b32_e32 v3, s13, v15
	v_cmpx_ne_u64_e32 0, v[2:3]
	s_xor_b32 s1, exec_lo, s0
	s_cbranch_execz .LBB15_18
; %bb.17:                               ;   in Loop: Header=BB15_4 Depth=1
	s_ashr_i32 s2, s13, 31
	v_dual_mov_b32 v19, v2 :: v_dual_ashrrev_i32 v16, 31, v15
	s_mov_b32 s3, s2
	v_mov_b32_e32 v27, v2
	s_add_nc_u64 s[66:67], s[12:13], s[2:3]
	s_delay_alu instid0(VALU_DEP_2) | instskip(SKIP_1) | instid1(SALU_CYCLE_1)
	v_mov_b32_e32 v17, v16
	s_xor_b64 s[66:67], s[66:67], s[2:3]
	s_cvt_f32_u32 s0, s66
	s_cvt_f32_u32 s3, s67
	s_sub_nc_u64 s[70:71], 0, s[66:67]
	v_add_nc_u64_e32 v[14:15], v[14:15], v[16:17]
	v_mov_b32_e32 v23, v2
	s_fmamk_f32 s0, s3, 0x4f800000, s0
	s_delay_alu instid0(SALU_CYCLE_3) | instskip(NEXT) | instid1(VALU_DEP_2)
	v_s_rcp_f32 s0, s0
	v_xor_b32_e32 v18, v14, v16
	s_delay_alu instid0(VALU_DEP_3) | instskip(NEXT) | instid1(TRANS32_DEP_1)
	v_xor_b32_e32 v22, v15, v16
	s_mul_f32 s0, s0, 0x5f7ffffc
	s_delay_alu instid0(SALU_CYCLE_3) | instskip(NEXT) | instid1(SALU_CYCLE_3)
	s_mul_f32 s3, s0, 0x2f800000
	s_trunc_f32 s3, s3
	s_delay_alu instid0(SALU_CYCLE_3) | instskip(SKIP_1) | instid1(SALU_CYCLE_2)
	s_fmamk_f32 s0, s3, 0xcf800000, s0
	s_cvt_u32_f32 s69, s3
	s_cvt_u32_f32 s68, s0
	s_delay_alu instid0(SALU_CYCLE_3) | instskip(NEXT) | instid1(SALU_CYCLE_1)
	s_mul_u64 s[72:73], s[70:71], s[68:69]
	s_mul_hi_u32 s75, s68, s73
	s_mul_i32 s74, s68, s73
	s_mul_hi_u32 s4, s68, s72
	s_mul_i32 s3, s69, s72
	s_add_nc_u64 s[74:75], s[4:5], s[74:75]
	s_mul_hi_u32 s0, s69, s72
	s_mul_hi_u32 s65, s69, s73
	s_add_co_u32 s3, s74, s3
	s_add_co_ci_u32 s4, s75, s0
	s_mul_i32 s72, s69, s73
	s_add_co_ci_u32 s73, s65, 0
	s_delay_alu instid0(SALU_CYCLE_1) | instskip(NEXT) | instid1(SALU_CYCLE_1)
	s_add_nc_u64 s[72:73], s[4:5], s[72:73]
	s_add_co_u32 s68, s68, s72
	s_cselect_b32 s0, -1, 0
	s_delay_alu instid0(SALU_CYCLE_1) | instskip(SKIP_1) | instid1(SALU_CYCLE_1)
	s_cmp_lg_u32 s0, 0
	s_add_co_ci_u32 s69, s69, s73
	s_mul_u64 s[70:71], s[70:71], s[68:69]
	s_delay_alu instid0(SALU_CYCLE_1)
	s_mul_hi_u32 s73, s68, s71
	s_mul_i32 s72, s68, s71
	s_mul_hi_u32 s4, s68, s70
	s_mul_i32 s3, s69, s70
	s_add_nc_u64 s[72:73], s[4:5], s[72:73]
	s_mul_hi_u32 s0, s69, s70
	s_mul_hi_u32 s65, s69, s71
	s_add_co_u32 s3, s72, s3
	s_add_co_ci_u32 s4, s73, s0
	s_mul_i32 s70, s69, s71
	s_add_co_ci_u32 s71, s65, 0
	s_delay_alu instid0(SALU_CYCLE_1) | instskip(NEXT) | instid1(SALU_CYCLE_1)
	s_add_nc_u64 s[70:71], s[4:5], s[70:71]
	s_add_co_u32 s0, s68, s70
	s_cselect_b32 s3, -1, 0
	v_mul_hi_u32 v26, v18, s0
	s_cmp_lg_u32 s3, 0
	s_add_co_ci_u32 s4, s69, s71
	s_and_b64 s[68:69], s[0:1], s[58:59]
	v_mul_u64_e32 v[20:21], s[4:5], v[18:19]
	v_mul_u64_e32 v[14:15], s[68:69], v[22:23]
	;; [unrolled: 1-line block ×3, first 2 shown]
	s_delay_alu instid0(VALU_DEP_3) | instskip(NEXT) | instid1(VALU_DEP_1)
	v_add_nc_u64_e32 v[20:21], v[26:27], v[20:21]
	v_add_co_u32 v3, vcc_lo, v20, v14
	s_delay_alu instid0(VALU_DEP_2) | instskip(NEXT) | instid1(VALU_DEP_4)
	v_add_co_ci_u32_e32 v26, vcc_lo, v21, v15, vcc_lo
	v_add_co_ci_u32_e32 v25, vcc_lo, 0, v25, vcc_lo
	s_delay_alu instid0(VALU_DEP_1) | instskip(NEXT) | instid1(VALU_DEP_1)
	v_add_nc_u64_e32 v[14:15], v[26:27], v[24:25]
	v_mul_u64_e32 v[20:21], s[66:67], v[14:15]
	s_delay_alu instid0(VALU_DEP_1) | instskip(NEXT) | instid1(VALU_DEP_2)
	v_sub_nc_u32_e32 v3, v22, v21
	v_sub_co_u32 v17, vcc_lo, v18, v20
	s_delay_alu instid0(VALU_DEP_1) | instskip(NEXT) | instid1(VALU_DEP_3)
	v_sub_co_ci_u32_e64 v22, null, v22, v21, vcc_lo
	v_subrev_co_ci_u32_e64 v3, null, s67, v3, vcc_lo
	s_delay_alu instid0(VALU_DEP_3) | instskip(SKIP_1) | instid1(VALU_DEP_3)
	v_sub_co_u32 v18, s0, v17, s66
	v_add_nc_u64_e32 v[20:21], 1, v[14:15]
	v_subrev_co_ci_u32_e64 v3, null, 0, v3, s0
	s_delay_alu instid0(VALU_DEP_3) | instskip(SKIP_1) | instid1(VALU_DEP_3)
	v_cmp_le_u32_e32 vcc_lo, s66, v18
	v_cndmask_b32_e64 v18, 0, -1, vcc_lo
	v_cmp_le_u32_e32 vcc_lo, s67, v3
	v_cndmask_b32_e64 v19, 0, -1, vcc_lo
	;; [unrolled: 2-line block ×4, first 2 shown]
	v_cmp_eq_u32_e32 vcc_lo, s67, v3
	v_cndmask_b32_e32 v3, v19, v18, vcc_lo
	v_cmp_eq_u32_e32 vcc_lo, s67, v22
	v_add_nc_u64_e32 v[18:19], 2, v[14:15]
	v_cndmask_b32_e32 v17, v23, v17, vcc_lo
	s_delay_alu instid0(VALU_DEP_4) | instskip(NEXT) | instid1(VALU_DEP_3)
	v_cmp_ne_u32_e32 vcc_lo, 0, v3
	v_cndmask_b32_e32 v3, v21, v19, vcc_lo
	s_delay_alu instid0(VALU_DEP_3) | instskip(SKIP_1) | instid1(VALU_DEP_1)
	v_cmp_ne_u32_e64 s0, 0, v17
	v_dual_cndmask_b32 v17, v20, v18, vcc_lo :: v_dual_bitop2_b32 v16, s2, v16 bitop3:0x14
	v_dual_cndmask_b32 v3, v15, v3, s0 :: v_dual_cndmask_b32 v14, v14, v17, s0
	s_delay_alu instid0(VALU_DEP_1) | instskip(NEXT) | instid1(VALU_DEP_2)
	v_dual_mov_b32 v17, v16 :: v_dual_bitop2_b32 v15, v3, v16 bitop3:0x14
	v_xor_b32_e32 v14, v14, v16
	s_delay_alu instid0(VALU_DEP_1)
	v_sub_nc_u64_e32 v[18:19], v[14:15], v[16:17]
                                        ; implicit-def: $vgpr14_vgpr15
.LBB15_18:                              ;   in Loop: Header=BB15_4 Depth=1
	s_and_not1_saveexec_b32 s0, s1
	s_cbranch_execz .LBB15_20
; %bb.19:                               ;   in Loop: Header=BB15_4 Depth=1
	v_cvt_f32_u32_e32 v3, s12
	s_sub_co_i32 s1, 0, s12
	v_mov_b32_e32 v19, v2
	s_delay_alu instid0(VALU_DEP_2) | instskip(SKIP_1) | instid1(TRANS32_DEP_1)
	v_rcp_iflag_f32_e32 v3, v3
	v_nop
	v_mul_f32_e32 v3, 0x4f7ffffe, v3
	s_delay_alu instid0(VALU_DEP_1) | instskip(NEXT) | instid1(VALU_DEP_1)
	v_cvt_u32_f32_e32 v3, v3
	v_mul_lo_u32 v15, s1, v3
	s_delay_alu instid0(VALU_DEP_1) | instskip(NEXT) | instid1(VALU_DEP_1)
	v_mul_hi_u32 v15, v3, v15
	v_add_nc_u32_e32 v3, v3, v15
	s_delay_alu instid0(VALU_DEP_1) | instskip(NEXT) | instid1(VALU_DEP_1)
	v_mul_hi_u32 v3, v14, v3
	v_mul_lo_u32 v15, v3, s12
	s_delay_alu instid0(VALU_DEP_1) | instskip(SKIP_1) | instid1(VALU_DEP_2)
	v_sub_nc_u32_e32 v14, v14, v15
	v_add_nc_u32_e32 v15, 1, v3
	v_subrev_nc_u32_e32 v16, s12, v14
	v_cmp_le_u32_e32 vcc_lo, s12, v14
	s_delay_alu instid0(VALU_DEP_2) | instskip(NEXT) | instid1(VALU_DEP_1)
	v_dual_cndmask_b32 v14, v14, v16 :: v_dual_cndmask_b32 v3, v3, v15
	v_cmp_le_u32_e32 vcc_lo, s12, v14
	s_delay_alu instid0(VALU_DEP_2) | instskip(NEXT) | instid1(VALU_DEP_1)
	v_add_nc_u32_e32 v15, 1, v3
	v_cndmask_b32_e32 v18, v3, v15, vcc_lo
.LBB15_20:                              ;   in Loop: Header=BB15_4 Depth=1
	s_or_b32 exec_lo, exec_lo, s0
	v_mul_u64_e32 v[14:15], s[50:51], v[10:11]
	v_mul_u64_e32 v[20:21], s[16:17], v[10:11]
	s_delay_alu instid0(VALU_DEP_3)
	v_mul_u64_e32 v[24:25], s[12:13], v[18:19]
	v_cmp_lt_i64_e32 vcc_lo, 0, v[18:19]
	v_cmp_ge_i64_e64 s0, s[28:29], v[18:19]
	v_mov_b64_e32 v[16:17], 0
	v_add_nc_u64_e32 v[26:27], s[26:27], v[0:1]
	s_and_b32 s0, vcc_lo, s0
	v_sub_nc_u64_e32 v[14:15], v[14:15], v[18:19]
	v_sub_nc_u64_e32 v[30:31], v[0:1], v[20:21]
	v_mov_b64_e32 v[20:21], 0
	s_delay_alu instid0(VALU_DEP_3) | instskip(NEXT) | instid1(VALU_DEP_3)
	v_mul_u64_e32 v[22:23], s[12:13], v[14:15]
	v_sub_nc_u64_e32 v[24:25], v[30:31], v[24:25]
	s_delay_alu instid0(VALU_DEP_2) | instskip(SKIP_1) | instid1(VALU_DEP_2)
	v_add_nc_u64_e32 v[28:29], v[0:1], v[22:23]
	v_cmp_eq_u64_e64 s1, v[22:23], v[6:7]
	v_cmp_lt_i64_e64 s2, s[26:27], v[28:29]
	v_cmp_gt_i64_e64 s3, s[20:21], v[28:29]
	v_cmp_le_i64_e64 s4, s[38:39], v[28:29]
	s_or_b32 s2, s1, s2
	s_and_b32 s1, s3, s4
	s_and_saveexec_b32 s3, s0
	s_cbranch_execz .LBB15_28
; %bb.21:                               ;   in Loop: Header=BB15_4 Depth=1
	v_sub_nc_u64_e32 v[16:17], s[28:29], v[18:19]
	v_mov_b64_e32 v[20:21], 0
	s_mov_b32 s0, exec_lo
	s_delay_alu instid0(VALU_DEP_2) | instskip(NEXT) | instid1(VALU_DEP_1)
	v_mul_u64_e32 v[28:29], s[34:35], v[16:17]
	v_add_nc_u64_e32 v[16:17], v[22:23], v[28:29]
	s_delay_alu instid0(VALU_DEP_1) | instskip(SKIP_1) | instid1(VALU_DEP_2)
	v_add_nc_u64_e32 v[30:31], v[26:27], v[16:17]
	v_mov_b64_e32 v[16:17], 0
	v_cmpx_gt_i64_e64 s[40:41], v[30:31]
	s_cbranch_execz .LBB15_23
; %bb.22:                               ;   in Loop: Header=BB15_4 Depth=1
	v_mul_u64_e32 v[16:17], s[44:45], v[8:9]
	v_mul_u64_e32 v[20:21], s[40:41], v[12:13]
	s_delay_alu instid0(VALU_DEP_2) | instskip(NEXT) | instid1(VALU_DEP_1)
	v_lshl_add_u64 v[16:17], v[16:17], 4, s[10:11]
	v_lshl_add_u64 v[16:17], v[20:21], 4, v[16:17]
	s_delay_alu instid0(VALU_DEP_1)
	v_lshl_add_u64 v[16:17], v[30:31], 4, v[16:17]
	global_load_b128 v[34:37], v[16:17], off
	s_wait_loadcnt 0x0
	v_add_f64_e32 v[20:21], 0, v[34:35]
	s_wait_xcnt 0x0
	v_add_f64_e32 v[16:17], 0, v[36:37]
.LBB15_23:                              ;   in Loop: Header=BB15_4 Depth=1
	s_or_b32 exec_lo, exec_lo, s0
	s_mov_b32 s65, 0
                                        ; implicit-def: $vgpr30_vgpr31
	s_and_saveexec_b32 s0, s2
	s_delay_alu instid0(SALU_CYCLE_1)
	s_xor_b32 s4, exec_lo, s0
	s_cbranch_execnz .LBB15_45
; %bb.24:                               ;   in Loop: Header=BB15_4 Depth=1
	s_and_not1_saveexec_b32 s4, s4
	s_cbranch_execnz .LBB15_48
.LBB15_25:                              ;   in Loop: Header=BB15_4 Depth=1
	s_or_b32 exec_lo, exec_lo, s4
	s_and_saveexec_b32 s0, s65
	s_cbranch_execz .LBB15_27
.LBB15_26:                              ;   in Loop: Header=BB15_4 Depth=1
	v_mul_u64_e32 v[28:29], s[44:45], v[8:9]
	v_mul_u64_e32 v[34:35], s[40:41], v[12:13]
	s_delay_alu instid0(VALU_DEP_2) | instskip(NEXT) | instid1(VALU_DEP_1)
	v_lshl_add_u64 v[28:29], v[28:29], 4, s[10:11]
	v_lshl_add_u64 v[28:29], v[34:35], 4, v[28:29]
	s_delay_alu instid0(VALU_DEP_1)
	v_lshl_add_u64 v[28:29], v[30:31], 4, v[28:29]
	global_load_b128 v[28:31], v[28:29], off
	s_wait_loadcnt 0x0
	v_add_f64_e32 v[20:21], v[20:21], v[28:29]
	v_add_f64_e32 v[16:17], v[16:17], v[30:31]
.LBB15_27:                              ;   in Loop: Header=BB15_4 Depth=1
	s_wait_xcnt 0x0
	s_or_b32 exec_lo, exec_lo, s0
.LBB15_28:                              ;   in Loop: Header=BB15_4 Depth=1
	s_delay_alu instid0(SALU_CYCLE_1) | instskip(SKIP_3) | instid1(SALU_CYCLE_1)
	s_or_b32 exec_lo, exec_lo, s3
	v_cmp_gt_i64_e32 vcc_lo, s[22:23], v[18:19]
	v_cmp_le_i64_e64 s0, s[36:37], v[18:19]
	s_and_b32 s0, vcc_lo, s0
	s_and_saveexec_b32 s3, s0
	s_cbranch_execz .LBB15_36
; %bb.29:                               ;   in Loop: Header=BB15_4 Depth=1
	v_sub_nc_u64_e32 v[28:29], s[46:47], v[18:19]
	s_delay_alu instid0(VALU_DEP_1) | instskip(NEXT) | instid1(VALU_DEP_1)
	v_mul_u64_e32 v[28:29], s[34:35], v[28:29]
	v_add_nc_u64_e32 v[30:31], v[28:29], v[22:23]
	s_delay_alu instid0(VALU_DEP_1) | instskip(NEXT) | instid1(VALU_DEP_1)
	v_add_nc_u64_e32 v[26:27], v[26:27], v[30:31]
	v_cmp_lt_i64_e32 vcc_lo, -1, v[26:27]
	v_cmp_gt_i64_e64 s0, s[40:41], v[26:27]
	s_and_b32 s4, vcc_lo, s0
	s_delay_alu instid0(SALU_CYCLE_1)
	s_and_saveexec_b32 s0, s4
	s_cbranch_execz .LBB15_31
; %bb.30:                               ;   in Loop: Header=BB15_4 Depth=1
	v_mul_u64_e32 v[30:31], s[44:45], v[8:9]
	v_mul_u64_e32 v[34:35], s[40:41], v[12:13]
	s_delay_alu instid0(VALU_DEP_2) | instskip(NEXT) | instid1(VALU_DEP_1)
	v_lshl_add_u64 v[30:31], v[30:31], 4, s[10:11]
	v_lshl_add_u64 v[30:31], v[34:35], 4, v[30:31]
	s_delay_alu instid0(VALU_DEP_1)
	v_lshl_add_u64 v[26:27], v[26:27], 4, v[30:31]
	global_load_b128 v[34:37], v[26:27], off
	s_wait_loadcnt 0x0
	v_add_f64_e32 v[20:21], v[20:21], v[34:35]
	v_add_f64_e32 v[16:17], v[16:17], v[36:37]
.LBB15_31:                              ;   in Loop: Header=BB15_4 Depth=1
	s_wait_xcnt 0x0
	s_or_b32 exec_lo, exec_lo, s0
	s_mov_b32 s65, 0
                                        ; implicit-def: $vgpr26_vgpr27
	s_and_saveexec_b32 s0, s2
	s_delay_alu instid0(SALU_CYCLE_1)
	s_xor_b32 s4, exec_lo, s0
	s_cbranch_execnz .LBB15_49
; %bb.32:                               ;   in Loop: Header=BB15_4 Depth=1
	s_and_not1_saveexec_b32 s4, s4
	s_cbranch_execnz .LBB15_52
.LBB15_33:                              ;   in Loop: Header=BB15_4 Depth=1
	s_or_b32 exec_lo, exec_lo, s4
	s_and_saveexec_b32 s0, s65
	s_cbranch_execz .LBB15_35
.LBB15_34:                              ;   in Loop: Header=BB15_4 Depth=1
	v_mul_u64_e32 v[24:25], s[44:45], v[8:9]
	v_mul_u64_e32 v[28:29], s[40:41], v[12:13]
	s_delay_alu instid0(VALU_DEP_2) | instskip(NEXT) | instid1(VALU_DEP_1)
	v_lshl_add_u64 v[24:25], v[24:25], 4, s[10:11]
	v_lshl_add_u64 v[24:25], v[28:29], 4, v[24:25]
	s_delay_alu instid0(VALU_DEP_1)
	v_lshl_add_u64 v[24:25], v[26:27], 4, v[24:25]
	global_load_b128 v[24:27], v[24:25], off
	s_wait_loadcnt 0x0
	v_add_f64_e32 v[20:21], v[20:21], v[24:25]
	v_add_f64_e32 v[16:17], v[16:17], v[26:27]
.LBB15_35:                              ;   in Loop: Header=BB15_4 Depth=1
	s_wait_xcnt 0x0
	s_or_b32 exec_lo, exec_lo, s0
.LBB15_36:                              ;   in Loop: Header=BB15_4 Depth=1
	s_delay_alu instid0(SALU_CYCLE_1) | instskip(SKIP_1) | instid1(VALU_DEP_1)
	s_or_b32 exec_lo, exec_lo, s3
	v_add_nc_u64_e32 v[26:27], s[28:29], v[18:19]
	v_mul_u64_e32 v[24:25], s[34:35], v[26:27]
	s_and_saveexec_b32 s0, s2
	s_delay_alu instid0(SALU_CYCLE_1)
	s_xor_b32 s0, exec_lo, s0
	s_cbranch_execnz .LBB15_39
; %bb.37:                               ;   in Loop: Header=BB15_4 Depth=1
	s_or_saveexec_b32 s2, s0
	v_add_nc_u64_e32 v[26:27], s[26:27], v[6:7]
	s_xor_b32 exec_lo, exec_lo, s2
	s_cbranch_execnz .LBB15_40
.LBB15_38:                              ;   in Loop: Header=BB15_4 Depth=1
	s_or_b32 exec_lo, exec_lo, s2
	s_and_saveexec_b32 s2, s1
	s_cbranch_execz .LBB15_3
	s_branch .LBB15_43
.LBB15_39:                              ;   in Loop: Header=BB15_4 Depth=1
	v_mul_u64_e32 v[24:25], s[34:35], v[26:27]
                                        ; implicit-def: $vgpr22_vgpr23
	s_or_saveexec_b32 s2, s0
	v_add_nc_u64_e32 v[26:27], s[26:27], v[6:7]
	s_xor_b32 exec_lo, exec_lo, s2
	s_cbranch_execz .LBB15_38
.LBB15_40:                              ;   in Loop: Header=BB15_4 Depth=1
	s_delay_alu instid0(VALU_DEP_2) | instskip(NEXT) | instid1(VALU_DEP_1)
	v_sub_nc_u64_e32 v[22:23], v[24:25], v[22:23]
	v_add_nc_u64_e32 v[22:23], v[26:27], v[22:23]
	s_delay_alu instid0(VALU_DEP_1) | instskip(SKIP_2) | instid1(SALU_CYCLE_1)
	v_cmp_lt_i64_e32 vcc_lo, -1, v[22:23]
	v_cmp_gt_i64_e64 s0, s[40:41], v[22:23]
	s_and_b32 s3, vcc_lo, s0
	s_and_saveexec_b32 s0, s3
	s_cbranch_execz .LBB15_42
; %bb.41:                               ;   in Loop: Header=BB15_4 Depth=1
	v_mul_u64_e32 v[28:29], s[44:45], v[8:9]
	v_mul_u64_e32 v[30:31], s[40:41], v[12:13]
	s_delay_alu instid0(VALU_DEP_2) | instskip(NEXT) | instid1(VALU_DEP_1)
	v_lshl_add_u64 v[28:29], v[28:29], 4, s[10:11]
	v_lshl_add_u64 v[28:29], v[30:31], 4, v[28:29]
	s_delay_alu instid0(VALU_DEP_1)
	v_lshl_add_u64 v[22:23], v[22:23], 4, v[28:29]
	global_load_b128 v[28:31], v[22:23], off
	s_wait_loadcnt 0x0
	v_add_f64_e32 v[20:21], v[20:21], v[28:29]
	v_add_f64_e32 v[16:17], v[16:17], v[30:31]
.LBB15_42:                              ;   in Loop: Header=BB15_4 Depth=1
	s_wait_xcnt 0x0
	s_or_b32 exec_lo, exec_lo, s0
	s_delay_alu instid0(SALU_CYCLE_1)
	s_or_b32 exec_lo, exec_lo, s2
	s_and_saveexec_b32 s2, s1
	s_cbranch_execz .LBB15_3
.LBB15_43:                              ;   in Loop: Header=BB15_4 Depth=1
	v_mad_nc_u64_u32 v[18:19], s14, v10, v[18:19]
	s_delay_alu instid0(VALU_DEP_1) | instskip(NEXT) | instid1(VALU_DEP_1)
	v_mad_u32 v3, s15, v10, v19
	v_mad_u32 v19, s14, v11, v3
	s_delay_alu instid0(VALU_DEP_1) | instskip(NEXT) | instid1(VALU_DEP_1)
	v_add_nc_u64_e32 v[10:11], 2, v[18:19]
	v_mad_nc_u64_u32 v[18:19], s12, v10, v[24:25]
	s_delay_alu instid0(VALU_DEP_1) | instskip(NEXT) | instid1(VALU_DEP_1)
	v_mad_u32 v3, s13, v10, v19
	v_mad_u32 v19, s12, v11, v3
	s_delay_alu instid0(VALU_DEP_1) | instskip(NEXT) | instid1(VALU_DEP_1)
	v_add_nc_u64_e32 v[10:11], v[26:27], v[18:19]
	v_add_nc_u64_e32 v[10:11], -2, v[10:11]
	s_delay_alu instid0(VALU_DEP_1) | instskip(SKIP_2) | instid1(SALU_CYCLE_1)
	v_cmp_lt_i64_e32 vcc_lo, -1, v[10:11]
	v_cmp_gt_i64_e64 s0, s[40:41], v[10:11]
	s_and_b32 s1, vcc_lo, s0
	s_and_saveexec_b32 s0, s1
	s_cbranch_execz .LBB15_2
; %bb.44:                               ;   in Loop: Header=BB15_4 Depth=1
	v_mul_u64_e32 v[18:19], s[44:45], v[8:9]
	v_mul_u64_e32 v[22:23], s[40:41], v[12:13]
	s_delay_alu instid0(VALU_DEP_2) | instskip(NEXT) | instid1(VALU_DEP_1)
	v_lshl_add_u64 v[18:19], v[18:19], 4, s[10:11]
	v_lshl_add_u64 v[18:19], v[22:23], 4, v[18:19]
	s_delay_alu instid0(VALU_DEP_1)
	v_lshl_add_u64 v[10:11], v[10:11], 4, v[18:19]
	global_load_b128 v[26:29], v[10:11], off
	s_wait_loadcnt 0x0
	v_add_f64_e32 v[20:21], v[20:21], v[26:27]
	v_add_f64_e32 v[16:17], v[16:17], v[28:29]
	s_branch .LBB15_2
.LBB15_45:                              ;   in Loop: Header=BB15_4 Depth=1
	s_mov_b32 s0, 0
                                        ; implicit-def: $vgpr30_vgpr31
	s_and_saveexec_b32 s65, s1
	s_delay_alu instid0(SALU_CYCLE_1)
	s_xor_b32 s65, exec_lo, s65
	s_cbranch_execz .LBB15_47
; %bb.46:                               ;   in Loop: Header=BB15_4 Depth=1
	v_mad_nc_u64_u32 v[30:31], s14, v10, v[18:19]
	s_delay_alu instid0(VALU_DEP_1) | instskip(NEXT) | instid1(VALU_DEP_1)
	v_mad_u32 v3, s15, v10, v31
	v_mad_u32 v31, s14, v11, v3
	s_delay_alu instid0(VALU_DEP_1) | instskip(NEXT) | instid1(VALU_DEP_1)
	v_add_nc_u64_e32 v[30:31], 2, v[30:31]
	v_mad_nc_u64_u32 v[34:35], s12, v30, v[28:29]
	s_delay_alu instid0(VALU_DEP_1) | instskip(NEXT) | instid1(VALU_DEP_1)
	v_mad_u32 v3, s13, v30, v35
	v_mad_u32 v35, s12, v31, v3
	v_add_nc_u64_e32 v[30:31], s[26:27], v[6:7]
	s_delay_alu instid0(VALU_DEP_1) | instskip(SKIP_1) | instid1(VALU_DEP_2)
	v_add_nc_u64_e32 v[30:31], v[30:31], v[34:35]
	v_sub_nc_u64_e32 v[34:35], s[42:43], v[24:25]
	v_add_nc_u64_e32 v[30:31], -2, v[30:31]
	s_delay_alu instid0(VALU_DEP_1) | instskip(SKIP_1) | instid1(VALU_DEP_4)
	v_cmp_lt_i64_e32 vcc_lo, -1, v[30:31]
	v_cmp_gt_i64_e64 s0, s[40:41], v[30:31]
	v_add_nc_u64_e32 v[30:31], v[34:35], v[28:29]
	s_and_b32 s0, vcc_lo, s0
	s_delay_alu instid0(SALU_CYCLE_1)
	s_and_b32 s0, s0, exec_lo
.LBB15_47:                              ;   in Loop: Header=BB15_4 Depth=1
	s_or_b32 exec_lo, exec_lo, s65
	s_delay_alu instid0(SALU_CYCLE_1)
	s_and_b32 s65, s0, exec_lo
                                        ; implicit-def: $vgpr28_vgpr29
	s_and_not1_saveexec_b32 s4, s4
	s_cbranch_execz .LBB15_25
.LBB15_48:                              ;   in Loop: Header=BB15_4 Depth=1
	v_sub_nc_u64_e32 v[28:29], v[28:29], v[22:23]
	v_add_nc_u64_e32 v[30:31], s[26:27], v[6:7]
	s_and_not1_b32 s65, s65, exec_lo
	s_delay_alu instid0(VALU_DEP_1) | instskip(NEXT) | instid1(VALU_DEP_1)
	v_add_nc_u64_e32 v[30:31], v[30:31], v[28:29]
	v_cmp_lt_i64_e32 vcc_lo, -1, v[30:31]
	v_cmp_gt_i64_e64 s0, s[40:41], v[30:31]
	s_and_b32 s0, vcc_lo, s0
	s_delay_alu instid0(SALU_CYCLE_1) | instskip(NEXT) | instid1(SALU_CYCLE_1)
	s_and_b32 s0, s0, exec_lo
	s_or_b32 s65, s65, s0
	s_or_b32 exec_lo, exec_lo, s4
	s_and_saveexec_b32 s0, s65
	s_cbranch_execnz .LBB15_26
	s_branch .LBB15_27
.LBB15_49:                              ;   in Loop: Header=BB15_4 Depth=1
	s_mov_b32 s0, 0
                                        ; implicit-def: $vgpr26_vgpr27
	s_and_saveexec_b32 s65, s1
	s_delay_alu instid0(SALU_CYCLE_1)
	s_xor_b32 s65, exec_lo, s65
	s_cbranch_execz .LBB15_51
; %bb.50:                               ;   in Loop: Header=BB15_4 Depth=1
	v_mad_nc_u64_u32 v[26:27], s14, v10, v[18:19]
	s_delay_alu instid0(VALU_DEP_1) | instskip(NEXT) | instid1(VALU_DEP_1)
	v_mad_u32 v3, s15, v10, v27
	v_mad_u32 v27, s14, v11, v3
	s_delay_alu instid0(VALU_DEP_1) | instskip(NEXT) | instid1(VALU_DEP_1)
	v_add_nc_u64_e32 v[26:27], 2, v[26:27]
	v_mad_nc_u64_u32 v[30:31], s12, v26, v[28:29]
	v_add_nc_u64_e32 v[28:29], s[48:49], v[28:29]
	s_delay_alu instid0(VALU_DEP_2) | instskip(NEXT) | instid1(VALU_DEP_1)
	v_mad_u32 v3, s13, v26, v31
	v_mad_u32 v31, s12, v27, v3
	v_add_nc_u64_e32 v[26:27], s[26:27], v[6:7]
	s_delay_alu instid0(VALU_DEP_1) | instskip(NEXT) | instid1(VALU_DEP_1)
	v_add_nc_u64_e32 v[26:27], v[26:27], v[30:31]
	v_add_nc_u64_e32 v[26:27], -2, v[26:27]
	s_delay_alu instid0(VALU_DEP_1) | instskip(SKIP_3) | instid1(SALU_CYCLE_1)
	v_cmp_lt_i64_e32 vcc_lo, -1, v[26:27]
	v_cmp_gt_i64_e64 s0, s[40:41], v[26:27]
	v_sub_nc_u64_e32 v[26:27], v[28:29], v[24:25]
	s_and_b32 s0, vcc_lo, s0
	s_and_b32 s0, s0, exec_lo
.LBB15_51:                              ;   in Loop: Header=BB15_4 Depth=1
	s_or_b32 exec_lo, exec_lo, s65
	s_delay_alu instid0(SALU_CYCLE_1)
	s_and_b32 s65, s0, exec_lo
                                        ; implicit-def: $vgpr28_vgpr29
	s_and_not1_saveexec_b32 s4, s4
	s_cbranch_execz .LBB15_33
.LBB15_52:                              ;   in Loop: Header=BB15_4 Depth=1
	v_sub_nc_u64_e32 v[24:25], v[28:29], v[22:23]
	v_add_nc_u64_e32 v[26:27], s[26:27], v[6:7]
	s_and_not1_b32 s65, s65, exec_lo
	s_delay_alu instid0(VALU_DEP_1) | instskip(NEXT) | instid1(VALU_DEP_1)
	v_add_nc_u64_e32 v[26:27], v[26:27], v[24:25]
	v_cmp_lt_i64_e32 vcc_lo, -1, v[26:27]
	v_cmp_gt_i64_e64 s0, s[40:41], v[26:27]
	s_and_b32 s0, vcc_lo, s0
	s_delay_alu instid0(SALU_CYCLE_1) | instskip(NEXT) | instid1(SALU_CYCLE_1)
	s_and_b32 s0, s0, exec_lo
	s_or_b32 s65, s65, s0
	s_or_b32 exec_lo, exec_lo, s4
	s_and_saveexec_b32 s0, s65
	s_cbranch_execnz .LBB15_34
	s_branch .LBB15_35
.LBB15_53:
	s_endpgm
	.section	.rodata,"a",@progbits
	.p2align	6, 0x0
	.amdhsa_kernel _ZN2at6native12_GLOBAL__N_140reflection_pad2d_backward_det_out_kernelIN3c107complexIdEEEEvPT_PKS6_lliiiiiii
		.amdhsa_group_segment_fixed_size 0
		.amdhsa_private_segment_fixed_size 0
		.amdhsa_kernarg_size 320
		.amdhsa_user_sgpr_count 2
		.amdhsa_user_sgpr_dispatch_ptr 0
		.amdhsa_user_sgpr_queue_ptr 0
		.amdhsa_user_sgpr_kernarg_segment_ptr 1
		.amdhsa_user_sgpr_dispatch_id 0
		.amdhsa_user_sgpr_kernarg_preload_length 0
		.amdhsa_user_sgpr_kernarg_preload_offset 0
		.amdhsa_user_sgpr_private_segment_size 0
		.amdhsa_wavefront_size32 1
		.amdhsa_uses_dynamic_stack 0
		.amdhsa_enable_private_segment 0
		.amdhsa_system_sgpr_workgroup_id_x 1
		.amdhsa_system_sgpr_workgroup_id_y 0
		.amdhsa_system_sgpr_workgroup_id_z 0
		.amdhsa_system_sgpr_workgroup_info 0
		.amdhsa_system_vgpr_workitem_id 0
		.amdhsa_next_free_vgpr 38
		.amdhsa_next_free_sgpr 76
		.amdhsa_named_barrier_count 0
		.amdhsa_reserve_vcc 1
		.amdhsa_float_round_mode_32 0
		.amdhsa_float_round_mode_16_64 0
		.amdhsa_float_denorm_mode_32 3
		.amdhsa_float_denorm_mode_16_64 3
		.amdhsa_fp16_overflow 0
		.amdhsa_memory_ordered 1
		.amdhsa_forward_progress 1
		.amdhsa_inst_pref_size 39
		.amdhsa_round_robin_scheduling 0
		.amdhsa_exception_fp_ieee_invalid_op 0
		.amdhsa_exception_fp_denorm_src 0
		.amdhsa_exception_fp_ieee_div_zero 0
		.amdhsa_exception_fp_ieee_overflow 0
		.amdhsa_exception_fp_ieee_underflow 0
		.amdhsa_exception_fp_ieee_inexact 0
		.amdhsa_exception_int_div_zero 0
	.end_amdhsa_kernel
	.section	.text._ZN2at6native12_GLOBAL__N_140reflection_pad2d_backward_det_out_kernelIN3c107complexIdEEEEvPT_PKS6_lliiiiiii,"axG",@progbits,_ZN2at6native12_GLOBAL__N_140reflection_pad2d_backward_det_out_kernelIN3c107complexIdEEEEvPT_PKS6_lliiiiiii,comdat
.Lfunc_end15:
	.size	_ZN2at6native12_GLOBAL__N_140reflection_pad2d_backward_det_out_kernelIN3c107complexIdEEEEvPT_PKS6_lliiiiiii, .Lfunc_end15-_ZN2at6native12_GLOBAL__N_140reflection_pad2d_backward_det_out_kernelIN3c107complexIdEEEEvPT_PKS6_lliiiiiii
                                        ; -- End function
	.set _ZN2at6native12_GLOBAL__N_140reflection_pad2d_backward_det_out_kernelIN3c107complexIdEEEEvPT_PKS6_lliiiiiii.num_vgpr, 38
	.set _ZN2at6native12_GLOBAL__N_140reflection_pad2d_backward_det_out_kernelIN3c107complexIdEEEEvPT_PKS6_lliiiiiii.num_agpr, 0
	.set _ZN2at6native12_GLOBAL__N_140reflection_pad2d_backward_det_out_kernelIN3c107complexIdEEEEvPT_PKS6_lliiiiiii.numbered_sgpr, 76
	.set _ZN2at6native12_GLOBAL__N_140reflection_pad2d_backward_det_out_kernelIN3c107complexIdEEEEvPT_PKS6_lliiiiiii.num_named_barrier, 0
	.set _ZN2at6native12_GLOBAL__N_140reflection_pad2d_backward_det_out_kernelIN3c107complexIdEEEEvPT_PKS6_lliiiiiii.private_seg_size, 0
	.set _ZN2at6native12_GLOBAL__N_140reflection_pad2d_backward_det_out_kernelIN3c107complexIdEEEEvPT_PKS6_lliiiiiii.uses_vcc, 1
	.set _ZN2at6native12_GLOBAL__N_140reflection_pad2d_backward_det_out_kernelIN3c107complexIdEEEEvPT_PKS6_lliiiiiii.uses_flat_scratch, 0
	.set _ZN2at6native12_GLOBAL__N_140reflection_pad2d_backward_det_out_kernelIN3c107complexIdEEEEvPT_PKS6_lliiiiiii.has_dyn_sized_stack, 0
	.set _ZN2at6native12_GLOBAL__N_140reflection_pad2d_backward_det_out_kernelIN3c107complexIdEEEEvPT_PKS6_lliiiiiii.has_recursion, 0
	.set _ZN2at6native12_GLOBAL__N_140reflection_pad2d_backward_det_out_kernelIN3c107complexIdEEEEvPT_PKS6_lliiiiiii.has_indirect_call, 0
	.section	.AMDGPU.csdata,"",@progbits
; Kernel info:
; codeLenInByte = 4980
; TotalNumSgprs: 78
; NumVgprs: 38
; ScratchSize: 0
; MemoryBound: 0
; FloatMode: 240
; IeeeMode: 1
; LDSByteSize: 0 bytes/workgroup (compile time only)
; SGPRBlocks: 0
; VGPRBlocks: 2
; NumSGPRsForWavesPerEU: 78
; NumVGPRsForWavesPerEU: 38
; NamedBarCnt: 0
; Occupancy: 16
; WaveLimiterHint : 0
; COMPUTE_PGM_RSRC2:SCRATCH_EN: 0
; COMPUTE_PGM_RSRC2:USER_SGPR: 2
; COMPUTE_PGM_RSRC2:TRAP_HANDLER: 0
; COMPUTE_PGM_RSRC2:TGID_X_EN: 1
; COMPUTE_PGM_RSRC2:TGID_Y_EN: 0
; COMPUTE_PGM_RSRC2:TGID_Z_EN: 0
; COMPUTE_PGM_RSRC2:TIDIG_COMP_CNT: 0
	.section	.text._ZN2at6native12_GLOBAL__N_136reflection_pad2d_backward_out_kernelIN3c107complexIdEEEEvPT_PKS6_lliiiiiii,"axG",@progbits,_ZN2at6native12_GLOBAL__N_136reflection_pad2d_backward_out_kernelIN3c107complexIdEEEEvPT_PKS6_lliiiiiii,comdat
	.globl	_ZN2at6native12_GLOBAL__N_136reflection_pad2d_backward_out_kernelIN3c107complexIdEEEEvPT_PKS6_lliiiiiii ; -- Begin function _ZN2at6native12_GLOBAL__N_136reflection_pad2d_backward_out_kernelIN3c107complexIdEEEEvPT_PKS6_lliiiiiii
	.p2align	8
	.type	_ZN2at6native12_GLOBAL__N_136reflection_pad2d_backward_out_kernelIN3c107complexIdEEEEvPT_PKS6_lliiiiiii,@function
_ZN2at6native12_GLOBAL__N_136reflection_pad2d_backward_out_kernelIN3c107complexIdEEEEvPT_PKS6_lliiiiiii: ; @_ZN2at6native12_GLOBAL__N_136reflection_pad2d_backward_out_kernelIN3c107complexIdEEEEvPT_PKS6_lliiiiiii
; %bb.0:
	s_clause 0x2
	s_load_b32 s2, s[0:1], 0x4c
	s_load_b128 s[24:27], s[0:1], 0x20
	s_load_b256 s[4:11], s[0:1], 0x0
	s_bfe_u32 s3, ttmp6, 0x4000c
	s_and_b32 s12, ttmp6, 15
	s_add_co_i32 s3, s3, 1
	s_getreg_b32 s15, hwreg(HW_REG_IB_STS2, 6, 4)
	s_mul_i32 s3, ttmp9, s3
	v_mov_b32_e32 v1, 0
	s_add_co_i32 s3, s12, s3
	s_wait_kmcnt 0x0
	s_and_b32 s14, s2, 0xffff
	s_cmp_eq_u32 s15, 0
	s_mov_b32 s2, s26
	s_cselect_b32 s16, ttmp9, s3
	s_ashr_i32 s3, s26, 31
	v_mad_u32 v0, s16, s14, v0
	s_mov_b32 s12, s27
	s_ashr_i32 s13, s27, 31
	s_add_nc_u64 s[16:17], s[8:9], s[2:3]
	s_ashr_i32 s19, s24, 31
	s_mov_b32 s18, s24
	s_add_nc_u64 s[22:23], s[16:17], s[12:13]
	s_add_nc_u64 s[20:21], s[10:11], s[18:19]
	s_ashr_i32 s13, s25, 31
	s_mov_b32 s12, s25
	s_delay_alu instid0(SALU_CYCLE_1) | instskip(NEXT) | instid1(SALU_CYCLE_1)
	s_add_nc_u64 s[24:25], s[20:21], s[12:13]
	s_mul_u64 s[12:13], s[22:23], s[24:25]
	s_delay_alu instid0(SALU_CYCLE_1)
	v_cmp_gt_i64_e32 vcc_lo, s[12:13], v[0:1]
	s_and_saveexec_b32 s12, vcc_lo
	s_cbranch_execz .LBB16_5
; %bb.1:
	s_load_b96 s[12:14], s[0:1], 0x30
	s_wait_xcnt 0x0
	s_and_b64 s[0:1], s[22:23], 0xffffffff00000000
	s_delay_alu instid0(SALU_CYCLE_1)
	s_cmp_lg_u64 s[0:1], 0
	s_cbranch_scc0 .LBB16_6
; %bb.2:
	s_ashr_i32 s26, s23, 31
	v_add_nc_u64_e32 v[2:3], 0, v[0:1]
	s_mov_b32 s27, s26
	v_mov_b32_e32 v5, 0
	s_add_nc_u64 s[0:1], s[22:23], s[26:27]
	s_delay_alu instid0(SALU_CYCLE_1) | instskip(NEXT) | instid1(VALU_DEP_2)
	s_xor_b64 s[28:29], s[0:1], s[26:27]
	v_mov_b32_e32 v4, v2
	s_cvt_f32_u32 s0, s28
	s_cvt_f32_u32 s1, s29
	s_sub_nc_u64 s[34:35], 0, s[28:29]
	s_delay_alu instid0(SALU_CYCLE_2) | instskip(NEXT) | instid1(SALU_CYCLE_3)
	s_fmamk_f32 s0, s1, 0x4f800000, s0
	v_s_rcp_f32 s0, s0
	s_delay_alu instid0(TRANS32_DEP_1) | instskip(NEXT) | instid1(SALU_CYCLE_3)
	s_mul_f32 s0, s0, 0x5f7ffffc
	s_mul_f32 s1, s0, 0x2f800000
	s_delay_alu instid0(SALU_CYCLE_3) | instskip(NEXT) | instid1(SALU_CYCLE_3)
	s_trunc_f32 s1, s1
	s_fmamk_f32 s0, s1, 0xcf800000, s0
	s_cvt_u32_f32 s31, s1
	s_mov_b32 s1, 0
	s_delay_alu instid0(SALU_CYCLE_1) | instskip(NEXT) | instid1(SALU_CYCLE_3)
	s_cvt_u32_f32 s30, s0
	s_mul_u64 s[36:37], s[34:35], s[30:31]
	s_delay_alu instid0(SALU_CYCLE_1)
	s_mul_hi_u32 s39, s30, s37
	s_mul_i32 s38, s30, s37
	s_mul_hi_u32 s0, s30, s36
	s_mul_i32 s33, s31, s36
	s_add_nc_u64 s[38:39], s[0:1], s[38:39]
	s_mul_hi_u32 s27, s31, s36
	s_mul_hi_u32 s40, s31, s37
	s_add_co_u32 s0, s38, s33
	s_add_co_ci_u32 s0, s39, s27
	s_mul_i32 s36, s31, s37
	s_add_co_ci_u32 s37, s40, 0
	s_delay_alu instid0(SALU_CYCLE_1) | instskip(NEXT) | instid1(SALU_CYCLE_1)
	s_add_nc_u64 s[36:37], s[0:1], s[36:37]
	s_add_co_u32 s30, s30, s36
	s_cselect_b32 s0, -1, 0
	s_delay_alu instid0(SALU_CYCLE_1) | instskip(SKIP_1) | instid1(SALU_CYCLE_1)
	s_cmp_lg_u32 s0, 0
	s_add_co_ci_u32 s31, s31, s37
	s_mul_u64 s[34:35], s[34:35], s[30:31]
	s_delay_alu instid0(SALU_CYCLE_1)
	s_mul_hi_u32 s37, s30, s35
	s_mul_i32 s36, s30, s35
	s_mul_hi_u32 s0, s30, s34
	s_mul_i32 s33, s31, s34
	s_add_nc_u64 s[36:37], s[0:1], s[36:37]
	s_mul_hi_u32 s27, s31, s34
	s_mul_hi_u32 s38, s31, s35
	s_add_co_u32 s0, s36, s33
	s_add_co_ci_u32 s0, s37, s27
	s_mul_i32 s34, s31, s35
	s_add_co_ci_u32 s35, s38, 0
	s_delay_alu instid0(SALU_CYCLE_1) | instskip(NEXT) | instid1(SALU_CYCLE_1)
	s_add_nc_u64 s[34:35], s[0:1], s[34:35]
	s_add_co_u32 s30, s30, s34
	s_cselect_b32 s0, -1, 0
	s_delay_alu instid0(SALU_CYCLE_1)
	s_cmp_lg_u32 s0, 0
	s_add_co_ci_u32 s0, s31, s35
	s_mov_b64 s[34:35], 0xffffffff
	v_nop
	v_mul_u64_e32 v[6:7], s[0:1], v[4:5]
	v_mul_hi_u32 v4, v2, s30
	s_and_b64 s[30:31], s[30:31], s[34:35]
	s_delay_alu instid0(VALU_DEP_1) | instskip(SKIP_1) | instid1(VALU_DEP_1)
	v_add_nc_u64_e32 v[6:7], v[4:5], v[6:7]
	v_mov_b32_e32 v4, v3
	v_mul_u64_e32 v[8:9], s[30:31], v[4:5]
	v_mul_u64_e32 v[10:11], s[0:1], v[4:5]
	s_delay_alu instid0(VALU_DEP_2) | instskip(NEXT) | instid1(VALU_DEP_3)
	v_add_co_u32 v4, vcc_lo, v6, v8
	v_add_co_ci_u32_e32 v4, vcc_lo, v7, v9, vcc_lo
	s_delay_alu instid0(VALU_DEP_3) | instskip(NEXT) | instid1(VALU_DEP_1)
	v_add_co_ci_u32_e32 v11, vcc_lo, 0, v11, vcc_lo
	v_add_nc_u64_e32 v[4:5], v[4:5], v[10:11]
	s_delay_alu instid0(VALU_DEP_1) | instskip(NEXT) | instid1(VALU_DEP_1)
	v_mul_u64_e32 v[6:7], s[28:29], v[4:5]
	v_sub_nc_u32_e32 v8, v3, v7
	s_delay_alu instid0(VALU_DEP_2) | instskip(NEXT) | instid1(VALU_DEP_1)
	v_sub_co_u32 v2, vcc_lo, v2, v6
	v_sub_co_ci_u32_e64 v7, null, v3, v7, vcc_lo
	s_delay_alu instid0(VALU_DEP_3) | instskip(NEXT) | instid1(VALU_DEP_3)
	v_subrev_co_ci_u32_e64 v6, null, s29, v8, vcc_lo
	v_sub_co_u32 v10, s0, v2, s28
	v_cmp_le_u32_e32 vcc_lo, s28, v2
	s_delay_alu instid0(VALU_DEP_3) | instskip(NEXT) | instid1(VALU_DEP_3)
	v_subrev_co_ci_u32_e64 v6, null, 0, v6, s0
	v_cmp_le_u32_e64 s0, s28, v10
	v_add_nc_u64_e32 v[8:9], 2, v[4:5]
	v_cndmask_b32_e64 v12, 0, -1, vcc_lo
	s_delay_alu instid0(VALU_DEP_4) | instskip(SKIP_3) | instid1(VALU_DEP_1)
	v_cmp_eq_u32_e32 vcc_lo, s29, v6
	v_add_nc_u64_e32 v[2:3], 1, v[4:5]
	v_cndmask_b32_e64 v10, 0, -1, s0
	v_cmp_le_u32_e64 s0, s29, v6
	v_cndmask_b32_e64 v11, 0, -1, s0
	v_cmp_eq_u32_e64 s0, s29, v7
	s_delay_alu instid0(VALU_DEP_2) | instskip(SKIP_2) | instid1(VALU_DEP_3)
	v_cndmask_b32_e32 v6, v11, v10, vcc_lo
	v_cmp_le_u32_e32 vcc_lo, s29, v7
	v_cndmask_b32_e64 v10, 0, -1, vcc_lo
	v_cmp_ne_u32_e32 vcc_lo, 0, v6
	s_delay_alu instid0(VALU_DEP_2) | instskip(SKIP_1) | instid1(VALU_DEP_2)
	v_dual_cndmask_b32 v6, v10, v12, s0 :: v_dual_cndmask_b32 v3, v3, v9, vcc_lo
	v_cndmask_b32_e32 v2, v2, v8, vcc_lo
	v_cmp_ne_u32_e32 vcc_lo, 0, v6
	s_delay_alu instid0(VALU_DEP_2) | instskip(SKIP_1) | instid1(VALU_DEP_2)
	v_dual_cndmask_b32 v5, v5, v3 :: v_dual_cndmask_b32 v4, v4, v2
	v_dual_mov_b32 v3, s26 :: v_dual_mov_b32 v2, s26
	v_xor_b32_e32 v5, s26, v5
	s_delay_alu instid0(VALU_DEP_3) | instskip(NEXT) | instid1(VALU_DEP_1)
	v_xor_b32_e32 v4, s26, v4
	v_sub_nc_u64_e32 v[2:3], v[4:5], v[2:3]
	s_cbranch_execnz .LBB16_4
.LBB16_3:
	v_cvt_f32_u32_e32 v2, s22
	s_sub_co_i32 s0, 0, s22
	s_delay_alu instid0(VALU_DEP_1) | instskip(SKIP_1) | instid1(TRANS32_DEP_1)
	v_rcp_iflag_f32_e32 v2, v2
	v_nop
	v_mul_f32_e32 v2, 0x4f7ffffe, v2
	s_delay_alu instid0(VALU_DEP_1) | instskip(NEXT) | instid1(VALU_DEP_1)
	v_cvt_u32_f32_e32 v2, v2
	v_mul_lo_u32 v3, s0, v2
	s_delay_alu instid0(VALU_DEP_1) | instskip(NEXT) | instid1(VALU_DEP_1)
	v_mul_hi_u32 v3, v2, v3
	v_add_nc_u32_e32 v2, v2, v3
	s_delay_alu instid0(VALU_DEP_1) | instskip(NEXT) | instid1(VALU_DEP_1)
	v_mul_hi_u32 v2, v0, v2
	v_mul_lo_u32 v3, v2, s22
	s_delay_alu instid0(VALU_DEP_1) | instskip(NEXT) | instid1(VALU_DEP_1)
	v_dual_add_nc_u32 v4, 1, v2 :: v_dual_sub_nc_u32 v3, v0, v3
	v_subrev_nc_u32_e32 v5, s22, v3
	v_cmp_le_u32_e32 vcc_lo, s22, v3
	s_delay_alu instid0(VALU_DEP_2) | instskip(NEXT) | instid1(VALU_DEP_1)
	v_dual_cndmask_b32 v3, v3, v5 :: v_dual_cndmask_b32 v2, v2, v4
	v_cmp_le_u32_e32 vcc_lo, s22, v3
	s_delay_alu instid0(VALU_DEP_2) | instskip(NEXT) | instid1(VALU_DEP_1)
	v_dual_mov_b32 v3, 0 :: v_dual_add_nc_u32 v4, 1, v2
	v_cndmask_b32_e32 v2, v2, v4, vcc_lo
.LBB16_4:
	s_bfe_u32 s0, ttmp6, 0x40010
	s_bfe_u32 s26, ttmp6, 0x40014
	s_and_b32 s1, ttmp7, 0xffff
	s_add_co_i32 s0, s0, 1
	s_lshr_b32 s27, ttmp7, 16
	s_add_co_i32 s26, s26, 1
	s_mul_i32 s0, s1, s0
	s_bfe_u32 s28, ttmp6, 0x40004
	s_mul_i32 s26, s27, s26
	s_bfe_u32 s29, ttmp6, 0x40008
	s_add_co_i32 s28, s28, s0
	s_add_co_i32 s29, s29, s26
	s_cmp_eq_u32 s15, 0
	v_mul_u64_e32 v[6:7], s[22:23], v[2:3]
	s_cselect_b32 s0, s27, s29
	s_cselect_b32 s1, s1, s28
	s_wait_kmcnt 0x0
	s_add_co_i32 s0, s13, s0
	s_add_co_i32 s1, s12, s1
	s_mul_i32 s0, s0, s14
	v_max_i64 v[8:9], s[18:19], 0
	s_add_co_i32 s0, s1, s0
	v_sub_nc_u64_e64 v[10:11], v[2:3], s[20:21]
	v_mad_nc_u64_u32 v[4:5], s24, s0, v[2:3]
	v_sub_nc_u64_e64 v[16:17], v[2:3], s[18:19]
	s_mov_b32 s1, 0
	s_delay_alu instid0(VALU_DEP_3) | instskip(SKIP_4) | instid1(VALU_DEP_2)
	v_add_nc_u64_e32 v[14:15], 1, v[10:11]
	v_not_b32_e32 v11, v11
	v_not_b32_e32 v10, v10
	v_mad_u32 v5, s25, s0, v5
	s_mul_u64 s[0:1], s[10:11], s[0:1]
	v_max_i64 v[10:11], v[14:15], v[10:11]
	v_sub_nc_u64_e32 v[14:15], 0, v[16:17]
	s_delay_alu instid0(VALU_DEP_1) | instskip(NEXT) | instid1(VALU_DEP_4)
	v_max_i64 v[14:15], v[16:17], v[14:15]
	v_mul_u64_e32 v[4:5], s[22:23], v[4:5]
	v_sub_nc_u64_e32 v[0:1], v[0:1], v[6:7]
	v_max_i64 v[16:17], s[2:3], 0
	v_not_b32_e32 v8, v8
	v_not_b32_e32 v9, v9
	s_delay_alu instid0(VALU_DEP_4) | instskip(NEXT) | instid1(VALU_DEP_1)
	v_sub_nc_u64_e64 v[18:19], v[0:1], s[16:17]
	v_add_nc_u64_e32 v[20:21], 1, v[18:19]
	v_not_b32_e32 v19, v19
	v_not_b32_e32 v18, v18
	v_add_nc_u64_e32 v[2:3], v[2:3], v[10:11]
	v_sub_nc_u64_e64 v[10:11], v[0:1], s[2:3]
	v_lshl_add_u64 v[4:5], v[4:5], 4, s[6:7]
	s_sub_nc_u64 s[6:7], 0, s[18:19]
	s_delay_alu instid0(SALU_CYCLE_1) | instskip(SKIP_1) | instid1(VALU_DEP_2)
	v_max_i64 v[12:13], s[6:7], 0
	s_add_nc_u64 s[6:7], s[20:21], s[18:19]
	v_lshl_add_u64 v[4:5], v[0:1], 4, v[4:5]
	v_add_nc_u64_e32 v[8:9], s[6:7], v[8:9]
	s_sub_nc_u64 s[6:7], 0, s[2:3]
	global_load_b128 v[4:7], v[4:5], off
	v_add_nc_u64_e32 v[8:9], v[8:9], v[12:13]
	v_max_i64 v[12:13], v[20:21], v[18:19]
	v_max_i64 v[18:19], s[6:7], 0
	s_delay_alu instid0(VALU_DEP_3) | instskip(SKIP_1) | instid1(VALU_DEP_1)
	v_add_nc_u64_e32 v[8:9], s[0:1], v[8:9]
	s_add_nc_u64 s[0:1], s[16:17], s[2:3]
	v_sub_nc_u64_e32 v[2:3], v[8:9], v[2:3]
	v_sub_nc_u64_e32 v[8:9], 0, v[10:11]
	s_delay_alu instid0(VALU_DEP_2) | instskip(NEXT) | instid1(VALU_DEP_2)
	v_add_nc_u64_e32 v[2:3], v[2:3], v[14:15]
	v_max_i64 v[8:9], v[10:11], v[8:9]
	v_not_b32_e32 v10, v16
	v_not_b32_e32 v11, v17
	s_delay_alu instid0(VALU_DEP_4) | instskip(NEXT) | instid1(VALU_DEP_2)
	v_mul_u64_e32 v[2:3], s[8:9], v[2:3]
	v_add_nc_u64_e32 v[10:11], s[0:1], v[10:11]
	v_add_nc_u64_e32 v[0:1], v[0:1], v[12:13]
	s_delay_alu instid0(VALU_DEP_2) | instskip(NEXT) | instid1(VALU_DEP_1)
	v_add_nc_u64_e32 v[10:11], v[10:11], v[18:19]
	v_sub_nc_u64_e32 v[0:1], v[10:11], v[0:1]
	s_delay_alu instid0(VALU_DEP_1) | instskip(NEXT) | instid1(VALU_DEP_1)
	v_lshl_add_u64 v[0:1], v[0:1], 4, s[4:5]
	v_lshl_add_u64 v[0:1], v[8:9], 4, v[0:1]
	s_delay_alu instid0(VALU_DEP_1)
	v_lshl_add_u64 v[0:1], v[2:3], 4, v[0:1]
	s_wait_xcnt 0x0
	s_wait_loadcnt 0x0
	global_atomic_add_f64 v[0:1], v[4:5], off scope:SCOPE_DEV
	s_wait_xcnt 0x0
	global_atomic_add_f64 v[0:1], v[6:7], off offset:8 scope:SCOPE_DEV
.LBB16_5:
	s_endpgm
.LBB16_6:
                                        ; implicit-def: $vgpr2_vgpr3
	s_branch .LBB16_3
	.section	.rodata,"a",@progbits
	.p2align	6, 0x0
	.amdhsa_kernel _ZN2at6native12_GLOBAL__N_136reflection_pad2d_backward_out_kernelIN3c107complexIdEEEEvPT_PKS6_lliiiiiii
		.amdhsa_group_segment_fixed_size 0
		.amdhsa_private_segment_fixed_size 0
		.amdhsa_kernarg_size 320
		.amdhsa_user_sgpr_count 2
		.amdhsa_user_sgpr_dispatch_ptr 0
		.amdhsa_user_sgpr_queue_ptr 0
		.amdhsa_user_sgpr_kernarg_segment_ptr 1
		.amdhsa_user_sgpr_dispatch_id 0
		.amdhsa_user_sgpr_kernarg_preload_length 0
		.amdhsa_user_sgpr_kernarg_preload_offset 0
		.amdhsa_user_sgpr_private_segment_size 0
		.amdhsa_wavefront_size32 1
		.amdhsa_uses_dynamic_stack 0
		.amdhsa_enable_private_segment 0
		.amdhsa_system_sgpr_workgroup_id_x 1
		.amdhsa_system_sgpr_workgroup_id_y 1
		.amdhsa_system_sgpr_workgroup_id_z 1
		.amdhsa_system_sgpr_workgroup_info 0
		.amdhsa_system_vgpr_workitem_id 0
		.amdhsa_next_free_vgpr 22
		.amdhsa_next_free_sgpr 41
		.amdhsa_named_barrier_count 0
		.amdhsa_reserve_vcc 1
		.amdhsa_float_round_mode_32 0
		.amdhsa_float_round_mode_16_64 0
		.amdhsa_float_denorm_mode_32 3
		.amdhsa_float_denorm_mode_16_64 3
		.amdhsa_fp16_overflow 0
		.amdhsa_memory_ordered 1
		.amdhsa_forward_progress 1
		.amdhsa_inst_pref_size 11
		.amdhsa_round_robin_scheduling 0
		.amdhsa_exception_fp_ieee_invalid_op 0
		.amdhsa_exception_fp_denorm_src 0
		.amdhsa_exception_fp_ieee_div_zero 0
		.amdhsa_exception_fp_ieee_overflow 0
		.amdhsa_exception_fp_ieee_underflow 0
		.amdhsa_exception_fp_ieee_inexact 0
		.amdhsa_exception_int_div_zero 0
	.end_amdhsa_kernel
	.section	.text._ZN2at6native12_GLOBAL__N_136reflection_pad2d_backward_out_kernelIN3c107complexIdEEEEvPT_PKS6_lliiiiiii,"axG",@progbits,_ZN2at6native12_GLOBAL__N_136reflection_pad2d_backward_out_kernelIN3c107complexIdEEEEvPT_PKS6_lliiiiiii,comdat
.Lfunc_end16:
	.size	_ZN2at6native12_GLOBAL__N_136reflection_pad2d_backward_out_kernelIN3c107complexIdEEEEvPT_PKS6_lliiiiiii, .Lfunc_end16-_ZN2at6native12_GLOBAL__N_136reflection_pad2d_backward_out_kernelIN3c107complexIdEEEEvPT_PKS6_lliiiiiii
                                        ; -- End function
	.set _ZN2at6native12_GLOBAL__N_136reflection_pad2d_backward_out_kernelIN3c107complexIdEEEEvPT_PKS6_lliiiiiii.num_vgpr, 22
	.set _ZN2at6native12_GLOBAL__N_136reflection_pad2d_backward_out_kernelIN3c107complexIdEEEEvPT_PKS6_lliiiiiii.num_agpr, 0
	.set _ZN2at6native12_GLOBAL__N_136reflection_pad2d_backward_out_kernelIN3c107complexIdEEEEvPT_PKS6_lliiiiiii.numbered_sgpr, 41
	.set _ZN2at6native12_GLOBAL__N_136reflection_pad2d_backward_out_kernelIN3c107complexIdEEEEvPT_PKS6_lliiiiiii.num_named_barrier, 0
	.set _ZN2at6native12_GLOBAL__N_136reflection_pad2d_backward_out_kernelIN3c107complexIdEEEEvPT_PKS6_lliiiiiii.private_seg_size, 0
	.set _ZN2at6native12_GLOBAL__N_136reflection_pad2d_backward_out_kernelIN3c107complexIdEEEEvPT_PKS6_lliiiiiii.uses_vcc, 1
	.set _ZN2at6native12_GLOBAL__N_136reflection_pad2d_backward_out_kernelIN3c107complexIdEEEEvPT_PKS6_lliiiiiii.uses_flat_scratch, 0
	.set _ZN2at6native12_GLOBAL__N_136reflection_pad2d_backward_out_kernelIN3c107complexIdEEEEvPT_PKS6_lliiiiiii.has_dyn_sized_stack, 0
	.set _ZN2at6native12_GLOBAL__N_136reflection_pad2d_backward_out_kernelIN3c107complexIdEEEEvPT_PKS6_lliiiiiii.has_recursion, 0
	.set _ZN2at6native12_GLOBAL__N_136reflection_pad2d_backward_out_kernelIN3c107complexIdEEEEvPT_PKS6_lliiiiiii.has_indirect_call, 0
	.section	.AMDGPU.csdata,"",@progbits
; Kernel info:
; codeLenInByte = 1380
; TotalNumSgprs: 43
; NumVgprs: 22
; ScratchSize: 0
; MemoryBound: 0
; FloatMode: 240
; IeeeMode: 1
; LDSByteSize: 0 bytes/workgroup (compile time only)
; SGPRBlocks: 0
; VGPRBlocks: 1
; NumSGPRsForWavesPerEU: 43
; NumVGPRsForWavesPerEU: 22
; NamedBarCnt: 0
; Occupancy: 16
; WaveLimiterHint : 0
; COMPUTE_PGM_RSRC2:SCRATCH_EN: 0
; COMPUTE_PGM_RSRC2:USER_SGPR: 2
; COMPUTE_PGM_RSRC2:TRAP_HANDLER: 0
; COMPUTE_PGM_RSRC2:TGID_X_EN: 1
; COMPUTE_PGM_RSRC2:TGID_Y_EN: 1
; COMPUTE_PGM_RSRC2:TGID_Z_EN: 1
; COMPUTE_PGM_RSRC2:TIDIG_COMP_CNT: 0
	.section	.text._ZN2at6native12_GLOBAL__N_140reflection_pad2d_backward_det_out_kernelIN3c107complexIfEEEEvPT_PKS6_lliiiiiii,"axG",@progbits,_ZN2at6native12_GLOBAL__N_140reflection_pad2d_backward_det_out_kernelIN3c107complexIfEEEEvPT_PKS6_lliiiiiii,comdat
	.globl	_ZN2at6native12_GLOBAL__N_140reflection_pad2d_backward_det_out_kernelIN3c107complexIfEEEEvPT_PKS6_lliiiiiii ; -- Begin function _ZN2at6native12_GLOBAL__N_140reflection_pad2d_backward_det_out_kernelIN3c107complexIfEEEEvPT_PKS6_lliiiiiii
	.p2align	8
	.type	_ZN2at6native12_GLOBAL__N_140reflection_pad2d_backward_det_out_kernelIN3c107complexIfEEEEvPT_PKS6_lliiiiiii,@function
_ZN2at6native12_GLOBAL__N_140reflection_pad2d_backward_det_out_kernelIN3c107complexIfEEEEvPT_PKS6_lliiiiiii: ; @_ZN2at6native12_GLOBAL__N_140reflection_pad2d_backward_det_out_kernelIN3c107complexIfEEEEvPT_PKS6_lliiiiiii
; %bb.0:
	s_clause 0x2
	s_load_b32 s2, s[0:1], 0x4c
	s_load_b64 s[4:5], s[0:1], 0x30
	s_load_b256 s[8:15], s[0:1], 0x0
	s_bfe_u32 s3, ttmp6, 0x4000c
	s_and_b32 s6, ttmp6, 15
	s_add_co_i32 s3, s3, 1
	s_getreg_b32 s7, hwreg(HW_REG_IB_STS2, 6, 4)
	s_mul_i32 s3, ttmp9, s3
	v_mov_b32_e32 v2, 0
	s_add_co_i32 s6, s6, s3
	s_mov_b32 s23, 0
	s_delay_alu instid0(VALU_DEP_1)
	v_mov_b32_e32 v1, v2
	s_wait_kmcnt 0x0
	s_and_b32 s2, s2, 0xffff
	s_cmp_eq_u32 s7, 0
	s_mul_u64 s[18:19], s[14:15], s[12:13]
	s_cselect_b32 s3, ttmp9, s6
	s_ashr_i32 s7, s4, 31
	v_mad_u32 v0, s3, s2, v0
	s_mov_b32 s6, s4
	s_ashr_i32 s17, s5, 31
	s_mov_b32 s16, s5
	s_mul_u64 s[4:5], s[18:19], s[6:7]
	s_mov_b32 s3, exec_lo
	s_mul_u64 s[20:21], s[4:5], s[16:17]
	s_delay_alu instid0(VALU_DEP_1) | instid1(SALU_CYCLE_1)
	v_cmpx_gt_i64_e64 s[20:21], v[0:1]
	s_cbranch_execz .LBB17_53
; %bb.1:
	s_load_b128 s[4:7], s[0:1], 0x20
	s_wait_xcnt 0x0
	s_add_nc_u64 s[0:1], s[0:1], 64
	s_mul_u64 s[26:27], s[18:19], s[16:17]
	s_load_b32 s22, s[0:1], 0x0
	v_cvt_f32_u32_e32 v3, s26
	s_mov_b32 s3, s23
	s_add_nc_u64 s[28:29], s[14:15], -1
	v_sub_nc_u64_e32 v[4:5], 0, v[0:1]
	v_lshlrev_b64_e32 v[6:7], 3, v[0:1]
	v_rcp_iflag_f32_e32 v3, v3
	s_add_nc_u64 s[24:25], s[12:13], -1
	s_sub_nc_u64 s[52:53], 0, s[14:15]
	s_lshl_b64 s[54:55], s[16:17], 3
	s_lshl_b64 s[56:57], s[12:13], 3
	s_mov_b64 s[60:61], 0xffffffff
	s_sub_nc_u64 s[64:65], 0, s[18:19]
	v_nop
	v_mul_f32_e32 v3, 0x4f7ffffe, v3
	s_ashr_i32 s66, s27, 31
	s_mov_b32 s33, 0
	s_wait_kmcnt 0x0
	s_ashr_i32 s31, s6, 31
	s_mov_b32 s30, s6
	s_ashr_i32 s1, s7, 31
	s_mov_b32 s0, s7
	;; [unrolled: 2-line block ×4, first 2 shown]
	s_add_nc_u64 s[4:5], s[12:13], s[30:31]
	s_add_nc_u64 s[40:41], s[14:15], s[6:7]
	s_not_b64 s[42:43], s[0:1]
	s_add_nc_u64 s[36:37], s[4:5], s[0:1]
	s_add_nc_u64 s[0:1], s[40:41], s[38:39]
	s_mul_u64 s[34:35], s[2:3], s[22:23]
	s_not_b64 s[2:3], s[38:39]
	s_add_nc_u64 s[40:41], s[12:13], s[42:43]
	s_mul_u64 s[42:43], s[36:37], s[0:1]
	s_lshl_b64 s[0:1], s[28:29], 1
	v_cvt_u32_f32_e32 v30, v3
	s_add_nc_u64 s[4:5], s[4:5], s[24:25]
	s_add_nc_u64 s[38:39], s[14:15], s[2:3]
	s_lshl_b64 s[2:3], s[24:25], 1
	s_add_nc_u64 s[48:49], s[0:1], s[6:7]
	s_lshl_b64 s[0:1], s[30:31], 3
	s_add_nc_u64 s[44:45], s[4:5], -1
	s_mul_u64 s[46:47], s[42:43], s[16:17]
	s_add_nc_u64 s[50:51], s[2:3], s[30:31]
	s_add_nc_u64 s[58:59], s[10:11], s[0:1]
	s_lshl_b64 s[62:63], s[34:35], 3
	s_branch .LBB17_4
.LBB17_2:                               ;   in Loop: Header=BB17_4 Depth=1
	s_wait_xcnt 0x0
	s_or_b32 exec_lo, exec_lo, s0
.LBB17_3:                               ;   in Loop: Header=BB17_4 Depth=1
	s_delay_alu instid0(SALU_CYCLE_1) | instskip(SKIP_4) | instid1(VALU_DEP_3)
	s_or_b32 exec_lo, exec_lo, s2
	v_mul_u64_e32 v[10:11], s[56:57], v[14:15]
	v_lshlrev_b64_e32 v[12:13], 3, v[12:13]
	v_add_nc_u64_e32 v[0:1], s[34:35], v[0:1]
	v_sub_nc_u64_e64 v[4:5], v[4:5], s[34:35]
	v_mad_nc_u64_u32 v[12:13], s54, v8, v[12:13]
	s_delay_alu instid0(VALU_DEP_3) | instskip(SKIP_1) | instid1(VALU_DEP_2)
	v_cmp_le_i64_e32 vcc_lo, s[20:21], v[0:1]
	s_or_b32 s33, vcc_lo, s33
	v_mad_u32 v3, s55, v8, v13
	s_delay_alu instid0(VALU_DEP_1) | instskip(NEXT) | instid1(VALU_DEP_4)
	v_mad_u32 v3, s54, v9, v3
	v_mad_nc_u64_u32 v[10:11], s42, v12, v[10:11]
	s_delay_alu instid0(VALU_DEP_1) | instskip(NEXT) | instid1(VALU_DEP_1)
	v_mad_u32 v8, s43, v12, v11
	v_mad_u32 v11, s42, v3, v8
	s_delay_alu instid0(VALU_DEP_1) | instskip(SKIP_1) | instid1(VALU_DEP_2)
	v_lshl_add_u64 v[8:9], v[22:23], 3, v[10:11]
	v_add_nc_u64_e32 v[10:11], s[8:9], v[6:7]
	v_add_nc_u64_e32 v[8:9], v[6:7], v[8:9]
	;; [unrolled: 1-line block ×3, first 2 shown]
	s_delay_alu instid0(VALU_DEP_2)
	v_add_nc_u64_e32 v[8:9], s[58:59], v[8:9]
	global_load_b64 v[8:9], v[8:9], off
	global_load_b64 v[12:13], v[10:11], off
	s_wait_loadcnt 0x1
	s_wait_xcnt 0x1
	v_pk_add_f32 v[8:9], v[18:19], v[8:9]
	s_wait_loadcnt 0x0
	s_delay_alu instid0(VALU_DEP_1)
	v_pk_add_f32 v[8:9], v[8:9], v[12:13]
	global_store_b64 v[10:11], v[8:9], off
	s_wait_xcnt 0x0
	s_and_not1_b32 exec_lo, exec_lo, s33
	s_cbranch_execz .LBB17_53
.LBB17_4:                               ; =>This Inner Loop Header: Depth=1
	v_dual_ashrrev_i32 v12, 31, v1 :: v_dual_bitop2_b32 v3, s27, v1 bitop3:0x54
                                        ; implicit-def: $vgpr8_vgpr9
	s_mov_b32 s0, exec_lo
	s_delay_alu instid0(VALU_DEP_1)
	v_cmpx_ne_u64_e32 0, v[2:3]
	s_xor_b32 s1, exec_lo, s0
	s_cbranch_execz .LBB17_6
; %bb.5:                                ;   in Loop: Header=BB17_4 Depth=1
	s_mov_b32 s67, s66
	v_dual_mov_b32 v13, v12 :: v_dual_mov_b32 v11, v2
	s_add_nc_u64 s[2:3], s[26:27], s[66:67]
	v_mov_b32_e32 v17, v2
	s_xor_b64 s[2:3], s[2:3], s[66:67]
	s_delay_alu instid0(VALU_DEP_2) | instskip(SKIP_4) | instid1(SALU_CYCLE_1)
	v_add_nc_u64_e32 v[8:9], v[0:1], v[12:13]
	s_cvt_f32_u32 s0, s2
	s_cvt_f32_u32 s4, s3
	s_sub_nc_u64 s[68:69], 0, s[2:3]
	v_mov_b32_e32 v21, v2
	s_fmamk_f32 s0, s4, 0x4f800000, s0
	s_delay_alu instid0(VALU_DEP_2) | instskip(SKIP_1) | instid1(SALU_CYCLE_1)
	v_xor_b32_e32 v10, v8, v12
	v_xor_b32_e32 v16, v9, v12
	v_s_rcp_f32 s0, s0
	s_delay_alu instid0(TRANS32_DEP_1) | instskip(NEXT) | instid1(SALU_CYCLE_3)
	s_mul_f32 s0, s0, 0x5f7ffffc
	s_mul_f32 s4, s0, 0x2f800000
	s_delay_alu instid0(SALU_CYCLE_3) | instskip(NEXT) | instid1(SALU_CYCLE_3)
	s_trunc_f32 s4, s4
	s_fmamk_f32 s0, s4, 0xcf800000, s0
	s_cvt_u32_f32 s5, s4
	s_delay_alu instid0(SALU_CYCLE_2) | instskip(NEXT) | instid1(SALU_CYCLE_3)
	s_cvt_u32_f32 s4, s0
	s_mul_u64 s[70:71], s[68:69], s[4:5]
	s_delay_alu instid0(SALU_CYCLE_1)
	s_mul_hi_u32 s73, s4, s71
	s_mul_i32 s72, s4, s71
	s_mul_hi_u32 s22, s4, s70
	s_mul_i32 s67, s5, s70
	s_add_nc_u64 s[72:73], s[22:23], s[72:73]
	s_mul_hi_u32 s0, s5, s70
	s_mul_hi_u32 s74, s5, s71
	s_add_co_u32 s22, s72, s67
	s_add_co_ci_u32 s22, s73, s0
	s_mul_i32 s70, s5, s71
	s_add_co_ci_u32 s71, s74, 0
	s_delay_alu instid0(SALU_CYCLE_1) | instskip(NEXT) | instid1(SALU_CYCLE_1)
	s_add_nc_u64 s[70:71], s[22:23], s[70:71]
	s_add_co_u32 s4, s4, s70
	s_cselect_b32 s0, -1, 0
	s_delay_alu instid0(SALU_CYCLE_1) | instskip(SKIP_1) | instid1(SALU_CYCLE_1)
	s_cmp_lg_u32 s0, 0
	s_add_co_ci_u32 s5, s5, s71
	s_mul_u64 s[68:69], s[68:69], s[4:5]
	s_delay_alu instid0(SALU_CYCLE_1)
	s_mul_hi_u32 s71, s4, s69
	s_mul_i32 s70, s4, s69
	s_mul_hi_u32 s22, s4, s68
	s_mul_i32 s67, s5, s68
	s_add_nc_u64 s[70:71], s[22:23], s[70:71]
	s_mul_hi_u32 s0, s5, s68
	s_mul_hi_u32 s72, s5, s69
	s_add_co_u32 s22, s70, s67
	s_add_co_ci_u32 s22, s71, s0
	s_mul_i32 s68, s5, s69
	s_add_co_ci_u32 s69, s72, 0
	s_delay_alu instid0(SALU_CYCLE_1) | instskip(NEXT) | instid1(SALU_CYCLE_1)
	s_add_nc_u64 s[68:69], s[22:23], s[68:69]
	s_add_co_u32 s0, s4, s68
	s_cselect_b32 s4, -1, 0
	v_nop
	v_mul_hi_u32 v20, v10, s0
	s_cmp_lg_u32 s4, 0
	s_add_co_ci_u32 s22, s5, s69
	s_and_b64 s[4:5], s[0:1], s[60:61]
	v_mul_u64_e32 v[14:15], s[22:23], v[10:11]
	v_mul_u64_e32 v[8:9], s[4:5], v[16:17]
	;; [unrolled: 1-line block ×3, first 2 shown]
	s_delay_alu instid0(VALU_DEP_3) | instskip(NEXT) | instid1(VALU_DEP_1)
	v_add_nc_u64_e32 v[14:15], v[20:21], v[14:15]
	v_add_co_u32 v3, vcc_lo, v14, v8
	s_delay_alu instid0(VALU_DEP_2) | instskip(NEXT) | instid1(VALU_DEP_4)
	v_add_co_ci_u32_e32 v20, vcc_lo, v15, v9, vcc_lo
	v_add_co_ci_u32_e32 v19, vcc_lo, 0, v19, vcc_lo
	s_delay_alu instid0(VALU_DEP_1) | instskip(NEXT) | instid1(VALU_DEP_1)
	v_add_nc_u64_e32 v[8:9], v[20:21], v[18:19]
	v_mul_u64_e32 v[14:15], s[2:3], v[8:9]
	s_delay_alu instid0(VALU_DEP_1) | instskip(NEXT) | instid1(VALU_DEP_2)
	v_sub_nc_u32_e32 v3, v16, v15
	v_sub_co_u32 v10, vcc_lo, v10, v14
	s_delay_alu instid0(VALU_DEP_1) | instskip(NEXT) | instid1(VALU_DEP_3)
	v_sub_co_ci_u32_e64 v13, null, v16, v15, vcc_lo
	v_subrev_co_ci_u32_e64 v3, null, s3, v3, vcc_lo
	s_delay_alu instid0(VALU_DEP_3) | instskip(NEXT) | instid1(VALU_DEP_1)
	v_sub_co_u32 v11, s0, v10, s2
	v_subrev_co_ci_u32_e64 v3, null, 0, v3, s0
	s_delay_alu instid0(VALU_DEP_2) | instskip(SKIP_1) | instid1(VALU_DEP_3)
	v_cmp_le_u32_e32 vcc_lo, s2, v11
	v_cndmask_b32_e64 v11, 0, -1, vcc_lo
	v_cmp_le_u32_e32 vcc_lo, s3, v3
	v_cndmask_b32_e64 v14, 0, -1, vcc_lo
	;; [unrolled: 2-line block ×4, first 2 shown]
	v_cmp_eq_u32_e32 vcc_lo, s3, v3
	v_cndmask_b32_e32 v3, v14, v11, vcc_lo
	v_cmp_eq_u32_e32 vcc_lo, s3, v13
	v_add_nc_u64_e32 v[10:11], 2, v[8:9]
	v_add_nc_u64_e32 v[14:15], 1, v[8:9]
	v_cndmask_b32_e32 v13, v17, v16, vcc_lo
	v_cmp_ne_u32_e32 vcc_lo, 0, v3
	s_delay_alu instid0(VALU_DEP_2) | instskip(NEXT) | instid1(VALU_DEP_4)
	v_cmp_ne_u32_e64 s0, 0, v13
	v_dual_cndmask_b32 v3, v15, v11, vcc_lo :: v_dual_cndmask_b32 v11, v14, v10, vcc_lo
	s_delay_alu instid0(VALU_DEP_1) | instskip(NEXT) | instid1(VALU_DEP_1)
	v_dual_cndmask_b32 v3, v9, v3, s0 :: v_dual_bitop2_b32 v10, s66, v12 bitop3:0x14
	v_dual_cndmask_b32 v8, v8, v11, s0 :: v_dual_mov_b32 v11, v10
	s_delay_alu instid0(VALU_DEP_2) | instskip(NEXT) | instid1(VALU_DEP_2)
	v_xor_b32_e32 v9, v3, v10
	v_xor_b32_e32 v8, v8, v10
	s_delay_alu instid0(VALU_DEP_1)
	v_sub_nc_u64_e32 v[8:9], v[8:9], v[10:11]
.LBB17_6:                               ;   in Loop: Header=BB17_4 Depth=1
	s_and_not1_saveexec_b32 s0, s1
	s_cbranch_execz .LBB17_8
; %bb.7:                                ;   in Loop: Header=BB17_4 Depth=1
	s_sub_co_i32 s1, 0, s26
	s_delay_alu instid0(SALU_CYCLE_1) | instskip(NEXT) | instid1(VALU_DEP_1)
	v_mul_lo_u32 v3, s1, v30
	v_mul_hi_u32 v3, v30, v3
	s_delay_alu instid0(VALU_DEP_1) | instskip(NEXT) | instid1(VALU_DEP_1)
	v_add_nc_u32_e32 v3, v30, v3
	v_mul_hi_u32 v3, v0, v3
	s_delay_alu instid0(VALU_DEP_1) | instskip(NEXT) | instid1(VALU_DEP_1)
	v_mul_lo_u32 v8, v3, s26
	v_sub_nc_u32_e32 v8, v0, v8
	s_delay_alu instid0(VALU_DEP_1) | instskip(SKIP_1) | instid1(VALU_DEP_2)
	v_subrev_nc_u32_e32 v10, s26, v8
	v_cmp_le_u32_e32 vcc_lo, s26, v8
	v_dual_cndmask_b32 v8, v8, v10 :: v_dual_add_nc_u32 v9, 1, v3
	s_delay_alu instid0(VALU_DEP_1) | instskip(NEXT) | instid1(VALU_DEP_2)
	v_cndmask_b32_e32 v3, v3, v9, vcc_lo
	v_cmp_le_u32_e32 vcc_lo, s26, v8
	s_delay_alu instid0(VALU_DEP_2) | instskip(NEXT) | instid1(VALU_DEP_1)
	v_add_nc_u32_e32 v9, 1, v3
	v_dual_cndmask_b32 v8, v3, v9 :: v_dual_mov_b32 v9, v2
.LBB17_8:                               ;   in Loop: Header=BB17_4 Depth=1
	s_or_b32 exec_lo, exec_lo, s0
	v_or_b32_e32 v3, s19, v1
                                        ; implicit-def: $vgpr10_vgpr11
	s_mov_b32 s0, exec_lo
	s_delay_alu instid0(VALU_DEP_1)
	v_cmpx_ne_u64_e32 0, v[2:3]
	s_xor_b32 s1, exec_lo, s0
	s_cbranch_execz .LBB17_10
; %bb.9:                                ;   in Loop: Header=BB17_4 Depth=1
	s_ashr_i32 s2, s19, 31
	v_dual_mov_b32 v13, v12 :: v_dual_mov_b32 v15, v2
	s_mov_b32 s3, s2
	v_mov_b32_e32 v23, v2
	s_add_nc_u64 s[4:5], s[18:19], s[2:3]
	s_delay_alu instid0(VALU_DEP_2)
	v_add_nc_u64_e32 v[10:11], v[0:1], v[12:13]
	s_xor_b64 s[4:5], s[4:5], s[2:3]
	v_mov_b32_e32 v19, v2
	s_cvt_f32_u32 s0, s4
	s_cvt_f32_u32 s3, s5
	s_sub_nc_u64 s[70:71], 0, s[4:5]
	s_delay_alu instid0(VALU_DEP_2) | instskip(NEXT) | instid1(SALU_CYCLE_1)
	v_xor_b32_e32 v14, v10, v12
	s_fmamk_f32 s0, s3, 0x4f800000, s0
	v_xor_b32_e32 v18, v11, v12
	v_xor_b32_e32 v12, s2, v12
	s_delay_alu instid0(SALU_CYCLE_1) | instskip(NEXT) | instid1(TRANS32_DEP_1)
	v_s_rcp_f32 s0, s0
	s_mul_f32 s0, s0, 0x5f7ffffc
	s_delay_alu instid0(SALU_CYCLE_3) | instskip(NEXT) | instid1(SALU_CYCLE_3)
	s_mul_f32 s3, s0, 0x2f800000
	s_trunc_f32 s3, s3
	s_delay_alu instid0(SALU_CYCLE_3) | instskip(SKIP_1) | instid1(SALU_CYCLE_2)
	s_fmamk_f32 s0, s3, 0xcf800000, s0
	s_cvt_u32_f32 s69, s3
	s_cvt_u32_f32 s68, s0
	s_delay_alu instid0(SALU_CYCLE_3) | instskip(NEXT) | instid1(SALU_CYCLE_1)
	s_mul_u64 s[72:73], s[70:71], s[68:69]
	s_mul_hi_u32 s75, s68, s73
	s_mul_i32 s74, s68, s73
	s_mul_hi_u32 s22, s68, s72
	s_mul_i32 s3, s69, s72
	s_add_nc_u64 s[74:75], s[22:23], s[74:75]
	s_mul_hi_u32 s0, s69, s72
	s_mul_hi_u32 s67, s69, s73
	s_add_co_u32 s3, s74, s3
	s_add_co_ci_u32 s22, s75, s0
	s_mul_i32 s72, s69, s73
	s_add_co_ci_u32 s73, s67, 0
	s_delay_alu instid0(SALU_CYCLE_1) | instskip(NEXT) | instid1(SALU_CYCLE_1)
	s_add_nc_u64 s[72:73], s[22:23], s[72:73]
	s_add_co_u32 s68, s68, s72
	s_cselect_b32 s0, -1, 0
	s_delay_alu instid0(SALU_CYCLE_1) | instskip(SKIP_1) | instid1(SALU_CYCLE_1)
	s_cmp_lg_u32 s0, 0
	s_add_co_ci_u32 s69, s69, s73
	s_mul_u64 s[70:71], s[70:71], s[68:69]
	s_delay_alu instid0(SALU_CYCLE_1)
	s_mul_hi_u32 s73, s68, s71
	s_mul_i32 s72, s68, s71
	s_mul_hi_u32 s22, s68, s70
	s_mul_i32 s3, s69, s70
	s_add_nc_u64 s[72:73], s[22:23], s[72:73]
	s_mul_hi_u32 s0, s69, s70
	s_mul_hi_u32 s67, s69, s71
	s_add_co_u32 s3, s72, s3
	s_add_co_ci_u32 s22, s73, s0
	s_mul_i32 s70, s69, s71
	s_add_co_ci_u32 s71, s67, 0
	s_delay_alu instid0(SALU_CYCLE_1) | instskip(NEXT) | instid1(SALU_CYCLE_1)
	s_add_nc_u64 s[70:71], s[22:23], s[70:71]
	s_add_co_u32 s0, s68, s70
	s_cselect_b32 s3, -1, 0
	v_nop
	v_mul_hi_u32 v22, v14, s0
	s_cmp_lg_u32 s3, 0
	s_add_co_ci_u32 s22, s69, s71
	s_and_b64 s[68:69], s[0:1], s[60:61]
	v_mul_u64_e32 v[16:17], s[22:23], v[14:15]
	v_mul_u64_e32 v[10:11], s[68:69], v[18:19]
	;; [unrolled: 1-line block ×3, first 2 shown]
	s_delay_alu instid0(VALU_DEP_3) | instskip(NEXT) | instid1(VALU_DEP_1)
	v_add_nc_u64_e32 v[16:17], v[22:23], v[16:17]
	v_add_co_u32 v3, vcc_lo, v16, v10
	s_delay_alu instid0(VALU_DEP_2) | instskip(NEXT) | instid1(VALU_DEP_4)
	v_add_co_ci_u32_e32 v22, vcc_lo, v17, v11, vcc_lo
	v_add_co_ci_u32_e32 v21, vcc_lo, 0, v21, vcc_lo
	s_delay_alu instid0(VALU_DEP_1) | instskip(NEXT) | instid1(VALU_DEP_1)
	v_add_nc_u64_e32 v[10:11], v[22:23], v[20:21]
	v_mul_u64_e32 v[16:17], s[4:5], v[10:11]
	s_delay_alu instid0(VALU_DEP_1) | instskip(NEXT) | instid1(VALU_DEP_2)
	v_sub_nc_u32_e32 v3, v18, v17
	v_sub_co_u32 v13, vcc_lo, v14, v16
	s_delay_alu instid0(VALU_DEP_1) | instskip(NEXT) | instid1(VALU_DEP_3)
	v_sub_co_ci_u32_e64 v18, null, v18, v17, vcc_lo
	v_subrev_co_ci_u32_e64 v3, null, s5, v3, vcc_lo
	s_delay_alu instid0(VALU_DEP_3) | instskip(SKIP_1) | instid1(VALU_DEP_3)
	v_sub_co_u32 v14, s0, v13, s4
	v_add_nc_u64_e32 v[16:17], 1, v[10:11]
	v_subrev_co_ci_u32_e64 v3, null, 0, v3, s0
	s_delay_alu instid0(VALU_DEP_3) | instskip(SKIP_1) | instid1(VALU_DEP_3)
	v_cmp_le_u32_e32 vcc_lo, s4, v14
	v_cndmask_b32_e64 v14, 0, -1, vcc_lo
	v_cmp_le_u32_e32 vcc_lo, s5, v3
	v_cndmask_b32_e64 v15, 0, -1, vcc_lo
	;; [unrolled: 2-line block ×4, first 2 shown]
	v_cmp_eq_u32_e32 vcc_lo, s5, v3
	v_cndmask_b32_e32 v3, v15, v14, vcc_lo
	v_cmp_eq_u32_e32 vcc_lo, s5, v18
	v_add_nc_u64_e32 v[14:15], 2, v[10:11]
	v_cndmask_b32_e32 v13, v19, v13, vcc_lo
	s_delay_alu instid0(VALU_DEP_4) | instskip(NEXT) | instid1(VALU_DEP_2)
	v_cmp_ne_u32_e32 vcc_lo, 0, v3
	v_cmp_ne_u32_e64 s0, 0, v13
	s_delay_alu instid0(VALU_DEP_4) | instskip(NEXT) | instid1(VALU_DEP_1)
	v_dual_cndmask_b32 v3, v17, v15, vcc_lo :: v_dual_cndmask_b32 v13, v16, v14, vcc_lo
	v_dual_cndmask_b32 v3, v11, v3, s0 :: v_dual_cndmask_b32 v10, v10, v13, s0
	s_delay_alu instid0(VALU_DEP_1) | instskip(NEXT) | instid1(VALU_DEP_2)
	v_dual_mov_b32 v13, v12 :: v_dual_bitop2_b32 v11, v3, v12 bitop3:0x14
	v_xor_b32_e32 v10, v10, v12
	s_delay_alu instid0(VALU_DEP_1)
	v_sub_nc_u64_e32 v[10:11], v[10:11], v[12:13]
.LBB17_10:                              ;   in Loop: Header=BB17_4 Depth=1
	s_and_not1_saveexec_b32 s0, s1
	s_cbranch_execz .LBB17_12
; %bb.11:                               ;   in Loop: Header=BB17_4 Depth=1
	v_cvt_f32_u32_e32 v3, s18
	s_sub_co_i32 s1, 0, s18
	s_delay_alu instid0(VALU_DEP_1) | instskip(SKIP_1) | instid1(TRANS32_DEP_1)
	v_rcp_iflag_f32_e32 v3, v3
	v_nop
	v_mul_f32_e32 v3, 0x4f7ffffe, v3
	s_delay_alu instid0(VALU_DEP_1) | instskip(NEXT) | instid1(VALU_DEP_1)
	v_cvt_u32_f32_e32 v3, v3
	v_mul_lo_u32 v10, s1, v3
	s_delay_alu instid0(VALU_DEP_1) | instskip(NEXT) | instid1(VALU_DEP_1)
	v_mul_hi_u32 v10, v3, v10
	v_add_nc_u32_e32 v3, v3, v10
	s_delay_alu instid0(VALU_DEP_1) | instskip(NEXT) | instid1(VALU_DEP_1)
	v_mul_hi_u32 v3, v0, v3
	v_mul_lo_u32 v10, v3, s18
	s_delay_alu instid0(VALU_DEP_1) | instskip(NEXT) | instid1(VALU_DEP_1)
	v_dual_add_nc_u32 v11, 1, v3 :: v_dual_sub_nc_u32 v10, v0, v10
	v_subrev_nc_u32_e32 v12, s18, v10
	v_cmp_le_u32_e32 vcc_lo, s18, v10
	s_delay_alu instid0(VALU_DEP_2) | instskip(NEXT) | instid1(VALU_DEP_1)
	v_dual_cndmask_b32 v10, v10, v12 :: v_dual_cndmask_b32 v3, v3, v11
	v_cmp_le_u32_e32 vcc_lo, s18, v10
	s_delay_alu instid0(VALU_DEP_2) | instskip(NEXT) | instid1(VALU_DEP_1)
	v_add_nc_u32_e32 v11, 1, v3
	v_dual_cndmask_b32 v10, v3, v11 :: v_dual_mov_b32 v11, v2
.LBB17_12:                              ;   in Loop: Header=BB17_4 Depth=1
	s_or_b32 exec_lo, exec_lo, s0
	s_delay_alu instid0(VALU_DEP_1) | instskip(SKIP_1) | instid1(VALU_DEP_1)
	v_or_b32_e32 v3, s17, v11
                                        ; implicit-def: $vgpr12_vgpr13
	s_mov_b32 s0, exec_lo
	v_cmpx_ne_u64_e32 0, v[2:3]
	s_xor_b32 s1, exec_lo, s0
	s_cbranch_execz .LBB17_14
; %bb.13:                               ;   in Loop: Header=BB17_4 Depth=1
	s_ashr_i32 s2, s17, 31
	v_dual_mov_b32 v17, v2 :: v_dual_ashrrev_i32 v12, 31, v11
	s_mov_b32 s3, s2
	s_delay_alu instid0(SALU_CYCLE_1) | instskip(NEXT) | instid1(VALU_DEP_1)
	s_add_nc_u64 s[4:5], s[16:17], s[2:3]
	v_mov_b32_e32 v13, v12
	s_xor_b64 s[2:3], s[4:5], s[2:3]
	s_delay_alu instid0(SALU_CYCLE_1)
	s_cvt_f32_u32 s0, s2
	s_cvt_f32_u32 s4, s3
	s_sub_nc_u64 s[68:69], 0, s[2:3]
	v_add_nc_u64_e32 v[14:15], v[10:11], v[12:13]
	v_mov_b32_e32 v21, v2
	s_fmamk_f32 s0, s4, 0x4f800000, s0
	s_delay_alu instid0(SALU_CYCLE_3) | instskip(NEXT) | instid1(VALU_DEP_2)
	v_s_rcp_f32 s0, s0
	v_xor_b32_e32 v16, v14, v12
	s_delay_alu instid0(VALU_DEP_3) | instskip(NEXT) | instid1(TRANS32_DEP_1)
	v_dual_mov_b32 v25, v2 :: v_dual_bitop2_b32 v20, v15, v12 bitop3:0x14
	s_mul_f32 s0, s0, 0x5f7ffffc
	s_delay_alu instid0(SALU_CYCLE_3) | instskip(NEXT) | instid1(SALU_CYCLE_3)
	s_mul_f32 s4, s0, 0x2f800000
	s_trunc_f32 s4, s4
	s_delay_alu instid0(SALU_CYCLE_3) | instskip(SKIP_1) | instid1(SALU_CYCLE_2)
	s_fmamk_f32 s0, s4, 0xcf800000, s0
	s_cvt_u32_f32 s5, s4
	s_cvt_u32_f32 s4, s0
	s_delay_alu instid0(SALU_CYCLE_3) | instskip(NEXT) | instid1(SALU_CYCLE_1)
	s_mul_u64 s[70:71], s[68:69], s[4:5]
	s_mul_hi_u32 s73, s4, s71
	s_mul_i32 s72, s4, s71
	s_mul_hi_u32 s22, s4, s70
	s_mul_i32 s67, s5, s70
	s_add_nc_u64 s[72:73], s[22:23], s[72:73]
	s_mul_hi_u32 s0, s5, s70
	s_mul_hi_u32 s74, s5, s71
	s_add_co_u32 s22, s72, s67
	s_add_co_ci_u32 s22, s73, s0
	s_mul_i32 s70, s5, s71
	s_add_co_ci_u32 s71, s74, 0
	s_delay_alu instid0(SALU_CYCLE_1) | instskip(NEXT) | instid1(SALU_CYCLE_1)
	s_add_nc_u64 s[70:71], s[22:23], s[70:71]
	s_add_co_u32 s4, s4, s70
	s_cselect_b32 s0, -1, 0
	s_delay_alu instid0(SALU_CYCLE_1) | instskip(SKIP_1) | instid1(SALU_CYCLE_1)
	s_cmp_lg_u32 s0, 0
	s_add_co_ci_u32 s5, s5, s71
	s_mul_u64 s[68:69], s[68:69], s[4:5]
	s_delay_alu instid0(SALU_CYCLE_1)
	s_mul_hi_u32 s71, s4, s69
	s_mul_i32 s70, s4, s69
	s_mul_hi_u32 s22, s4, s68
	s_mul_i32 s67, s5, s68
	s_add_nc_u64 s[70:71], s[22:23], s[70:71]
	s_mul_hi_u32 s0, s5, s68
	s_mul_hi_u32 s72, s5, s69
	s_add_co_u32 s22, s70, s67
	s_add_co_ci_u32 s22, s71, s0
	s_mul_i32 s68, s5, s69
	s_add_co_ci_u32 s69, s72, 0
	s_delay_alu instid0(SALU_CYCLE_1) | instskip(NEXT) | instid1(SALU_CYCLE_1)
	s_add_nc_u64 s[68:69], s[22:23], s[68:69]
	s_add_co_u32 s0, s4, s68
	s_cselect_b32 s4, -1, 0
	v_mul_hi_u32 v24, v16, s0
	s_cmp_lg_u32 s4, 0
	s_add_co_ci_u32 s22, s5, s69
	s_and_b64 s[4:5], s[0:1], s[60:61]
	v_mul_u64_e32 v[18:19], s[22:23], v[16:17]
	v_mul_u64_e32 v[14:15], s[4:5], v[20:21]
	;; [unrolled: 1-line block ×3, first 2 shown]
	s_delay_alu instid0(VALU_DEP_3) | instskip(NEXT) | instid1(VALU_DEP_1)
	v_add_nc_u64_e32 v[18:19], v[24:25], v[18:19]
	v_add_co_u32 v3, vcc_lo, v18, v14
	s_delay_alu instid0(VALU_DEP_2) | instskip(NEXT) | instid1(VALU_DEP_4)
	v_add_co_ci_u32_e32 v24, vcc_lo, v19, v15, vcc_lo
	v_add_co_ci_u32_e32 v23, vcc_lo, 0, v23, vcc_lo
	s_delay_alu instid0(VALU_DEP_1) | instskip(NEXT) | instid1(VALU_DEP_1)
	v_add_nc_u64_e32 v[14:15], v[24:25], v[22:23]
	v_mul_u64_e32 v[14:15], s[2:3], v[14:15]
	s_delay_alu instid0(VALU_DEP_1) | instskip(NEXT) | instid1(VALU_DEP_2)
	v_sub_nc_u32_e32 v3, v20, v15
	v_sub_co_u32 v14, vcc_lo, v16, v14
	s_delay_alu instid0(VALU_DEP_1) | instskip(NEXT) | instid1(VALU_DEP_3)
	v_sub_co_ci_u32_e64 v15, null, v20, v15, vcc_lo
	v_subrev_co_ci_u32_e64 v3, null, s3, v3, vcc_lo
	s_delay_alu instid0(VALU_DEP_3) | instskip(SKIP_1) | instid1(VALU_DEP_3)
	v_sub_co_u32 v16, vcc_lo, v14, s2
	v_cmp_le_u32_e64 s0, s2, v14
	v_subrev_co_ci_u32_e64 v17, null, 0, v3, vcc_lo
	v_subrev_co_ci_u32_e64 v3, null, s3, v3, vcc_lo
	s_delay_alu instid0(VALU_DEP_3) | instskip(SKIP_2) | instid1(VALU_DEP_2)
	v_cndmask_b32_e64 v18, 0, -1, s0
	v_cmp_le_u32_e64 s0, s2, v16
	v_cmp_le_u32_e32 vcc_lo, s3, v15
	v_cndmask_b32_e64 v19, 0, -1, s0
	v_cmp_le_u32_e64 s0, s3, v17
	v_cndmask_b32_e64 v21, 0, -1, vcc_lo
	v_cmp_eq_u32_e32 vcc_lo, s3, v17
	s_delay_alu instid0(VALU_DEP_3) | instskip(SKIP_1) | instid1(VALU_DEP_1)
	v_cndmask_b32_e64 v20, 0, -1, s0
	v_cmp_eq_u32_e64 s0, s3, v15
	v_dual_cndmask_b32 v19, v20, v19, vcc_lo :: v_dual_cndmask_b32 v18, v21, v18, s0
	v_sub_co_u32 v20, vcc_lo, v16, s2
	s_delay_alu instid0(VALU_DEP_1) | instskip(NEXT) | instid1(VALU_DEP_3)
	v_subrev_co_ci_u32_e64 v3, null, 0, v3, vcc_lo
	v_cmp_ne_u32_e32 vcc_lo, 0, v19
	s_delay_alu instid0(VALU_DEP_2) | instskip(SKIP_1) | instid1(VALU_DEP_2)
	v_dual_cndmask_b32 v3, v17, v3 :: v_dual_cndmask_b32 v16, v16, v20
	v_cmp_ne_u32_e32 vcc_lo, 0, v18
	v_dual_cndmask_b32 v3, v15, v3 :: v_dual_cndmask_b32 v14, v14, v16
	s_delay_alu instid0(VALU_DEP_1) | instskip(NEXT) | instid1(VALU_DEP_2)
	v_xor_b32_e32 v15, v3, v12
	v_xor_b32_e32 v14, v14, v12
	s_delay_alu instid0(VALU_DEP_1)
	v_sub_nc_u64_e32 v[12:13], v[14:15], v[12:13]
.LBB17_14:                              ;   in Loop: Header=BB17_4 Depth=1
	s_and_not1_saveexec_b32 s0, s1
	s_cbranch_execz .LBB17_16
; %bb.15:                               ;   in Loop: Header=BB17_4 Depth=1
	v_cvt_f32_u32_e32 v3, s16
	s_sub_co_i32 s1, 0, s16
	v_mov_b32_e32 v13, v2
	s_delay_alu instid0(VALU_DEP_2) | instskip(SKIP_1) | instid1(TRANS32_DEP_1)
	v_rcp_iflag_f32_e32 v3, v3
	v_nop
	v_mul_f32_e32 v3, 0x4f7ffffe, v3
	s_delay_alu instid0(VALU_DEP_1) | instskip(NEXT) | instid1(VALU_DEP_1)
	v_cvt_u32_f32_e32 v3, v3
	v_mul_lo_u32 v12, s1, v3
	s_delay_alu instid0(VALU_DEP_1) | instskip(NEXT) | instid1(VALU_DEP_1)
	v_mul_hi_u32 v12, v3, v12
	v_add_nc_u32_e32 v3, v3, v12
	s_delay_alu instid0(VALU_DEP_1) | instskip(NEXT) | instid1(VALU_DEP_1)
	v_mul_hi_u32 v3, v10, v3
	v_mul_lo_u32 v3, v3, s16
	s_delay_alu instid0(VALU_DEP_1) | instskip(NEXT) | instid1(VALU_DEP_1)
	v_sub_nc_u32_e32 v3, v10, v3
	v_subrev_nc_u32_e32 v12, s16, v3
	v_cmp_le_u32_e32 vcc_lo, s16, v3
	s_delay_alu instid0(VALU_DEP_2) | instskip(NEXT) | instid1(VALU_DEP_1)
	v_cndmask_b32_e32 v3, v3, v12, vcc_lo
	v_subrev_nc_u32_e32 v12, s16, v3
	v_cmp_le_u32_e32 vcc_lo, s16, v3
	s_delay_alu instid0(VALU_DEP_2)
	v_cndmask_b32_e32 v12, v3, v12, vcc_lo
.LBB17_16:                              ;   in Loop: Header=BB17_4 Depth=1
	s_or_b32 exec_lo, exec_lo, s0
	v_mad_nc_u64_u32 v[14:15], s64, v10, v[0:1]
                                        ; implicit-def: $vgpr16_vgpr17
	s_mov_b32 s0, exec_lo
	s_delay_alu instid0(VALU_DEP_1) | instskip(NEXT) | instid1(VALU_DEP_1)
	v_mad_u32 v3, s65, v10, v15
	v_mad_u32 v15, s64, v11, v3
	s_delay_alu instid0(VALU_DEP_1) | instskip(NEXT) | instid1(VALU_DEP_1)
	v_or_b32_e32 v3, s13, v15
	v_cmpx_ne_u64_e32 0, v[2:3]
	s_xor_b32 s1, exec_lo, s0
	s_cbranch_execz .LBB17_18
; %bb.17:                               ;   in Loop: Header=BB17_4 Depth=1
	s_ashr_i32 s2, s13, 31
	v_dual_mov_b32 v19, v2 :: v_dual_ashrrev_i32 v16, 31, v15
	s_mov_b32 s3, s2
	v_mov_b32_e32 v27, v2
	s_add_nc_u64 s[4:5], s[12:13], s[2:3]
	s_delay_alu instid0(VALU_DEP_2) | instskip(SKIP_1) | instid1(SALU_CYCLE_1)
	v_mov_b32_e32 v17, v16
	s_xor_b64 s[4:5], s[4:5], s[2:3]
	s_cvt_f32_u32 s0, s4
	s_cvt_f32_u32 s3, s5
	s_sub_nc_u64 s[70:71], 0, s[4:5]
	v_add_nc_u64_e32 v[14:15], v[14:15], v[16:17]
	v_mov_b32_e32 v23, v2
	s_fmamk_f32 s0, s3, 0x4f800000, s0
	s_delay_alu instid0(SALU_CYCLE_3) | instskip(NEXT) | instid1(VALU_DEP_2)
	v_s_rcp_f32 s0, s0
	v_xor_b32_e32 v18, v14, v16
	s_delay_alu instid0(VALU_DEP_3) | instskip(NEXT) | instid1(TRANS32_DEP_1)
	v_xor_b32_e32 v22, v15, v16
	s_mul_f32 s0, s0, 0x5f7ffffc
	s_delay_alu instid0(SALU_CYCLE_3) | instskip(NEXT) | instid1(SALU_CYCLE_3)
	s_mul_f32 s3, s0, 0x2f800000
	s_trunc_f32 s3, s3
	s_delay_alu instid0(SALU_CYCLE_3) | instskip(SKIP_1) | instid1(SALU_CYCLE_2)
	s_fmamk_f32 s0, s3, 0xcf800000, s0
	s_cvt_u32_f32 s69, s3
	s_cvt_u32_f32 s68, s0
	s_delay_alu instid0(SALU_CYCLE_3) | instskip(NEXT) | instid1(SALU_CYCLE_1)
	s_mul_u64 s[72:73], s[70:71], s[68:69]
	s_mul_hi_u32 s75, s68, s73
	s_mul_i32 s74, s68, s73
	s_mul_hi_u32 s22, s68, s72
	s_mul_i32 s3, s69, s72
	s_add_nc_u64 s[74:75], s[22:23], s[74:75]
	s_mul_hi_u32 s0, s69, s72
	s_mul_hi_u32 s67, s69, s73
	s_add_co_u32 s3, s74, s3
	s_add_co_ci_u32 s22, s75, s0
	s_mul_i32 s72, s69, s73
	s_add_co_ci_u32 s73, s67, 0
	s_delay_alu instid0(SALU_CYCLE_1) | instskip(NEXT) | instid1(SALU_CYCLE_1)
	s_add_nc_u64 s[72:73], s[22:23], s[72:73]
	s_add_co_u32 s68, s68, s72
	s_cselect_b32 s0, -1, 0
	s_delay_alu instid0(SALU_CYCLE_1) | instskip(SKIP_1) | instid1(SALU_CYCLE_1)
	s_cmp_lg_u32 s0, 0
	s_add_co_ci_u32 s69, s69, s73
	s_mul_u64 s[70:71], s[70:71], s[68:69]
	s_delay_alu instid0(SALU_CYCLE_1)
	s_mul_hi_u32 s73, s68, s71
	s_mul_i32 s72, s68, s71
	s_mul_hi_u32 s22, s68, s70
	s_mul_i32 s3, s69, s70
	s_add_nc_u64 s[72:73], s[22:23], s[72:73]
	s_mul_hi_u32 s0, s69, s70
	s_mul_hi_u32 s67, s69, s71
	s_add_co_u32 s3, s72, s3
	s_add_co_ci_u32 s22, s73, s0
	s_mul_i32 s70, s69, s71
	s_add_co_ci_u32 s71, s67, 0
	s_delay_alu instid0(SALU_CYCLE_1) | instskip(NEXT) | instid1(SALU_CYCLE_1)
	s_add_nc_u64 s[70:71], s[22:23], s[70:71]
	s_add_co_u32 s0, s68, s70
	s_cselect_b32 s3, -1, 0
	v_mul_hi_u32 v26, v18, s0
	s_cmp_lg_u32 s3, 0
	s_add_co_ci_u32 s22, s69, s71
	s_and_b64 s[68:69], s[0:1], s[60:61]
	v_mul_u64_e32 v[20:21], s[22:23], v[18:19]
	v_mul_u64_e32 v[14:15], s[68:69], v[22:23]
	;; [unrolled: 1-line block ×3, first 2 shown]
	s_delay_alu instid0(VALU_DEP_3) | instskip(NEXT) | instid1(VALU_DEP_1)
	v_add_nc_u64_e32 v[20:21], v[26:27], v[20:21]
	v_add_co_u32 v3, vcc_lo, v20, v14
	s_delay_alu instid0(VALU_DEP_2) | instskip(NEXT) | instid1(VALU_DEP_4)
	v_add_co_ci_u32_e32 v26, vcc_lo, v21, v15, vcc_lo
	v_add_co_ci_u32_e32 v25, vcc_lo, 0, v25, vcc_lo
	s_delay_alu instid0(VALU_DEP_1) | instskip(NEXT) | instid1(VALU_DEP_1)
	v_add_nc_u64_e32 v[14:15], v[26:27], v[24:25]
	v_mul_u64_e32 v[20:21], s[4:5], v[14:15]
	s_delay_alu instid0(VALU_DEP_1) | instskip(NEXT) | instid1(VALU_DEP_2)
	v_sub_nc_u32_e32 v3, v22, v21
	v_sub_co_u32 v17, vcc_lo, v18, v20
	s_delay_alu instid0(VALU_DEP_1) | instskip(NEXT) | instid1(VALU_DEP_3)
	v_sub_co_ci_u32_e64 v22, null, v22, v21, vcc_lo
	v_subrev_co_ci_u32_e64 v3, null, s5, v3, vcc_lo
	s_delay_alu instid0(VALU_DEP_3) | instskip(SKIP_1) | instid1(VALU_DEP_3)
	v_sub_co_u32 v18, s0, v17, s4
	v_add_nc_u64_e32 v[20:21], 1, v[14:15]
	v_subrev_co_ci_u32_e64 v3, null, 0, v3, s0
	s_delay_alu instid0(VALU_DEP_3) | instskip(SKIP_1) | instid1(VALU_DEP_3)
	v_cmp_le_u32_e32 vcc_lo, s4, v18
	v_cndmask_b32_e64 v18, 0, -1, vcc_lo
	v_cmp_le_u32_e32 vcc_lo, s5, v3
	v_cndmask_b32_e64 v19, 0, -1, vcc_lo
	;; [unrolled: 2-line block ×4, first 2 shown]
	v_cmp_eq_u32_e32 vcc_lo, s5, v3
	v_cndmask_b32_e32 v3, v19, v18, vcc_lo
	v_cmp_eq_u32_e32 vcc_lo, s5, v22
	v_add_nc_u64_e32 v[18:19], 2, v[14:15]
	v_cndmask_b32_e32 v17, v23, v17, vcc_lo
	s_delay_alu instid0(VALU_DEP_4) | instskip(NEXT) | instid1(VALU_DEP_3)
	v_cmp_ne_u32_e32 vcc_lo, 0, v3
	v_cndmask_b32_e32 v3, v21, v19, vcc_lo
	s_delay_alu instid0(VALU_DEP_3) | instskip(SKIP_1) | instid1(VALU_DEP_1)
	v_cmp_ne_u32_e64 s0, 0, v17
	v_dual_cndmask_b32 v17, v20, v18, vcc_lo :: v_dual_bitop2_b32 v16, s2, v16 bitop3:0x14
	v_dual_cndmask_b32 v3, v15, v3, s0 :: v_dual_cndmask_b32 v14, v14, v17, s0
	s_delay_alu instid0(VALU_DEP_1) | instskip(NEXT) | instid1(VALU_DEP_2)
	v_dual_mov_b32 v17, v16 :: v_dual_bitop2_b32 v15, v3, v16 bitop3:0x14
	v_xor_b32_e32 v14, v14, v16
	s_delay_alu instid0(VALU_DEP_1)
	v_sub_nc_u64_e32 v[16:17], v[14:15], v[16:17]
                                        ; implicit-def: $vgpr14_vgpr15
.LBB17_18:                              ;   in Loop: Header=BB17_4 Depth=1
	s_and_not1_saveexec_b32 s0, s1
	s_cbranch_execz .LBB17_20
; %bb.19:                               ;   in Loop: Header=BB17_4 Depth=1
	v_cvt_f32_u32_e32 v3, s12
	s_sub_co_i32 s1, 0, s12
	v_mov_b32_e32 v17, v2
	s_delay_alu instid0(VALU_DEP_2) | instskip(SKIP_1) | instid1(TRANS32_DEP_1)
	v_rcp_iflag_f32_e32 v3, v3
	v_nop
	v_mul_f32_e32 v3, 0x4f7ffffe, v3
	s_delay_alu instid0(VALU_DEP_1) | instskip(NEXT) | instid1(VALU_DEP_1)
	v_cvt_u32_f32_e32 v3, v3
	v_mul_lo_u32 v15, s1, v3
	s_delay_alu instid0(VALU_DEP_1) | instskip(NEXT) | instid1(VALU_DEP_1)
	v_mul_hi_u32 v15, v3, v15
	v_add_nc_u32_e32 v3, v3, v15
	s_delay_alu instid0(VALU_DEP_1) | instskip(NEXT) | instid1(VALU_DEP_1)
	v_mul_hi_u32 v3, v14, v3
	v_mul_lo_u32 v15, v3, s12
	s_delay_alu instid0(VALU_DEP_1) | instskip(SKIP_1) | instid1(VALU_DEP_2)
	v_sub_nc_u32_e32 v14, v14, v15
	v_add_nc_u32_e32 v15, 1, v3
	v_subrev_nc_u32_e32 v16, s12, v14
	v_cmp_le_u32_e32 vcc_lo, s12, v14
	s_delay_alu instid0(VALU_DEP_2) | instskip(NEXT) | instid1(VALU_DEP_1)
	v_dual_cndmask_b32 v14, v14, v16 :: v_dual_cndmask_b32 v3, v3, v15
	v_cmp_le_u32_e32 vcc_lo, s12, v14
	s_delay_alu instid0(VALU_DEP_2) | instskip(NEXT) | instid1(VALU_DEP_1)
	v_add_nc_u32_e32 v15, 1, v3
	v_cndmask_b32_e32 v16, v3, v15, vcc_lo
.LBB17_20:                              ;   in Loop: Header=BB17_4 Depth=1
	s_or_b32 exec_lo, exec_lo, s0
	v_mul_u64_e32 v[14:15], s[52:53], v[10:11]
	v_mul_u64_e32 v[18:19], s[18:19], v[10:11]
	s_delay_alu instid0(VALU_DEP_3)
	v_mul_u64_e32 v[22:23], s[12:13], v[16:17]
	v_cmp_lt_i64_e32 vcc_lo, 0, v[16:17]
	v_cmp_ge_i64_e64 s0, s[6:7], v[16:17]
	s_and_b32 s0, vcc_lo, s0
	v_sub_nc_u64_e32 v[14:15], v[14:15], v[16:17]
	v_sub_nc_u64_e32 v[26:27], v[0:1], v[18:19]
	v_mov_b64_e32 v[18:19], 0
	s_delay_alu instid0(VALU_DEP_3) | instskip(NEXT) | instid1(VALU_DEP_3)
	v_mul_u64_e32 v[20:21], s[12:13], v[14:15]
	v_sub_nc_u64_e32 v[22:23], v[26:27], v[22:23]
	s_delay_alu instid0(VALU_DEP_2) | instskip(SKIP_1) | instid1(VALU_DEP_2)
	v_add_nc_u64_e32 v[24:25], v[0:1], v[20:21]
	v_cmp_eq_u64_e64 s1, v[20:21], v[4:5]
	v_cmp_lt_i64_e64 s2, s[30:31], v[24:25]
	v_cmp_gt_i64_e64 s3, s[24:25], v[24:25]
	v_cmp_le_i64_e64 s4, s[40:41], v[24:25]
	v_add_nc_u64_e32 v[24:25], s[30:31], v[0:1]
	s_or_b32 s2, s1, s2
	s_and_b32 s1, s3, s4
	s_and_saveexec_b32 s3, s0
	s_cbranch_execz .LBB17_28
; %bb.21:                               ;   in Loop: Header=BB17_4 Depth=1
	v_sub_nc_u64_e32 v[18:19], s[6:7], v[16:17]
	s_mov_b32 s0, exec_lo
	s_delay_alu instid0(VALU_DEP_1) | instskip(NEXT) | instid1(VALU_DEP_1)
	v_mul_u64_e32 v[26:27], s[36:37], v[18:19]
	v_add_nc_u64_e32 v[18:19], v[20:21], v[26:27]
	s_delay_alu instid0(VALU_DEP_1) | instskip(SKIP_1) | instid1(VALU_DEP_2)
	v_add_nc_u64_e32 v[28:29], v[24:25], v[18:19]
	v_mov_b64_e32 v[18:19], 0
	v_cmpx_gt_i64_e64 s[42:43], v[28:29]
	s_cbranch_execz .LBB17_23
; %bb.22:                               ;   in Loop: Header=BB17_4 Depth=1
	v_mul_u64_e32 v[18:19], s[46:47], v[8:9]
	v_mul_u64_e32 v[32:33], s[42:43], v[12:13]
	s_delay_alu instid0(VALU_DEP_2) | instskip(NEXT) | instid1(VALU_DEP_1)
	v_lshl_add_u64 v[18:19], v[18:19], 3, s[10:11]
	v_lshl_add_u64 v[18:19], v[32:33], 3, v[18:19]
	s_delay_alu instid0(VALU_DEP_1)
	v_lshl_add_u64 v[18:19], v[28:29], 3, v[18:19]
	global_load_b64 v[18:19], v[18:19], off
	s_wait_loadcnt 0x0
	s_wait_xcnt 0x0
	v_pk_add_f32 v[18:19], v[18:19], 0 op_sel_hi:[1,0]
.LBB17_23:                              ;   in Loop: Header=BB17_4 Depth=1
	s_or_b32 exec_lo, exec_lo, s0
	s_mov_b32 s5, 0
                                        ; implicit-def: $vgpr28_vgpr29
	s_and_saveexec_b32 s0, s2
	s_delay_alu instid0(SALU_CYCLE_1)
	s_xor_b32 s4, exec_lo, s0
	s_cbranch_execnz .LBB17_45
; %bb.24:                               ;   in Loop: Header=BB17_4 Depth=1
	s_and_not1_saveexec_b32 s4, s4
	s_cbranch_execnz .LBB17_48
.LBB17_25:                              ;   in Loop: Header=BB17_4 Depth=1
	s_or_b32 exec_lo, exec_lo, s4
	s_and_saveexec_b32 s0, s5
	s_cbranch_execz .LBB17_27
.LBB17_26:                              ;   in Loop: Header=BB17_4 Depth=1
	v_mul_u64_e32 v[26:27], s[46:47], v[8:9]
	v_mul_u64_e32 v[32:33], s[42:43], v[12:13]
	s_delay_alu instid0(VALU_DEP_2) | instskip(NEXT) | instid1(VALU_DEP_1)
	v_lshl_add_u64 v[26:27], v[26:27], 3, s[10:11]
	v_lshl_add_u64 v[26:27], v[32:33], 3, v[26:27]
	s_delay_alu instid0(VALU_DEP_1)
	v_lshl_add_u64 v[26:27], v[28:29], 3, v[26:27]
	global_load_b64 v[26:27], v[26:27], off
	s_wait_loadcnt 0x0
	v_pk_add_f32 v[18:19], v[18:19], v[26:27]
.LBB17_27:                              ;   in Loop: Header=BB17_4 Depth=1
	s_wait_xcnt 0x0
	s_or_b32 exec_lo, exec_lo, s0
.LBB17_28:                              ;   in Loop: Header=BB17_4 Depth=1
	s_delay_alu instid0(SALU_CYCLE_1) | instskip(SKIP_3) | instid1(SALU_CYCLE_1)
	s_or_b32 exec_lo, exec_lo, s3
	v_cmp_gt_i64_e32 vcc_lo, s[28:29], v[16:17]
	v_cmp_le_i64_e64 s0, s[38:39], v[16:17]
	s_and_b32 s0, vcc_lo, s0
	s_and_saveexec_b32 s3, s0
	s_cbranch_execz .LBB17_36
; %bb.29:                               ;   in Loop: Header=BB17_4 Depth=1
	v_sub_nc_u64_e32 v[26:27], s[48:49], v[16:17]
	s_delay_alu instid0(VALU_DEP_1) | instskip(NEXT) | instid1(VALU_DEP_1)
	v_mul_u64_e32 v[26:27], s[36:37], v[26:27]
	v_add_nc_u64_e32 v[28:29], v[26:27], v[20:21]
	s_delay_alu instid0(VALU_DEP_1) | instskip(NEXT) | instid1(VALU_DEP_1)
	v_add_nc_u64_e32 v[24:25], v[24:25], v[28:29]
	v_cmp_lt_i64_e32 vcc_lo, -1, v[24:25]
	v_cmp_gt_i64_e64 s0, s[42:43], v[24:25]
	s_and_b32 s4, vcc_lo, s0
	s_delay_alu instid0(SALU_CYCLE_1)
	s_and_saveexec_b32 s0, s4
	s_cbranch_execz .LBB17_31
; %bb.30:                               ;   in Loop: Header=BB17_4 Depth=1
	v_mul_u64_e32 v[28:29], s[46:47], v[8:9]
	v_mul_u64_e32 v[32:33], s[42:43], v[12:13]
	s_delay_alu instid0(VALU_DEP_2) | instskip(NEXT) | instid1(VALU_DEP_1)
	v_lshl_add_u64 v[28:29], v[28:29], 3, s[10:11]
	v_lshl_add_u64 v[28:29], v[32:33], 3, v[28:29]
	s_delay_alu instid0(VALU_DEP_1)
	v_lshl_add_u64 v[24:25], v[24:25], 3, v[28:29]
	global_load_b64 v[24:25], v[24:25], off
	s_wait_loadcnt 0x0
	v_pk_add_f32 v[18:19], v[18:19], v[24:25]
.LBB17_31:                              ;   in Loop: Header=BB17_4 Depth=1
	s_wait_xcnt 0x0
	s_or_b32 exec_lo, exec_lo, s0
	s_mov_b32 s5, 0
                                        ; implicit-def: $vgpr24_vgpr25
	s_and_saveexec_b32 s0, s2
	s_delay_alu instid0(SALU_CYCLE_1)
	s_xor_b32 s4, exec_lo, s0
	s_cbranch_execnz .LBB17_49
; %bb.32:                               ;   in Loop: Header=BB17_4 Depth=1
	s_and_not1_saveexec_b32 s4, s4
	s_cbranch_execnz .LBB17_52
.LBB17_33:                              ;   in Loop: Header=BB17_4 Depth=1
	s_or_b32 exec_lo, exec_lo, s4
	s_and_saveexec_b32 s0, s5
	s_cbranch_execz .LBB17_35
.LBB17_34:                              ;   in Loop: Header=BB17_4 Depth=1
	v_mul_u64_e32 v[22:23], s[46:47], v[8:9]
	v_mul_u64_e32 v[26:27], s[42:43], v[12:13]
	s_delay_alu instid0(VALU_DEP_2) | instskip(NEXT) | instid1(VALU_DEP_1)
	v_lshl_add_u64 v[22:23], v[22:23], 3, s[10:11]
	v_lshl_add_u64 v[22:23], v[26:27], 3, v[22:23]
	s_delay_alu instid0(VALU_DEP_1)
	v_lshl_add_u64 v[22:23], v[24:25], 3, v[22:23]
	global_load_b64 v[22:23], v[22:23], off
	s_wait_loadcnt 0x0
	v_pk_add_f32 v[18:19], v[18:19], v[22:23]
.LBB17_35:                              ;   in Loop: Header=BB17_4 Depth=1
	s_wait_xcnt 0x0
	s_or_b32 exec_lo, exec_lo, s0
.LBB17_36:                              ;   in Loop: Header=BB17_4 Depth=1
	s_delay_alu instid0(SALU_CYCLE_1) | instskip(SKIP_1) | instid1(VALU_DEP_1)
	s_or_b32 exec_lo, exec_lo, s3
	v_add_nc_u64_e32 v[24:25], s[6:7], v[16:17]
	v_mul_u64_e32 v[22:23], s[36:37], v[24:25]
	s_and_saveexec_b32 s0, s2
	s_delay_alu instid0(SALU_CYCLE_1)
	s_xor_b32 s0, exec_lo, s0
	s_cbranch_execnz .LBB17_39
; %bb.37:                               ;   in Loop: Header=BB17_4 Depth=1
	s_or_saveexec_b32 s2, s0
	v_add_nc_u64_e32 v[24:25], s[30:31], v[4:5]
	s_xor_b32 exec_lo, exec_lo, s2
	s_cbranch_execnz .LBB17_40
.LBB17_38:                              ;   in Loop: Header=BB17_4 Depth=1
	s_or_b32 exec_lo, exec_lo, s2
	s_and_saveexec_b32 s2, s1
	s_cbranch_execz .LBB17_3
	s_branch .LBB17_43
.LBB17_39:                              ;   in Loop: Header=BB17_4 Depth=1
	v_mul_u64_e32 v[22:23], s[36:37], v[24:25]
                                        ; implicit-def: $vgpr20_vgpr21
	s_or_saveexec_b32 s2, s0
	v_add_nc_u64_e32 v[24:25], s[30:31], v[4:5]
	s_xor_b32 exec_lo, exec_lo, s2
	s_cbranch_execz .LBB17_38
.LBB17_40:                              ;   in Loop: Header=BB17_4 Depth=1
	s_delay_alu instid0(VALU_DEP_2) | instskip(NEXT) | instid1(VALU_DEP_1)
	v_sub_nc_u64_e32 v[20:21], v[22:23], v[20:21]
	v_add_nc_u64_e32 v[20:21], v[24:25], v[20:21]
	s_delay_alu instid0(VALU_DEP_1) | instskip(SKIP_2) | instid1(SALU_CYCLE_1)
	v_cmp_lt_i64_e32 vcc_lo, -1, v[20:21]
	v_cmp_gt_i64_e64 s0, s[42:43], v[20:21]
	s_and_b32 s3, vcc_lo, s0
	s_and_saveexec_b32 s0, s3
	s_cbranch_execz .LBB17_42
; %bb.41:                               ;   in Loop: Header=BB17_4 Depth=1
	v_mul_u64_e32 v[26:27], s[46:47], v[8:9]
	v_mul_u64_e32 v[28:29], s[42:43], v[12:13]
	s_delay_alu instid0(VALU_DEP_2) | instskip(NEXT) | instid1(VALU_DEP_1)
	v_lshl_add_u64 v[26:27], v[26:27], 3, s[10:11]
	v_lshl_add_u64 v[26:27], v[28:29], 3, v[26:27]
	s_delay_alu instid0(VALU_DEP_1)
	v_lshl_add_u64 v[20:21], v[20:21], 3, v[26:27]
	global_load_b64 v[20:21], v[20:21], off
	s_wait_loadcnt 0x0
	v_pk_add_f32 v[18:19], v[18:19], v[20:21]
.LBB17_42:                              ;   in Loop: Header=BB17_4 Depth=1
	s_wait_xcnt 0x0
	s_or_b32 exec_lo, exec_lo, s0
	s_delay_alu instid0(SALU_CYCLE_1)
	s_or_b32 exec_lo, exec_lo, s2
	s_and_saveexec_b32 s2, s1
	s_cbranch_execz .LBB17_3
.LBB17_43:                              ;   in Loop: Header=BB17_4 Depth=1
	v_mad_nc_u64_u32 v[16:17], s14, v10, v[16:17]
	s_delay_alu instid0(VALU_DEP_1) | instskip(NEXT) | instid1(VALU_DEP_1)
	v_mad_u32 v3, s15, v10, v17
	v_mad_u32 v17, s14, v11, v3
	s_delay_alu instid0(VALU_DEP_1) | instskip(NEXT) | instid1(VALU_DEP_1)
	v_add_nc_u64_e32 v[10:11], 2, v[16:17]
	v_mad_nc_u64_u32 v[16:17], s12, v10, v[22:23]
	s_delay_alu instid0(VALU_DEP_1) | instskip(NEXT) | instid1(VALU_DEP_1)
	v_mad_u32 v3, s13, v10, v17
	v_mad_u32 v17, s12, v11, v3
	s_delay_alu instid0(VALU_DEP_1) | instskip(NEXT) | instid1(VALU_DEP_1)
	v_add_nc_u64_e32 v[10:11], v[24:25], v[16:17]
	v_add_nc_u64_e32 v[10:11], -2, v[10:11]
	s_delay_alu instid0(VALU_DEP_1) | instskip(SKIP_2) | instid1(SALU_CYCLE_1)
	v_cmp_lt_i64_e32 vcc_lo, -1, v[10:11]
	v_cmp_gt_i64_e64 s0, s[42:43], v[10:11]
	s_and_b32 s1, vcc_lo, s0
	s_and_saveexec_b32 s0, s1
	s_cbranch_execz .LBB17_2
; %bb.44:                               ;   in Loop: Header=BB17_4 Depth=1
	v_mul_u64_e32 v[16:17], s[46:47], v[8:9]
	v_mul_u64_e32 v[20:21], s[42:43], v[12:13]
	s_delay_alu instid0(VALU_DEP_2) | instskip(NEXT) | instid1(VALU_DEP_1)
	v_lshl_add_u64 v[16:17], v[16:17], 3, s[10:11]
	v_lshl_add_u64 v[16:17], v[20:21], 3, v[16:17]
	s_delay_alu instid0(VALU_DEP_1)
	v_lshl_add_u64 v[10:11], v[10:11], 3, v[16:17]
	global_load_b64 v[10:11], v[10:11], off
	s_wait_loadcnt 0x0
	v_pk_add_f32 v[18:19], v[18:19], v[10:11]
	s_branch .LBB17_2
.LBB17_45:                              ;   in Loop: Header=BB17_4 Depth=1
	s_mov_b32 s0, 0
                                        ; implicit-def: $vgpr28_vgpr29
	s_and_saveexec_b32 s5, s1
	s_delay_alu instid0(SALU_CYCLE_1)
	s_xor_b32 s5, exec_lo, s5
	s_cbranch_execz .LBB17_47
; %bb.46:                               ;   in Loop: Header=BB17_4 Depth=1
	v_mad_nc_u64_u32 v[28:29], s14, v10, v[16:17]
	s_delay_alu instid0(VALU_DEP_1) | instskip(NEXT) | instid1(VALU_DEP_1)
	v_mad_u32 v3, s15, v10, v29
	v_mad_u32 v29, s14, v11, v3
	s_delay_alu instid0(VALU_DEP_1) | instskip(NEXT) | instid1(VALU_DEP_1)
	v_add_nc_u64_e32 v[28:29], 2, v[28:29]
	v_mad_nc_u64_u32 v[32:33], s12, v28, v[26:27]
	s_delay_alu instid0(VALU_DEP_1) | instskip(NEXT) | instid1(VALU_DEP_1)
	v_mad_u32 v3, s13, v28, v33
	v_mad_u32 v33, s12, v29, v3
	v_add_nc_u64_e32 v[28:29], s[30:31], v[4:5]
	s_delay_alu instid0(VALU_DEP_1) | instskip(SKIP_1) | instid1(VALU_DEP_2)
	v_add_nc_u64_e32 v[28:29], v[28:29], v[32:33]
	v_sub_nc_u64_e32 v[32:33], s[44:45], v[22:23]
	v_add_nc_u64_e32 v[28:29], -2, v[28:29]
	s_delay_alu instid0(VALU_DEP_1) | instskip(SKIP_1) | instid1(VALU_DEP_4)
	v_cmp_lt_i64_e32 vcc_lo, -1, v[28:29]
	v_cmp_gt_i64_e64 s0, s[42:43], v[28:29]
	v_add_nc_u64_e32 v[28:29], v[32:33], v[26:27]
	s_and_b32 s0, vcc_lo, s0
	s_delay_alu instid0(SALU_CYCLE_1)
	s_and_b32 s0, s0, exec_lo
.LBB17_47:                              ;   in Loop: Header=BB17_4 Depth=1
	s_or_b32 exec_lo, exec_lo, s5
	s_delay_alu instid0(SALU_CYCLE_1)
	s_and_b32 s5, s0, exec_lo
                                        ; implicit-def: $vgpr26_vgpr27
	s_and_not1_saveexec_b32 s4, s4
	s_cbranch_execz .LBB17_25
.LBB17_48:                              ;   in Loop: Header=BB17_4 Depth=1
	v_sub_nc_u64_e32 v[26:27], v[26:27], v[20:21]
	v_add_nc_u64_e32 v[28:29], s[30:31], v[4:5]
	s_and_not1_b32 s5, s5, exec_lo
	s_delay_alu instid0(VALU_DEP_1) | instskip(NEXT) | instid1(VALU_DEP_1)
	v_add_nc_u64_e32 v[28:29], v[28:29], v[26:27]
	v_cmp_lt_i64_e32 vcc_lo, -1, v[28:29]
	v_cmp_gt_i64_e64 s0, s[42:43], v[28:29]
	s_and_b32 s0, vcc_lo, s0
	s_delay_alu instid0(SALU_CYCLE_1) | instskip(NEXT) | instid1(SALU_CYCLE_1)
	s_and_b32 s0, s0, exec_lo
	s_or_b32 s5, s5, s0
	s_or_b32 exec_lo, exec_lo, s4
	s_and_saveexec_b32 s0, s5
	s_cbranch_execnz .LBB17_26
	s_branch .LBB17_27
.LBB17_49:                              ;   in Loop: Header=BB17_4 Depth=1
	s_mov_b32 s0, 0
                                        ; implicit-def: $vgpr24_vgpr25
	s_and_saveexec_b32 s5, s1
	s_delay_alu instid0(SALU_CYCLE_1)
	s_xor_b32 s5, exec_lo, s5
	s_cbranch_execz .LBB17_51
; %bb.50:                               ;   in Loop: Header=BB17_4 Depth=1
	v_mad_nc_u64_u32 v[24:25], s14, v10, v[16:17]
	s_delay_alu instid0(VALU_DEP_1) | instskip(NEXT) | instid1(VALU_DEP_1)
	v_mad_u32 v3, s15, v10, v25
	v_mad_u32 v25, s14, v11, v3
	s_delay_alu instid0(VALU_DEP_1) | instskip(NEXT) | instid1(VALU_DEP_1)
	v_add_nc_u64_e32 v[24:25], 2, v[24:25]
	v_mad_nc_u64_u32 v[28:29], s12, v24, v[26:27]
	v_add_nc_u64_e32 v[26:27], s[50:51], v[26:27]
	s_delay_alu instid0(VALU_DEP_2) | instskip(NEXT) | instid1(VALU_DEP_1)
	v_mad_u32 v3, s13, v24, v29
	v_mad_u32 v29, s12, v25, v3
	v_add_nc_u64_e32 v[24:25], s[30:31], v[4:5]
	s_delay_alu instid0(VALU_DEP_1) | instskip(NEXT) | instid1(VALU_DEP_1)
	v_add_nc_u64_e32 v[24:25], v[24:25], v[28:29]
	v_add_nc_u64_e32 v[24:25], -2, v[24:25]
	s_delay_alu instid0(VALU_DEP_1) | instskip(SKIP_3) | instid1(SALU_CYCLE_1)
	v_cmp_lt_i64_e32 vcc_lo, -1, v[24:25]
	v_cmp_gt_i64_e64 s0, s[42:43], v[24:25]
	v_sub_nc_u64_e32 v[24:25], v[26:27], v[22:23]
	s_and_b32 s0, vcc_lo, s0
	s_and_b32 s0, s0, exec_lo
.LBB17_51:                              ;   in Loop: Header=BB17_4 Depth=1
	s_or_b32 exec_lo, exec_lo, s5
	s_delay_alu instid0(SALU_CYCLE_1)
	s_and_b32 s5, s0, exec_lo
                                        ; implicit-def: $vgpr26_vgpr27
	s_and_not1_saveexec_b32 s4, s4
	s_cbranch_execz .LBB17_33
.LBB17_52:                              ;   in Loop: Header=BB17_4 Depth=1
	v_sub_nc_u64_e32 v[22:23], v[26:27], v[20:21]
	v_add_nc_u64_e32 v[24:25], s[30:31], v[4:5]
	s_and_not1_b32 s5, s5, exec_lo
	s_delay_alu instid0(VALU_DEP_1) | instskip(NEXT) | instid1(VALU_DEP_1)
	v_add_nc_u64_e32 v[24:25], v[24:25], v[22:23]
	v_cmp_lt_i64_e32 vcc_lo, -1, v[24:25]
	v_cmp_gt_i64_e64 s0, s[42:43], v[24:25]
	s_and_b32 s0, vcc_lo, s0
	s_delay_alu instid0(SALU_CYCLE_1) | instskip(NEXT) | instid1(SALU_CYCLE_1)
	s_and_b32 s0, s0, exec_lo
	s_or_b32 s5, s5, s0
	s_or_b32 exec_lo, exec_lo, s4
	s_and_saveexec_b32 s0, s5
	s_cbranch_execnz .LBB17_34
	s_branch .LBB17_35
.LBB17_53:
	s_endpgm
	.section	.rodata,"a",@progbits
	.p2align	6, 0x0
	.amdhsa_kernel _ZN2at6native12_GLOBAL__N_140reflection_pad2d_backward_det_out_kernelIN3c107complexIfEEEEvPT_PKS6_lliiiiiii
		.amdhsa_group_segment_fixed_size 0
		.amdhsa_private_segment_fixed_size 0
		.amdhsa_kernarg_size 320
		.amdhsa_user_sgpr_count 2
		.amdhsa_user_sgpr_dispatch_ptr 0
		.amdhsa_user_sgpr_queue_ptr 0
		.amdhsa_user_sgpr_kernarg_segment_ptr 1
		.amdhsa_user_sgpr_dispatch_id 0
		.amdhsa_user_sgpr_kernarg_preload_length 0
		.amdhsa_user_sgpr_kernarg_preload_offset 0
		.amdhsa_user_sgpr_private_segment_size 0
		.amdhsa_wavefront_size32 1
		.amdhsa_uses_dynamic_stack 0
		.amdhsa_enable_private_segment 0
		.amdhsa_system_sgpr_workgroup_id_x 1
		.amdhsa_system_sgpr_workgroup_id_y 0
		.amdhsa_system_sgpr_workgroup_id_z 0
		.amdhsa_system_sgpr_workgroup_info 0
		.amdhsa_system_vgpr_workitem_id 0
		.amdhsa_next_free_vgpr 34
		.amdhsa_next_free_sgpr 76
		.amdhsa_named_barrier_count 0
		.amdhsa_reserve_vcc 1
		.amdhsa_float_round_mode_32 0
		.amdhsa_float_round_mode_16_64 0
		.amdhsa_float_denorm_mode_32 3
		.amdhsa_float_denorm_mode_16_64 3
		.amdhsa_fp16_overflow 0
		.amdhsa_memory_ordered 1
		.amdhsa_forward_progress 1
		.amdhsa_inst_pref_size 39
		.amdhsa_round_robin_scheduling 0
		.amdhsa_exception_fp_ieee_invalid_op 0
		.amdhsa_exception_fp_denorm_src 0
		.amdhsa_exception_fp_ieee_div_zero 0
		.amdhsa_exception_fp_ieee_overflow 0
		.amdhsa_exception_fp_ieee_underflow 0
		.amdhsa_exception_fp_ieee_inexact 0
		.amdhsa_exception_int_div_zero 0
	.end_amdhsa_kernel
	.section	.text._ZN2at6native12_GLOBAL__N_140reflection_pad2d_backward_det_out_kernelIN3c107complexIfEEEEvPT_PKS6_lliiiiiii,"axG",@progbits,_ZN2at6native12_GLOBAL__N_140reflection_pad2d_backward_det_out_kernelIN3c107complexIfEEEEvPT_PKS6_lliiiiiii,comdat
.Lfunc_end17:
	.size	_ZN2at6native12_GLOBAL__N_140reflection_pad2d_backward_det_out_kernelIN3c107complexIfEEEEvPT_PKS6_lliiiiiii, .Lfunc_end17-_ZN2at6native12_GLOBAL__N_140reflection_pad2d_backward_det_out_kernelIN3c107complexIfEEEEvPT_PKS6_lliiiiiii
                                        ; -- End function
	.set _ZN2at6native12_GLOBAL__N_140reflection_pad2d_backward_det_out_kernelIN3c107complexIfEEEEvPT_PKS6_lliiiiiii.num_vgpr, 34
	.set _ZN2at6native12_GLOBAL__N_140reflection_pad2d_backward_det_out_kernelIN3c107complexIfEEEEvPT_PKS6_lliiiiiii.num_agpr, 0
	.set _ZN2at6native12_GLOBAL__N_140reflection_pad2d_backward_det_out_kernelIN3c107complexIfEEEEvPT_PKS6_lliiiiiii.numbered_sgpr, 76
	.set _ZN2at6native12_GLOBAL__N_140reflection_pad2d_backward_det_out_kernelIN3c107complexIfEEEEvPT_PKS6_lliiiiiii.num_named_barrier, 0
	.set _ZN2at6native12_GLOBAL__N_140reflection_pad2d_backward_det_out_kernelIN3c107complexIfEEEEvPT_PKS6_lliiiiiii.private_seg_size, 0
	.set _ZN2at6native12_GLOBAL__N_140reflection_pad2d_backward_det_out_kernelIN3c107complexIfEEEEvPT_PKS6_lliiiiiii.uses_vcc, 1
	.set _ZN2at6native12_GLOBAL__N_140reflection_pad2d_backward_det_out_kernelIN3c107complexIfEEEEvPT_PKS6_lliiiiiii.uses_flat_scratch, 0
	.set _ZN2at6native12_GLOBAL__N_140reflection_pad2d_backward_det_out_kernelIN3c107complexIfEEEEvPT_PKS6_lliiiiiii.has_dyn_sized_stack, 0
	.set _ZN2at6native12_GLOBAL__N_140reflection_pad2d_backward_det_out_kernelIN3c107complexIfEEEEvPT_PKS6_lliiiiiii.has_recursion, 0
	.set _ZN2at6native12_GLOBAL__N_140reflection_pad2d_backward_det_out_kernelIN3c107complexIfEEEEvPT_PKS6_lliiiiiii.has_indirect_call, 0
	.section	.AMDGPU.csdata,"",@progbits
; Kernel info:
; codeLenInByte = 4968
; TotalNumSgprs: 78
; NumVgprs: 34
; ScratchSize: 0
; MemoryBound: 0
; FloatMode: 240
; IeeeMode: 1
; LDSByteSize: 0 bytes/workgroup (compile time only)
; SGPRBlocks: 0
; VGPRBlocks: 2
; NumSGPRsForWavesPerEU: 78
; NumVGPRsForWavesPerEU: 34
; NamedBarCnt: 0
; Occupancy: 16
; WaveLimiterHint : 0
; COMPUTE_PGM_RSRC2:SCRATCH_EN: 0
; COMPUTE_PGM_RSRC2:USER_SGPR: 2
; COMPUTE_PGM_RSRC2:TRAP_HANDLER: 0
; COMPUTE_PGM_RSRC2:TGID_X_EN: 1
; COMPUTE_PGM_RSRC2:TGID_Y_EN: 0
; COMPUTE_PGM_RSRC2:TGID_Z_EN: 0
; COMPUTE_PGM_RSRC2:TIDIG_COMP_CNT: 0
	.section	.text._ZN2at6native12_GLOBAL__N_136reflection_pad2d_backward_out_kernelIN3c107complexIfEEEEvPT_PKS6_lliiiiiii,"axG",@progbits,_ZN2at6native12_GLOBAL__N_136reflection_pad2d_backward_out_kernelIN3c107complexIfEEEEvPT_PKS6_lliiiiiii,comdat
	.globl	_ZN2at6native12_GLOBAL__N_136reflection_pad2d_backward_out_kernelIN3c107complexIfEEEEvPT_PKS6_lliiiiiii ; -- Begin function _ZN2at6native12_GLOBAL__N_136reflection_pad2d_backward_out_kernelIN3c107complexIfEEEEvPT_PKS6_lliiiiiii
	.p2align	8
	.type	_ZN2at6native12_GLOBAL__N_136reflection_pad2d_backward_out_kernelIN3c107complexIfEEEEvPT_PKS6_lliiiiiii,@function
_ZN2at6native12_GLOBAL__N_136reflection_pad2d_backward_out_kernelIN3c107complexIfEEEEvPT_PKS6_lliiiiiii: ; @_ZN2at6native12_GLOBAL__N_136reflection_pad2d_backward_out_kernelIN3c107complexIfEEEEvPT_PKS6_lliiiiiii
; %bb.0:
	s_clause 0x2
	s_load_b32 s2, s[0:1], 0x4c
	s_load_b128 s[24:27], s[0:1], 0x20
	s_load_b256 s[4:11], s[0:1], 0x0
	s_bfe_u32 s3, ttmp6, 0x4000c
	s_and_b32 s12, ttmp6, 15
	s_add_co_i32 s3, s3, 1
	s_getreg_b32 s15, hwreg(HW_REG_IB_STS2, 6, 4)
	s_mul_i32 s3, ttmp9, s3
	v_mov_b32_e32 v1, 0
	s_add_co_i32 s3, s12, s3
	s_wait_kmcnt 0x0
	s_and_b32 s14, s2, 0xffff
	s_cmp_eq_u32 s15, 0
	s_mov_b32 s2, s26
	s_cselect_b32 s16, ttmp9, s3
	s_ashr_i32 s3, s26, 31
	v_mad_u32 v0, s16, s14, v0
	s_mov_b32 s12, s27
	s_ashr_i32 s13, s27, 31
	s_add_nc_u64 s[16:17], s[8:9], s[2:3]
	s_ashr_i32 s19, s24, 31
	s_mov_b32 s18, s24
	s_add_nc_u64 s[22:23], s[16:17], s[12:13]
	s_add_nc_u64 s[20:21], s[10:11], s[18:19]
	s_ashr_i32 s13, s25, 31
	s_mov_b32 s12, s25
	s_delay_alu instid0(SALU_CYCLE_1) | instskip(NEXT) | instid1(SALU_CYCLE_1)
	s_add_nc_u64 s[24:25], s[20:21], s[12:13]
	s_mul_u64 s[12:13], s[22:23], s[24:25]
	s_delay_alu instid0(SALU_CYCLE_1)
	v_cmp_gt_i64_e32 vcc_lo, s[12:13], v[0:1]
	s_and_saveexec_b32 s12, vcc_lo
	s_cbranch_execz .LBB18_5
; %bb.1:
	s_load_b96 s[12:14], s[0:1], 0x30
	s_wait_xcnt 0x0
	s_and_b64 s[0:1], s[22:23], 0xffffffff00000000
	s_delay_alu instid0(SALU_CYCLE_1)
	s_cmp_lg_u64 s[0:1], 0
	s_cbranch_scc0 .LBB18_6
; %bb.2:
	s_ashr_i32 s26, s23, 31
	v_add_nc_u64_e32 v[2:3], 0, v[0:1]
	s_mov_b32 s27, s26
	v_mov_b32_e32 v5, 0
	s_add_nc_u64 s[0:1], s[22:23], s[26:27]
	s_delay_alu instid0(SALU_CYCLE_1) | instskip(NEXT) | instid1(VALU_DEP_2)
	s_xor_b64 s[28:29], s[0:1], s[26:27]
	v_mov_b32_e32 v4, v2
	s_cvt_f32_u32 s0, s28
	s_cvt_f32_u32 s1, s29
	s_sub_nc_u64 s[34:35], 0, s[28:29]
	s_delay_alu instid0(SALU_CYCLE_2) | instskip(NEXT) | instid1(SALU_CYCLE_3)
	s_fmamk_f32 s0, s1, 0x4f800000, s0
	v_s_rcp_f32 s0, s0
	s_delay_alu instid0(TRANS32_DEP_1) | instskip(NEXT) | instid1(SALU_CYCLE_3)
	s_mul_f32 s0, s0, 0x5f7ffffc
	s_mul_f32 s1, s0, 0x2f800000
	s_delay_alu instid0(SALU_CYCLE_3) | instskip(NEXT) | instid1(SALU_CYCLE_3)
	s_trunc_f32 s1, s1
	s_fmamk_f32 s0, s1, 0xcf800000, s0
	s_cvt_u32_f32 s31, s1
	s_mov_b32 s1, 0
	s_delay_alu instid0(SALU_CYCLE_1) | instskip(NEXT) | instid1(SALU_CYCLE_3)
	s_cvt_u32_f32 s30, s0
	s_mul_u64 s[36:37], s[34:35], s[30:31]
	s_delay_alu instid0(SALU_CYCLE_1)
	s_mul_hi_u32 s39, s30, s37
	s_mul_i32 s38, s30, s37
	s_mul_hi_u32 s0, s30, s36
	s_mul_i32 s33, s31, s36
	s_add_nc_u64 s[38:39], s[0:1], s[38:39]
	s_mul_hi_u32 s27, s31, s36
	s_mul_hi_u32 s40, s31, s37
	s_add_co_u32 s0, s38, s33
	s_add_co_ci_u32 s0, s39, s27
	s_mul_i32 s36, s31, s37
	s_add_co_ci_u32 s37, s40, 0
	s_delay_alu instid0(SALU_CYCLE_1) | instskip(NEXT) | instid1(SALU_CYCLE_1)
	s_add_nc_u64 s[36:37], s[0:1], s[36:37]
	s_add_co_u32 s30, s30, s36
	s_cselect_b32 s0, -1, 0
	s_delay_alu instid0(SALU_CYCLE_1) | instskip(SKIP_1) | instid1(SALU_CYCLE_1)
	s_cmp_lg_u32 s0, 0
	s_add_co_ci_u32 s31, s31, s37
	s_mul_u64 s[34:35], s[34:35], s[30:31]
	s_delay_alu instid0(SALU_CYCLE_1)
	s_mul_hi_u32 s37, s30, s35
	s_mul_i32 s36, s30, s35
	s_mul_hi_u32 s0, s30, s34
	s_mul_i32 s33, s31, s34
	s_add_nc_u64 s[36:37], s[0:1], s[36:37]
	s_mul_hi_u32 s27, s31, s34
	s_mul_hi_u32 s38, s31, s35
	s_add_co_u32 s0, s36, s33
	s_add_co_ci_u32 s0, s37, s27
	s_mul_i32 s34, s31, s35
	s_add_co_ci_u32 s35, s38, 0
	s_delay_alu instid0(SALU_CYCLE_1) | instskip(NEXT) | instid1(SALU_CYCLE_1)
	s_add_nc_u64 s[34:35], s[0:1], s[34:35]
	s_add_co_u32 s30, s30, s34
	s_cselect_b32 s0, -1, 0
	s_delay_alu instid0(SALU_CYCLE_1)
	s_cmp_lg_u32 s0, 0
	s_add_co_ci_u32 s0, s31, s35
	s_mov_b64 s[34:35], 0xffffffff
	v_nop
	v_mul_u64_e32 v[6:7], s[0:1], v[4:5]
	v_mul_hi_u32 v4, v2, s30
	s_and_b64 s[30:31], s[30:31], s[34:35]
	s_delay_alu instid0(VALU_DEP_1) | instskip(SKIP_1) | instid1(VALU_DEP_1)
	v_add_nc_u64_e32 v[6:7], v[4:5], v[6:7]
	v_mov_b32_e32 v4, v3
	v_mul_u64_e32 v[8:9], s[30:31], v[4:5]
	v_mul_u64_e32 v[10:11], s[0:1], v[4:5]
	s_delay_alu instid0(VALU_DEP_2) | instskip(NEXT) | instid1(VALU_DEP_3)
	v_add_co_u32 v4, vcc_lo, v6, v8
	v_add_co_ci_u32_e32 v4, vcc_lo, v7, v9, vcc_lo
	s_delay_alu instid0(VALU_DEP_3) | instskip(NEXT) | instid1(VALU_DEP_1)
	v_add_co_ci_u32_e32 v11, vcc_lo, 0, v11, vcc_lo
	v_add_nc_u64_e32 v[4:5], v[4:5], v[10:11]
	s_delay_alu instid0(VALU_DEP_1) | instskip(NEXT) | instid1(VALU_DEP_1)
	v_mul_u64_e32 v[6:7], s[28:29], v[4:5]
	v_sub_nc_u32_e32 v8, v3, v7
	s_delay_alu instid0(VALU_DEP_2) | instskip(NEXT) | instid1(VALU_DEP_1)
	v_sub_co_u32 v2, vcc_lo, v2, v6
	v_sub_co_ci_u32_e64 v7, null, v3, v7, vcc_lo
	s_delay_alu instid0(VALU_DEP_3) | instskip(NEXT) | instid1(VALU_DEP_3)
	v_subrev_co_ci_u32_e64 v6, null, s29, v8, vcc_lo
	v_sub_co_u32 v10, s0, v2, s28
	v_cmp_le_u32_e32 vcc_lo, s28, v2
	s_delay_alu instid0(VALU_DEP_3) | instskip(NEXT) | instid1(VALU_DEP_3)
	v_subrev_co_ci_u32_e64 v6, null, 0, v6, s0
	v_cmp_le_u32_e64 s0, s28, v10
	v_add_nc_u64_e32 v[8:9], 2, v[4:5]
	v_cndmask_b32_e64 v12, 0, -1, vcc_lo
	s_delay_alu instid0(VALU_DEP_4) | instskip(SKIP_3) | instid1(VALU_DEP_1)
	v_cmp_eq_u32_e32 vcc_lo, s29, v6
	v_add_nc_u64_e32 v[2:3], 1, v[4:5]
	v_cndmask_b32_e64 v10, 0, -1, s0
	v_cmp_le_u32_e64 s0, s29, v6
	v_cndmask_b32_e64 v11, 0, -1, s0
	v_cmp_eq_u32_e64 s0, s29, v7
	s_delay_alu instid0(VALU_DEP_2) | instskip(SKIP_2) | instid1(VALU_DEP_3)
	v_cndmask_b32_e32 v6, v11, v10, vcc_lo
	v_cmp_le_u32_e32 vcc_lo, s29, v7
	v_cndmask_b32_e64 v10, 0, -1, vcc_lo
	v_cmp_ne_u32_e32 vcc_lo, 0, v6
	s_delay_alu instid0(VALU_DEP_2) | instskip(SKIP_1) | instid1(VALU_DEP_2)
	v_dual_cndmask_b32 v6, v10, v12, s0 :: v_dual_cndmask_b32 v3, v3, v9, vcc_lo
	v_cndmask_b32_e32 v2, v2, v8, vcc_lo
	v_cmp_ne_u32_e32 vcc_lo, 0, v6
	s_delay_alu instid0(VALU_DEP_2) | instskip(SKIP_1) | instid1(VALU_DEP_2)
	v_dual_cndmask_b32 v5, v5, v3 :: v_dual_cndmask_b32 v4, v4, v2
	v_dual_mov_b32 v3, s26 :: v_dual_mov_b32 v2, s26
	v_xor_b32_e32 v5, s26, v5
	s_delay_alu instid0(VALU_DEP_3) | instskip(NEXT) | instid1(VALU_DEP_1)
	v_xor_b32_e32 v4, s26, v4
	v_sub_nc_u64_e32 v[2:3], v[4:5], v[2:3]
	s_cbranch_execnz .LBB18_4
.LBB18_3:
	v_cvt_f32_u32_e32 v2, s22
	s_sub_co_i32 s0, 0, s22
	s_delay_alu instid0(VALU_DEP_1) | instskip(SKIP_1) | instid1(TRANS32_DEP_1)
	v_rcp_iflag_f32_e32 v2, v2
	v_nop
	v_mul_f32_e32 v2, 0x4f7ffffe, v2
	s_delay_alu instid0(VALU_DEP_1) | instskip(NEXT) | instid1(VALU_DEP_1)
	v_cvt_u32_f32_e32 v2, v2
	v_mul_lo_u32 v3, s0, v2
	s_delay_alu instid0(VALU_DEP_1) | instskip(NEXT) | instid1(VALU_DEP_1)
	v_mul_hi_u32 v3, v2, v3
	v_add_nc_u32_e32 v2, v2, v3
	s_delay_alu instid0(VALU_DEP_1) | instskip(NEXT) | instid1(VALU_DEP_1)
	v_mul_hi_u32 v2, v0, v2
	v_mul_lo_u32 v3, v2, s22
	s_delay_alu instid0(VALU_DEP_1) | instskip(NEXT) | instid1(VALU_DEP_1)
	v_dual_add_nc_u32 v4, 1, v2 :: v_dual_sub_nc_u32 v3, v0, v3
	v_subrev_nc_u32_e32 v5, s22, v3
	v_cmp_le_u32_e32 vcc_lo, s22, v3
	s_delay_alu instid0(VALU_DEP_2) | instskip(NEXT) | instid1(VALU_DEP_1)
	v_dual_cndmask_b32 v3, v3, v5 :: v_dual_cndmask_b32 v2, v2, v4
	v_cmp_le_u32_e32 vcc_lo, s22, v3
	s_delay_alu instid0(VALU_DEP_2) | instskip(NEXT) | instid1(VALU_DEP_1)
	v_dual_mov_b32 v3, 0 :: v_dual_add_nc_u32 v4, 1, v2
	v_cndmask_b32_e32 v2, v2, v4, vcc_lo
.LBB18_4:
	s_bfe_u32 s0, ttmp6, 0x40010
	s_bfe_u32 s26, ttmp6, 0x40014
	s_and_b32 s1, ttmp7, 0xffff
	s_add_co_i32 s0, s0, 1
	s_lshr_b32 s27, ttmp7, 16
	s_add_co_i32 s26, s26, 1
	s_mul_i32 s0, s1, s0
	s_bfe_u32 s28, ttmp6, 0x40004
	s_mul_i32 s26, s27, s26
	s_bfe_u32 s29, ttmp6, 0x40008
	s_add_co_i32 s28, s28, s0
	s_add_co_i32 s29, s29, s26
	s_cmp_eq_u32 s15, 0
	v_mul_u64_e32 v[6:7], s[22:23], v[2:3]
	s_cselect_b32 s0, s27, s29
	s_cselect_b32 s1, s1, s28
	s_wait_kmcnt 0x0
	s_add_co_i32 s0, s13, s0
	s_add_co_i32 s1, s12, s1
	s_mul_i32 s0, s0, s14
	v_sub_nc_u64_e64 v[8:9], v[2:3], s[20:21]
	s_add_co_i32 s0, s1, s0
	v_sub_nc_u64_e64 v[14:15], v[2:3], s[18:19]
	v_mad_nc_u64_u32 v[4:5], s24, s0, v[2:3]
	s_mov_b32 s1, 0
	s_delay_alu instid0(VALU_DEP_3) | instskip(SKIP_2) | instid1(VALU_DEP_4)
	v_add_nc_u64_e32 v[12:13], 1, v[8:9]
	v_not_b32_e32 v9, v9
	v_not_b32_e32 v8, v8
	v_mad_u32 v5, s25, s0, v5
	s_delay_alu instid0(VALU_DEP_2) | instskip(SKIP_2) | instid1(VALU_DEP_1)
	v_max_i64 v[8:9], v[12:13], v[8:9]
	v_sub_nc_u64_e32 v[12:13], 0, v[14:15]
	s_mul_u64 s[0:1], s[10:11], s[0:1]
	v_max_i64 v[12:13], v[14:15], v[12:13]
	v_max_i64 v[14:15], s[2:3], 0
	v_mul_u64_e32 v[4:5], s[22:23], v[4:5]
	v_sub_nc_u64_e32 v[0:1], v[0:1], v[6:7]
	v_max_i64 v[6:7], s[18:19], 0
	s_delay_alu instid0(VALU_DEP_2) | instskip(NEXT) | instid1(VALU_DEP_1)
	v_sub_nc_u64_e64 v[16:17], v[0:1], s[16:17]
	v_add_nc_u64_e32 v[18:19], 1, v[16:17]
	v_not_b32_e32 v17, v17
	v_not_b32_e32 v16, v16
	v_add_nc_u64_e32 v[2:3], v[2:3], v[8:9]
	v_sub_nc_u64_e64 v[8:9], v[0:1], s[2:3]
	v_lshl_add_u64 v[4:5], v[4:5], 3, s[6:7]
	s_sub_nc_u64 s[6:7], 0, s[18:19]
	v_not_b32_e32 v6, v6
	v_max_i64 v[10:11], s[6:7], 0
	v_not_b32_e32 v7, v7
	v_lshl_add_u64 v[4:5], v[0:1], 3, v[4:5]
	s_add_nc_u64 s[6:7], s[20:21], s[18:19]
	s_delay_alu instid0(VALU_DEP_2) | instid1(SALU_CYCLE_1)
	v_add_nc_u64_e32 v[6:7], s[6:7], v[6:7]
	global_load_b64 v[4:5], v[4:5], off
	s_sub_nc_u64 s[6:7], 0, s[2:3]
	v_add_nc_u64_e32 v[6:7], v[6:7], v[10:11]
	v_max_i64 v[10:11], v[18:19], v[16:17]
	v_max_i64 v[16:17], s[6:7], 0
	s_delay_alu instid0(VALU_DEP_3) | instskip(SKIP_1) | instid1(VALU_DEP_1)
	v_add_nc_u64_e32 v[6:7], s[0:1], v[6:7]
	s_add_nc_u64 s[0:1], s[16:17], s[2:3]
	v_sub_nc_u64_e32 v[2:3], v[6:7], v[2:3]
	v_sub_nc_u64_e32 v[6:7], 0, v[8:9]
	s_delay_alu instid0(VALU_DEP_2) | instskip(NEXT) | instid1(VALU_DEP_2)
	v_add_nc_u64_e32 v[2:3], v[2:3], v[12:13]
	v_max_i64 v[6:7], v[8:9], v[6:7]
	v_not_b32_e32 v8, v14
	v_not_b32_e32 v9, v15
	s_delay_alu instid0(VALU_DEP_4) | instskip(NEXT) | instid1(VALU_DEP_2)
	v_mul_u64_e32 v[2:3], s[8:9], v[2:3]
	v_add_nc_u64_e32 v[8:9], s[0:1], v[8:9]
	v_add_nc_u64_e32 v[0:1], v[0:1], v[10:11]
	s_delay_alu instid0(VALU_DEP_2) | instskip(NEXT) | instid1(VALU_DEP_1)
	v_add_nc_u64_e32 v[8:9], v[8:9], v[16:17]
	v_sub_nc_u64_e32 v[0:1], v[8:9], v[0:1]
	s_delay_alu instid0(VALU_DEP_1) | instskip(NEXT) | instid1(VALU_DEP_1)
	v_lshl_add_u64 v[0:1], v[0:1], 3, s[4:5]
	v_lshl_add_u64 v[0:1], v[6:7], 3, v[0:1]
	s_delay_alu instid0(VALU_DEP_1)
	v_lshl_add_u64 v[0:1], v[2:3], 3, v[0:1]
	s_wait_xcnt 0x0
	s_wait_loadcnt 0x0
	global_atomic_add_f32 v[0:1], v4, off scope:SCOPE_DEV
	s_wait_xcnt 0x0
	global_atomic_add_f32 v[0:1], v5, off offset:4 scope:SCOPE_DEV
.LBB18_5:
	s_endpgm
.LBB18_6:
                                        ; implicit-def: $vgpr2_vgpr3
	s_branch .LBB18_3
	.section	.rodata,"a",@progbits
	.p2align	6, 0x0
	.amdhsa_kernel _ZN2at6native12_GLOBAL__N_136reflection_pad2d_backward_out_kernelIN3c107complexIfEEEEvPT_PKS6_lliiiiiii
		.amdhsa_group_segment_fixed_size 0
		.amdhsa_private_segment_fixed_size 0
		.amdhsa_kernarg_size 320
		.amdhsa_user_sgpr_count 2
		.amdhsa_user_sgpr_dispatch_ptr 0
		.amdhsa_user_sgpr_queue_ptr 0
		.amdhsa_user_sgpr_kernarg_segment_ptr 1
		.amdhsa_user_sgpr_dispatch_id 0
		.amdhsa_user_sgpr_kernarg_preload_length 0
		.amdhsa_user_sgpr_kernarg_preload_offset 0
		.amdhsa_user_sgpr_private_segment_size 0
		.amdhsa_wavefront_size32 1
		.amdhsa_uses_dynamic_stack 0
		.amdhsa_enable_private_segment 0
		.amdhsa_system_sgpr_workgroup_id_x 1
		.amdhsa_system_sgpr_workgroup_id_y 1
		.amdhsa_system_sgpr_workgroup_id_z 1
		.amdhsa_system_sgpr_workgroup_info 0
		.amdhsa_system_vgpr_workitem_id 0
		.amdhsa_next_free_vgpr 20
		.amdhsa_next_free_sgpr 41
		.amdhsa_named_barrier_count 0
		.amdhsa_reserve_vcc 1
		.amdhsa_float_round_mode_32 0
		.amdhsa_float_round_mode_16_64 0
		.amdhsa_float_denorm_mode_32 3
		.amdhsa_float_denorm_mode_16_64 3
		.amdhsa_fp16_overflow 0
		.amdhsa_memory_ordered 1
		.amdhsa_forward_progress 1
		.amdhsa_inst_pref_size 11
		.amdhsa_round_robin_scheduling 0
		.amdhsa_exception_fp_ieee_invalid_op 0
		.amdhsa_exception_fp_denorm_src 0
		.amdhsa_exception_fp_ieee_div_zero 0
		.amdhsa_exception_fp_ieee_overflow 0
		.amdhsa_exception_fp_ieee_underflow 0
		.amdhsa_exception_fp_ieee_inexact 0
		.amdhsa_exception_int_div_zero 0
	.end_amdhsa_kernel
	.section	.text._ZN2at6native12_GLOBAL__N_136reflection_pad2d_backward_out_kernelIN3c107complexIfEEEEvPT_PKS6_lliiiiiii,"axG",@progbits,_ZN2at6native12_GLOBAL__N_136reflection_pad2d_backward_out_kernelIN3c107complexIfEEEEvPT_PKS6_lliiiiiii,comdat
.Lfunc_end18:
	.size	_ZN2at6native12_GLOBAL__N_136reflection_pad2d_backward_out_kernelIN3c107complexIfEEEEvPT_PKS6_lliiiiiii, .Lfunc_end18-_ZN2at6native12_GLOBAL__N_136reflection_pad2d_backward_out_kernelIN3c107complexIfEEEEvPT_PKS6_lliiiiiii
                                        ; -- End function
	.set _ZN2at6native12_GLOBAL__N_136reflection_pad2d_backward_out_kernelIN3c107complexIfEEEEvPT_PKS6_lliiiiiii.num_vgpr, 20
	.set _ZN2at6native12_GLOBAL__N_136reflection_pad2d_backward_out_kernelIN3c107complexIfEEEEvPT_PKS6_lliiiiiii.num_agpr, 0
	.set _ZN2at6native12_GLOBAL__N_136reflection_pad2d_backward_out_kernelIN3c107complexIfEEEEvPT_PKS6_lliiiiiii.numbered_sgpr, 41
	.set _ZN2at6native12_GLOBAL__N_136reflection_pad2d_backward_out_kernelIN3c107complexIfEEEEvPT_PKS6_lliiiiiii.num_named_barrier, 0
	.set _ZN2at6native12_GLOBAL__N_136reflection_pad2d_backward_out_kernelIN3c107complexIfEEEEvPT_PKS6_lliiiiiii.private_seg_size, 0
	.set _ZN2at6native12_GLOBAL__N_136reflection_pad2d_backward_out_kernelIN3c107complexIfEEEEvPT_PKS6_lliiiiiii.uses_vcc, 1
	.set _ZN2at6native12_GLOBAL__N_136reflection_pad2d_backward_out_kernelIN3c107complexIfEEEEvPT_PKS6_lliiiiiii.uses_flat_scratch, 0
	.set _ZN2at6native12_GLOBAL__N_136reflection_pad2d_backward_out_kernelIN3c107complexIfEEEEvPT_PKS6_lliiiiiii.has_dyn_sized_stack, 0
	.set _ZN2at6native12_GLOBAL__N_136reflection_pad2d_backward_out_kernelIN3c107complexIfEEEEvPT_PKS6_lliiiiiii.has_recursion, 0
	.set _ZN2at6native12_GLOBAL__N_136reflection_pad2d_backward_out_kernelIN3c107complexIfEEEEvPT_PKS6_lliiiiiii.has_indirect_call, 0
	.section	.AMDGPU.csdata,"",@progbits
; Kernel info:
; codeLenInByte = 1380
; TotalNumSgprs: 43
; NumVgprs: 20
; ScratchSize: 0
; MemoryBound: 0
; FloatMode: 240
; IeeeMode: 1
; LDSByteSize: 0 bytes/workgroup (compile time only)
; SGPRBlocks: 0
; VGPRBlocks: 1
; NumSGPRsForWavesPerEU: 43
; NumVGPRsForWavesPerEU: 20
; NamedBarCnt: 0
; Occupancy: 16
; WaveLimiterHint : 0
; COMPUTE_PGM_RSRC2:SCRATCH_EN: 0
; COMPUTE_PGM_RSRC2:USER_SGPR: 2
; COMPUTE_PGM_RSRC2:TRAP_HANDLER: 0
; COMPUTE_PGM_RSRC2:TGID_X_EN: 1
; COMPUTE_PGM_RSRC2:TGID_Y_EN: 1
; COMPUTE_PGM_RSRC2:TGID_Z_EN: 1
; COMPUTE_PGM_RSRC2:TIDIG_COMP_CNT: 0
	.section	.text._ZN2at6native12_GLOBAL__N_140reflection_pad2d_backward_det_out_kernelIN3c104HalfEEEvPT_PKS5_lliiiiiii,"axG",@progbits,_ZN2at6native12_GLOBAL__N_140reflection_pad2d_backward_det_out_kernelIN3c104HalfEEEvPT_PKS5_lliiiiiii,comdat
	.globl	_ZN2at6native12_GLOBAL__N_140reflection_pad2d_backward_det_out_kernelIN3c104HalfEEEvPT_PKS5_lliiiiiii ; -- Begin function _ZN2at6native12_GLOBAL__N_140reflection_pad2d_backward_det_out_kernelIN3c104HalfEEEvPT_PKS5_lliiiiiii
	.p2align	8
	.type	_ZN2at6native12_GLOBAL__N_140reflection_pad2d_backward_det_out_kernelIN3c104HalfEEEvPT_PKS5_lliiiiiii,@function
_ZN2at6native12_GLOBAL__N_140reflection_pad2d_backward_det_out_kernelIN3c104HalfEEEvPT_PKS5_lliiiiiii: ; @_ZN2at6native12_GLOBAL__N_140reflection_pad2d_backward_det_out_kernelIN3c104HalfEEEvPT_PKS5_lliiiiiii
; %bb.0:
	s_clause 0x2
	s_load_b32 s2, s[0:1], 0x4c
	s_load_b64 s[4:5], s[0:1], 0x30
	s_load_b256 s[8:15], s[0:1], 0x0
	s_bfe_u32 s3, ttmp6, 0x4000c
	s_and_b32 s6, ttmp6, 15
	s_add_co_i32 s3, s3, 1
	s_getreg_b32 s7, hwreg(HW_REG_IB_STS2, 6, 4)
	s_mul_i32 s3, ttmp9, s3
	v_mov_b32_e32 v2, 0
	s_add_co_i32 s6, s6, s3
	s_mov_b32 s23, 0
	s_delay_alu instid0(VALU_DEP_1)
	v_mov_b32_e32 v1, v2
	s_wait_kmcnt 0x0
	s_and_b32 s2, s2, 0xffff
	s_cmp_eq_u32 s7, 0
	s_mul_u64 s[18:19], s[14:15], s[12:13]
	s_cselect_b32 s3, ttmp9, s6
	s_ashr_i32 s7, s4, 31
	v_mad_u32 v0, s3, s2, v0
	s_mov_b32 s6, s4
	s_ashr_i32 s17, s5, 31
	s_mov_b32 s16, s5
	s_mul_u64 s[4:5], s[18:19], s[6:7]
	s_mov_b32 s3, exec_lo
	s_mul_u64 s[20:21], s[4:5], s[16:17]
	s_delay_alu instid0(VALU_DEP_1) | instid1(SALU_CYCLE_1)
	v_cmpx_gt_i64_e64 s[20:21], v[0:1]
	s_cbranch_execz .LBB19_53
; %bb.1:
	s_load_b128 s[4:7], s[0:1], 0x20
	s_wait_xcnt 0x0
	s_add_nc_u64 s[0:1], s[0:1], 64
	s_mul_u64 s[26:27], s[18:19], s[16:17]
	s_load_b32 s22, s[0:1], 0x0
	v_cvt_f32_u32_e32 v3, s26
	s_mov_b32 s3, s23
	s_add_nc_u64 s[28:29], s[14:15], -1
	v_sub_nc_u64_e32 v[4:5], 0, v[0:1]
	v_lshlrev_b64_e32 v[6:7], 1, v[0:1]
	v_rcp_iflag_f32_e32 v3, v3
	s_add_nc_u64 s[24:25], s[12:13], -1
	s_sub_nc_u64 s[52:53], 0, s[14:15]
	s_lshl_b64 s[54:55], s[16:17], 1
	s_lshl_b64 s[56:57], s[12:13], 1
	s_mov_b64 s[60:61], 0xffffffff
	s_sub_nc_u64 s[64:65], 0, s[18:19]
	v_nop
	v_mul_f32_e32 v3, 0x4f7ffffe, v3
	s_ashr_i32 s66, s27, 31
	s_mov_b32 s33, 0
	s_wait_kmcnt 0x0
	s_ashr_i32 s31, s6, 31
	s_mov_b32 s30, s6
	s_ashr_i32 s1, s7, 31
	s_mov_b32 s0, s7
	;; [unrolled: 2-line block ×4, first 2 shown]
	s_add_nc_u64 s[4:5], s[12:13], s[30:31]
	s_add_nc_u64 s[40:41], s[14:15], s[6:7]
	s_not_b64 s[42:43], s[0:1]
	s_add_nc_u64 s[36:37], s[4:5], s[0:1]
	s_add_nc_u64 s[0:1], s[40:41], s[38:39]
	s_mul_u64 s[34:35], s[2:3], s[22:23]
	s_not_b64 s[2:3], s[38:39]
	s_add_nc_u64 s[40:41], s[12:13], s[42:43]
	s_mul_u64 s[42:43], s[36:37], s[0:1]
	s_lshl_b64 s[0:1], s[28:29], 1
	v_cvt_u32_f32_e32 v28, v3
	s_add_nc_u64 s[4:5], s[4:5], s[24:25]
	s_add_nc_u64 s[38:39], s[14:15], s[2:3]
	s_lshl_b64 s[2:3], s[24:25], 1
	s_add_nc_u64 s[48:49], s[0:1], s[6:7]
	s_lshl_b64 s[0:1], s[30:31], 1
	s_add_nc_u64 s[44:45], s[4:5], -1
	s_mul_u64 s[46:47], s[42:43], s[16:17]
	s_add_nc_u64 s[50:51], s[2:3], s[30:31]
	s_add_nc_u64 s[58:59], s[10:11], s[0:1]
	s_lshl_b64 s[62:63], s[34:35], 1
	s_branch .LBB19_4
.LBB19_2:                               ;   in Loop: Header=BB19_4 Depth=1
	s_wait_xcnt 0x0
	s_or_b32 exec_lo, exec_lo, s0
.LBB19_3:                               ;   in Loop: Header=BB19_4 Depth=1
	s_delay_alu instid0(SALU_CYCLE_1) | instskip(SKIP_4) | instid1(VALU_DEP_3)
	s_or_b32 exec_lo, exec_lo, s2
	v_mul_u64_e32 v[10:11], s[56:57], v[14:15]
	v_lshlrev_b64_e32 v[12:13], 1, v[12:13]
	v_add_nc_u64_e32 v[0:1], s[34:35], v[0:1]
	v_sub_nc_u64_e64 v[4:5], v[4:5], s[34:35]
	v_mad_nc_u64_u32 v[12:13], s54, v8, v[12:13]
	s_delay_alu instid0(VALU_DEP_3) | instskip(SKIP_1) | instid1(VALU_DEP_2)
	v_cmp_le_i64_e32 vcc_lo, s[20:21], v[0:1]
	s_or_b32 s33, vcc_lo, s33
	v_mad_u32 v8, s55, v8, v13
	s_delay_alu instid0(VALU_DEP_1) | instskip(NEXT) | instid1(VALU_DEP_4)
	v_mad_u32 v8, s54, v9, v8
	v_mad_nc_u64_u32 v[10:11], s42, v12, v[10:11]
	s_delay_alu instid0(VALU_DEP_1) | instskip(NEXT) | instid1(VALU_DEP_1)
	v_mad_u32 v9, s43, v12, v11
	v_mad_u32 v11, s42, v8, v9
	s_delay_alu instid0(VALU_DEP_1) | instskip(SKIP_1) | instid1(VALU_DEP_2)
	v_lshl_add_u64 v[8:9], v[20:21], 1, v[10:11]
	v_add_nc_u64_e32 v[10:11], s[8:9], v[6:7]
	v_add_nc_u64_e32 v[8:9], v[6:7], v[8:9]
	v_add_nc_u64_e32 v[6:7], s[62:63], v[6:7]
	s_delay_alu instid0(VALU_DEP_2)
	v_add_nc_u64_e32 v[8:9], s[58:59], v[8:9]
	global_load_u16 v8, v[8:9], off
	global_load_u16 v9, v[10:11], off
	s_wait_loadcnt 0x1
	v_add_f16_e32 v3, v3, v8
	s_wait_loadcnt 0x0
	s_delay_alu instid0(VALU_DEP_1)
	v_add_f16_e32 v3, v9, v3
	global_store_b16 v[10:11], v3, off
	s_wait_xcnt 0x0
	s_and_not1_b32 exec_lo, exec_lo, s33
	s_cbranch_execz .LBB19_53
.LBB19_4:                               ; =>This Inner Loop Header: Depth=1
	v_dual_ashrrev_i32 v12, 31, v1 :: v_dual_bitop2_b32 v3, s27, v1 bitop3:0x54
                                        ; implicit-def: $vgpr8_vgpr9
	s_mov_b32 s0, exec_lo
	s_delay_alu instid0(VALU_DEP_1)
	v_cmpx_ne_u64_e32 0, v[2:3]
	s_xor_b32 s1, exec_lo, s0
	s_cbranch_execz .LBB19_6
; %bb.5:                                ;   in Loop: Header=BB19_4 Depth=1
	s_mov_b32 s67, s66
	v_dual_mov_b32 v13, v12 :: v_dual_mov_b32 v11, v2
	s_add_nc_u64 s[2:3], s[26:27], s[66:67]
	v_mov_b32_e32 v17, v2
	s_xor_b64 s[2:3], s[2:3], s[66:67]
	s_delay_alu instid0(VALU_DEP_2) | instskip(SKIP_4) | instid1(SALU_CYCLE_1)
	v_add_nc_u64_e32 v[8:9], v[0:1], v[12:13]
	s_cvt_f32_u32 s0, s2
	s_cvt_f32_u32 s4, s3
	s_sub_nc_u64 s[68:69], 0, s[2:3]
	v_mov_b32_e32 v21, v2
	s_fmamk_f32 s0, s4, 0x4f800000, s0
	s_delay_alu instid0(VALU_DEP_2) | instskip(SKIP_1) | instid1(SALU_CYCLE_1)
	v_xor_b32_e32 v10, v8, v12
	v_xor_b32_e32 v16, v9, v12
	v_s_rcp_f32 s0, s0
	s_delay_alu instid0(TRANS32_DEP_1) | instskip(NEXT) | instid1(SALU_CYCLE_3)
	s_mul_f32 s0, s0, 0x5f7ffffc
	s_mul_f32 s4, s0, 0x2f800000
	s_delay_alu instid0(SALU_CYCLE_3) | instskip(NEXT) | instid1(SALU_CYCLE_3)
	s_trunc_f32 s4, s4
	s_fmamk_f32 s0, s4, 0xcf800000, s0
	s_cvt_u32_f32 s5, s4
	s_delay_alu instid0(SALU_CYCLE_2) | instskip(NEXT) | instid1(SALU_CYCLE_3)
	s_cvt_u32_f32 s4, s0
	s_mul_u64 s[70:71], s[68:69], s[4:5]
	s_delay_alu instid0(SALU_CYCLE_1)
	s_mul_hi_u32 s73, s4, s71
	s_mul_i32 s72, s4, s71
	s_mul_hi_u32 s22, s4, s70
	s_mul_i32 s67, s5, s70
	s_add_nc_u64 s[72:73], s[22:23], s[72:73]
	s_mul_hi_u32 s0, s5, s70
	s_mul_hi_u32 s74, s5, s71
	s_add_co_u32 s22, s72, s67
	s_add_co_ci_u32 s22, s73, s0
	s_mul_i32 s70, s5, s71
	s_add_co_ci_u32 s71, s74, 0
	s_delay_alu instid0(SALU_CYCLE_1) | instskip(NEXT) | instid1(SALU_CYCLE_1)
	s_add_nc_u64 s[70:71], s[22:23], s[70:71]
	s_add_co_u32 s4, s4, s70
	s_cselect_b32 s0, -1, 0
	s_delay_alu instid0(SALU_CYCLE_1) | instskip(SKIP_1) | instid1(SALU_CYCLE_1)
	s_cmp_lg_u32 s0, 0
	s_add_co_ci_u32 s5, s5, s71
	s_mul_u64 s[68:69], s[68:69], s[4:5]
	s_delay_alu instid0(SALU_CYCLE_1)
	s_mul_hi_u32 s71, s4, s69
	s_mul_i32 s70, s4, s69
	s_mul_hi_u32 s22, s4, s68
	s_mul_i32 s67, s5, s68
	s_add_nc_u64 s[70:71], s[22:23], s[70:71]
	s_mul_hi_u32 s0, s5, s68
	s_mul_hi_u32 s72, s5, s69
	s_add_co_u32 s22, s70, s67
	s_add_co_ci_u32 s22, s71, s0
	s_mul_i32 s68, s5, s69
	s_add_co_ci_u32 s69, s72, 0
	s_delay_alu instid0(SALU_CYCLE_1) | instskip(NEXT) | instid1(SALU_CYCLE_1)
	s_add_nc_u64 s[68:69], s[22:23], s[68:69]
	s_add_co_u32 s0, s4, s68
	s_cselect_b32 s4, -1, 0
	v_nop
	v_mul_hi_u32 v20, v10, s0
	s_cmp_lg_u32 s4, 0
	s_add_co_ci_u32 s22, s5, s69
	s_and_b64 s[4:5], s[0:1], s[60:61]
	v_mul_u64_e32 v[14:15], s[22:23], v[10:11]
	v_mul_u64_e32 v[8:9], s[4:5], v[16:17]
	;; [unrolled: 1-line block ×3, first 2 shown]
	s_delay_alu instid0(VALU_DEP_3) | instskip(NEXT) | instid1(VALU_DEP_1)
	v_add_nc_u64_e32 v[14:15], v[20:21], v[14:15]
	v_add_co_u32 v3, vcc_lo, v14, v8
	s_delay_alu instid0(VALU_DEP_2) | instskip(NEXT) | instid1(VALU_DEP_4)
	v_add_co_ci_u32_e32 v20, vcc_lo, v15, v9, vcc_lo
	v_add_co_ci_u32_e32 v19, vcc_lo, 0, v19, vcc_lo
	s_delay_alu instid0(VALU_DEP_1) | instskip(NEXT) | instid1(VALU_DEP_1)
	v_add_nc_u64_e32 v[8:9], v[20:21], v[18:19]
	v_mul_u64_e32 v[14:15], s[2:3], v[8:9]
	s_delay_alu instid0(VALU_DEP_1) | instskip(NEXT) | instid1(VALU_DEP_2)
	v_sub_nc_u32_e32 v3, v16, v15
	v_sub_co_u32 v10, vcc_lo, v10, v14
	s_delay_alu instid0(VALU_DEP_1) | instskip(NEXT) | instid1(VALU_DEP_3)
	v_sub_co_ci_u32_e64 v13, null, v16, v15, vcc_lo
	v_subrev_co_ci_u32_e64 v3, null, s3, v3, vcc_lo
	s_delay_alu instid0(VALU_DEP_3) | instskip(NEXT) | instid1(VALU_DEP_1)
	v_sub_co_u32 v11, s0, v10, s2
	v_subrev_co_ci_u32_e64 v3, null, 0, v3, s0
	s_delay_alu instid0(VALU_DEP_2) | instskip(SKIP_1) | instid1(VALU_DEP_3)
	v_cmp_le_u32_e32 vcc_lo, s2, v11
	v_cndmask_b32_e64 v11, 0, -1, vcc_lo
	v_cmp_le_u32_e32 vcc_lo, s3, v3
	v_cndmask_b32_e64 v14, 0, -1, vcc_lo
	;; [unrolled: 2-line block ×4, first 2 shown]
	v_cmp_eq_u32_e32 vcc_lo, s3, v3
	v_cndmask_b32_e32 v3, v14, v11, vcc_lo
	v_cmp_eq_u32_e32 vcc_lo, s3, v13
	v_add_nc_u64_e32 v[10:11], 2, v[8:9]
	v_add_nc_u64_e32 v[14:15], 1, v[8:9]
	v_cndmask_b32_e32 v13, v17, v16, vcc_lo
	v_cmp_ne_u32_e32 vcc_lo, 0, v3
	s_delay_alu instid0(VALU_DEP_2) | instskip(NEXT) | instid1(VALU_DEP_4)
	v_cmp_ne_u32_e64 s0, 0, v13
	v_dual_cndmask_b32 v3, v15, v11, vcc_lo :: v_dual_cndmask_b32 v11, v14, v10, vcc_lo
	s_delay_alu instid0(VALU_DEP_1) | instskip(NEXT) | instid1(VALU_DEP_1)
	v_dual_cndmask_b32 v3, v9, v3, s0 :: v_dual_bitop2_b32 v10, s66, v12 bitop3:0x14
	v_dual_cndmask_b32 v8, v8, v11, s0 :: v_dual_mov_b32 v11, v10
	s_delay_alu instid0(VALU_DEP_2) | instskip(NEXT) | instid1(VALU_DEP_2)
	v_xor_b32_e32 v9, v3, v10
	v_xor_b32_e32 v8, v8, v10
	s_delay_alu instid0(VALU_DEP_1)
	v_sub_nc_u64_e32 v[8:9], v[8:9], v[10:11]
.LBB19_6:                               ;   in Loop: Header=BB19_4 Depth=1
	s_and_not1_saveexec_b32 s0, s1
	s_cbranch_execz .LBB19_8
; %bb.7:                                ;   in Loop: Header=BB19_4 Depth=1
	s_sub_co_i32 s1, 0, s26
	s_delay_alu instid0(SALU_CYCLE_1) | instskip(NEXT) | instid1(VALU_DEP_1)
	v_mul_lo_u32 v3, s1, v28
	v_mul_hi_u32 v3, v28, v3
	s_delay_alu instid0(VALU_DEP_1) | instskip(NEXT) | instid1(VALU_DEP_1)
	v_add_nc_u32_e32 v3, v28, v3
	v_mul_hi_u32 v3, v0, v3
	s_delay_alu instid0(VALU_DEP_1) | instskip(NEXT) | instid1(VALU_DEP_1)
	v_mul_lo_u32 v8, v3, s26
	v_dual_add_nc_u32 v9, 1, v3 :: v_dual_sub_nc_u32 v8, v0, v8
	s_delay_alu instid0(VALU_DEP_1) | instskip(SKIP_1) | instid1(VALU_DEP_2)
	v_subrev_nc_u32_e32 v10, s26, v8
	v_cmp_le_u32_e32 vcc_lo, s26, v8
	v_dual_cndmask_b32 v8, v8, v10 :: v_dual_cndmask_b32 v3, v3, v9
	s_delay_alu instid0(VALU_DEP_1) | instskip(NEXT) | instid1(VALU_DEP_2)
	v_cmp_le_u32_e32 vcc_lo, s26, v8
	v_add_nc_u32_e32 v9, 1, v3
	s_delay_alu instid0(VALU_DEP_1)
	v_dual_cndmask_b32 v8, v3, v9 :: v_dual_mov_b32 v9, v2
.LBB19_8:                               ;   in Loop: Header=BB19_4 Depth=1
	s_or_b32 exec_lo, exec_lo, s0
	v_or_b32_e32 v3, s19, v1
                                        ; implicit-def: $vgpr10_vgpr11
	s_mov_b32 s0, exec_lo
	s_delay_alu instid0(VALU_DEP_1)
	v_cmpx_ne_u64_e32 0, v[2:3]
	s_xor_b32 s1, exec_lo, s0
	s_cbranch_execz .LBB19_10
; %bb.9:                                ;   in Loop: Header=BB19_4 Depth=1
	s_ashr_i32 s2, s19, 31
	v_dual_mov_b32 v13, v12 :: v_dual_mov_b32 v15, v2
	s_mov_b32 s3, s2
	v_mov_b32_e32 v23, v2
	s_add_nc_u64 s[4:5], s[18:19], s[2:3]
	s_delay_alu instid0(VALU_DEP_2)
	v_add_nc_u64_e32 v[10:11], v[0:1], v[12:13]
	s_xor_b64 s[4:5], s[4:5], s[2:3]
	v_mov_b32_e32 v19, v2
	s_cvt_f32_u32 s0, s4
	s_cvt_f32_u32 s3, s5
	s_sub_nc_u64 s[70:71], 0, s[4:5]
	s_delay_alu instid0(VALU_DEP_2) | instskip(NEXT) | instid1(SALU_CYCLE_1)
	v_xor_b32_e32 v14, v10, v12
	s_fmamk_f32 s0, s3, 0x4f800000, s0
	v_xor_b32_e32 v18, v11, v12
	v_xor_b32_e32 v12, s2, v12
	s_delay_alu instid0(SALU_CYCLE_1) | instskip(NEXT) | instid1(TRANS32_DEP_1)
	v_s_rcp_f32 s0, s0
	s_mul_f32 s0, s0, 0x5f7ffffc
	s_delay_alu instid0(SALU_CYCLE_3) | instskip(NEXT) | instid1(SALU_CYCLE_3)
	s_mul_f32 s3, s0, 0x2f800000
	s_trunc_f32 s3, s3
	s_delay_alu instid0(SALU_CYCLE_3) | instskip(SKIP_1) | instid1(SALU_CYCLE_2)
	s_fmamk_f32 s0, s3, 0xcf800000, s0
	s_cvt_u32_f32 s69, s3
	s_cvt_u32_f32 s68, s0
	s_delay_alu instid0(SALU_CYCLE_3) | instskip(NEXT) | instid1(SALU_CYCLE_1)
	s_mul_u64 s[72:73], s[70:71], s[68:69]
	s_mul_hi_u32 s75, s68, s73
	s_mul_i32 s74, s68, s73
	s_mul_hi_u32 s22, s68, s72
	s_mul_i32 s3, s69, s72
	s_add_nc_u64 s[74:75], s[22:23], s[74:75]
	s_mul_hi_u32 s0, s69, s72
	s_mul_hi_u32 s67, s69, s73
	s_add_co_u32 s3, s74, s3
	s_add_co_ci_u32 s22, s75, s0
	s_mul_i32 s72, s69, s73
	s_add_co_ci_u32 s73, s67, 0
	s_delay_alu instid0(SALU_CYCLE_1) | instskip(NEXT) | instid1(SALU_CYCLE_1)
	s_add_nc_u64 s[72:73], s[22:23], s[72:73]
	s_add_co_u32 s68, s68, s72
	s_cselect_b32 s0, -1, 0
	s_delay_alu instid0(SALU_CYCLE_1) | instskip(SKIP_1) | instid1(SALU_CYCLE_1)
	s_cmp_lg_u32 s0, 0
	s_add_co_ci_u32 s69, s69, s73
	s_mul_u64 s[70:71], s[70:71], s[68:69]
	s_delay_alu instid0(SALU_CYCLE_1)
	s_mul_hi_u32 s73, s68, s71
	s_mul_i32 s72, s68, s71
	s_mul_hi_u32 s22, s68, s70
	s_mul_i32 s3, s69, s70
	s_add_nc_u64 s[72:73], s[22:23], s[72:73]
	s_mul_hi_u32 s0, s69, s70
	s_mul_hi_u32 s67, s69, s71
	s_add_co_u32 s3, s72, s3
	s_add_co_ci_u32 s22, s73, s0
	s_mul_i32 s70, s69, s71
	s_add_co_ci_u32 s71, s67, 0
	s_delay_alu instid0(SALU_CYCLE_1) | instskip(NEXT) | instid1(SALU_CYCLE_1)
	s_add_nc_u64 s[70:71], s[22:23], s[70:71]
	s_add_co_u32 s0, s68, s70
	s_cselect_b32 s3, -1, 0
	v_nop
	v_mul_hi_u32 v22, v14, s0
	s_cmp_lg_u32 s3, 0
	s_add_co_ci_u32 s22, s69, s71
	s_and_b64 s[68:69], s[0:1], s[60:61]
	v_mul_u64_e32 v[16:17], s[22:23], v[14:15]
	v_mul_u64_e32 v[10:11], s[68:69], v[18:19]
	;; [unrolled: 1-line block ×3, first 2 shown]
	s_delay_alu instid0(VALU_DEP_3) | instskip(NEXT) | instid1(VALU_DEP_1)
	v_add_nc_u64_e32 v[16:17], v[22:23], v[16:17]
	v_add_co_u32 v3, vcc_lo, v16, v10
	s_delay_alu instid0(VALU_DEP_2) | instskip(NEXT) | instid1(VALU_DEP_4)
	v_add_co_ci_u32_e32 v22, vcc_lo, v17, v11, vcc_lo
	v_add_co_ci_u32_e32 v21, vcc_lo, 0, v21, vcc_lo
	s_delay_alu instid0(VALU_DEP_1) | instskip(NEXT) | instid1(VALU_DEP_1)
	v_add_nc_u64_e32 v[10:11], v[22:23], v[20:21]
	v_mul_u64_e32 v[16:17], s[4:5], v[10:11]
	s_delay_alu instid0(VALU_DEP_1) | instskip(NEXT) | instid1(VALU_DEP_2)
	v_sub_nc_u32_e32 v3, v18, v17
	v_sub_co_u32 v13, vcc_lo, v14, v16
	s_delay_alu instid0(VALU_DEP_1) | instskip(NEXT) | instid1(VALU_DEP_3)
	v_sub_co_ci_u32_e64 v18, null, v18, v17, vcc_lo
	v_subrev_co_ci_u32_e64 v3, null, s5, v3, vcc_lo
	s_delay_alu instid0(VALU_DEP_3) | instskip(SKIP_1) | instid1(VALU_DEP_3)
	v_sub_co_u32 v14, s0, v13, s4
	v_add_nc_u64_e32 v[16:17], 1, v[10:11]
	v_subrev_co_ci_u32_e64 v3, null, 0, v3, s0
	s_delay_alu instid0(VALU_DEP_3) | instskip(SKIP_1) | instid1(VALU_DEP_3)
	v_cmp_le_u32_e32 vcc_lo, s4, v14
	v_cndmask_b32_e64 v14, 0, -1, vcc_lo
	v_cmp_le_u32_e32 vcc_lo, s5, v3
	v_cndmask_b32_e64 v15, 0, -1, vcc_lo
	;; [unrolled: 2-line block ×4, first 2 shown]
	v_cmp_eq_u32_e32 vcc_lo, s5, v3
	v_cndmask_b32_e32 v3, v15, v14, vcc_lo
	v_cmp_eq_u32_e32 vcc_lo, s5, v18
	v_add_nc_u64_e32 v[14:15], 2, v[10:11]
	v_cndmask_b32_e32 v13, v19, v13, vcc_lo
	s_delay_alu instid0(VALU_DEP_4) | instskip(NEXT) | instid1(VALU_DEP_2)
	v_cmp_ne_u32_e32 vcc_lo, 0, v3
	v_cmp_ne_u32_e64 s0, 0, v13
	s_delay_alu instid0(VALU_DEP_4) | instskip(NEXT) | instid1(VALU_DEP_1)
	v_dual_cndmask_b32 v3, v17, v15, vcc_lo :: v_dual_cndmask_b32 v13, v16, v14, vcc_lo
	v_dual_cndmask_b32 v3, v11, v3, s0 :: v_dual_cndmask_b32 v10, v10, v13, s0
	s_delay_alu instid0(VALU_DEP_1) | instskip(NEXT) | instid1(VALU_DEP_2)
	v_dual_mov_b32 v13, v12 :: v_dual_bitop2_b32 v11, v3, v12 bitop3:0x14
	v_xor_b32_e32 v10, v10, v12
	s_delay_alu instid0(VALU_DEP_1)
	v_sub_nc_u64_e32 v[10:11], v[10:11], v[12:13]
.LBB19_10:                              ;   in Loop: Header=BB19_4 Depth=1
	s_and_not1_saveexec_b32 s0, s1
	s_cbranch_execz .LBB19_12
; %bb.11:                               ;   in Loop: Header=BB19_4 Depth=1
	v_cvt_f32_u32_e32 v3, s18
	s_sub_co_i32 s1, 0, s18
	s_delay_alu instid0(VALU_DEP_1) | instskip(SKIP_1) | instid1(TRANS32_DEP_1)
	v_rcp_iflag_f32_e32 v3, v3
	v_nop
	v_mul_f32_e32 v3, 0x4f7ffffe, v3
	s_delay_alu instid0(VALU_DEP_1) | instskip(NEXT) | instid1(VALU_DEP_1)
	v_cvt_u32_f32_e32 v3, v3
	v_mul_lo_u32 v10, s1, v3
	s_delay_alu instid0(VALU_DEP_1) | instskip(NEXT) | instid1(VALU_DEP_1)
	v_mul_hi_u32 v10, v3, v10
	v_add_nc_u32_e32 v3, v3, v10
	s_delay_alu instid0(VALU_DEP_1) | instskip(NEXT) | instid1(VALU_DEP_1)
	v_mul_hi_u32 v3, v0, v3
	v_mul_lo_u32 v10, v3, s18
	s_delay_alu instid0(VALU_DEP_1) | instskip(NEXT) | instid1(VALU_DEP_1)
	v_dual_add_nc_u32 v11, 1, v3 :: v_dual_sub_nc_u32 v10, v0, v10
	v_subrev_nc_u32_e32 v12, s18, v10
	v_cmp_le_u32_e32 vcc_lo, s18, v10
	s_delay_alu instid0(VALU_DEP_2) | instskip(NEXT) | instid1(VALU_DEP_1)
	v_dual_cndmask_b32 v10, v10, v12 :: v_dual_cndmask_b32 v3, v3, v11
	v_cmp_le_u32_e32 vcc_lo, s18, v10
	s_delay_alu instid0(VALU_DEP_2) | instskip(NEXT) | instid1(VALU_DEP_1)
	v_add_nc_u32_e32 v11, 1, v3
	v_dual_cndmask_b32 v10, v3, v11 :: v_dual_mov_b32 v11, v2
.LBB19_12:                              ;   in Loop: Header=BB19_4 Depth=1
	s_or_b32 exec_lo, exec_lo, s0
	s_delay_alu instid0(VALU_DEP_1) | instskip(SKIP_1) | instid1(VALU_DEP_1)
	v_or_b32_e32 v3, s17, v11
                                        ; implicit-def: $vgpr12_vgpr13
	s_mov_b32 s0, exec_lo
	v_cmpx_ne_u64_e32 0, v[2:3]
	s_xor_b32 s1, exec_lo, s0
	s_cbranch_execz .LBB19_14
; %bb.13:                               ;   in Loop: Header=BB19_4 Depth=1
	s_ashr_i32 s2, s17, 31
	v_dual_mov_b32 v17, v2 :: v_dual_ashrrev_i32 v12, 31, v11
	s_mov_b32 s3, s2
	s_delay_alu instid0(SALU_CYCLE_1) | instskip(NEXT) | instid1(VALU_DEP_1)
	s_add_nc_u64 s[4:5], s[16:17], s[2:3]
	v_mov_b32_e32 v13, v12
	s_xor_b64 s[2:3], s[4:5], s[2:3]
	s_delay_alu instid0(SALU_CYCLE_1)
	s_cvt_f32_u32 s0, s2
	s_cvt_f32_u32 s4, s3
	s_sub_nc_u64 s[68:69], 0, s[2:3]
	v_add_nc_u64_e32 v[14:15], v[10:11], v[12:13]
	v_mov_b32_e32 v21, v2
	s_fmamk_f32 s0, s4, 0x4f800000, s0
	s_delay_alu instid0(SALU_CYCLE_3) | instskip(NEXT) | instid1(VALU_DEP_2)
	v_s_rcp_f32 s0, s0
	v_xor_b32_e32 v16, v14, v12
	s_delay_alu instid0(VALU_DEP_3) | instskip(NEXT) | instid1(TRANS32_DEP_1)
	v_dual_mov_b32 v25, v2 :: v_dual_bitop2_b32 v20, v15, v12 bitop3:0x14
	s_mul_f32 s0, s0, 0x5f7ffffc
	s_delay_alu instid0(SALU_CYCLE_3) | instskip(NEXT) | instid1(SALU_CYCLE_3)
	s_mul_f32 s4, s0, 0x2f800000
	s_trunc_f32 s4, s4
	s_delay_alu instid0(SALU_CYCLE_3) | instskip(SKIP_1) | instid1(SALU_CYCLE_2)
	s_fmamk_f32 s0, s4, 0xcf800000, s0
	s_cvt_u32_f32 s5, s4
	s_cvt_u32_f32 s4, s0
	s_delay_alu instid0(SALU_CYCLE_3) | instskip(NEXT) | instid1(SALU_CYCLE_1)
	s_mul_u64 s[70:71], s[68:69], s[4:5]
	s_mul_hi_u32 s73, s4, s71
	s_mul_i32 s72, s4, s71
	s_mul_hi_u32 s22, s4, s70
	s_mul_i32 s67, s5, s70
	s_add_nc_u64 s[72:73], s[22:23], s[72:73]
	s_mul_hi_u32 s0, s5, s70
	s_mul_hi_u32 s74, s5, s71
	s_add_co_u32 s22, s72, s67
	s_add_co_ci_u32 s22, s73, s0
	s_mul_i32 s70, s5, s71
	s_add_co_ci_u32 s71, s74, 0
	s_delay_alu instid0(SALU_CYCLE_1) | instskip(NEXT) | instid1(SALU_CYCLE_1)
	s_add_nc_u64 s[70:71], s[22:23], s[70:71]
	s_add_co_u32 s4, s4, s70
	s_cselect_b32 s0, -1, 0
	s_delay_alu instid0(SALU_CYCLE_1) | instskip(SKIP_1) | instid1(SALU_CYCLE_1)
	s_cmp_lg_u32 s0, 0
	s_add_co_ci_u32 s5, s5, s71
	s_mul_u64 s[68:69], s[68:69], s[4:5]
	s_delay_alu instid0(SALU_CYCLE_1)
	s_mul_hi_u32 s71, s4, s69
	s_mul_i32 s70, s4, s69
	s_mul_hi_u32 s22, s4, s68
	s_mul_i32 s67, s5, s68
	s_add_nc_u64 s[70:71], s[22:23], s[70:71]
	s_mul_hi_u32 s0, s5, s68
	s_mul_hi_u32 s72, s5, s69
	s_add_co_u32 s22, s70, s67
	s_add_co_ci_u32 s22, s71, s0
	s_mul_i32 s68, s5, s69
	s_add_co_ci_u32 s69, s72, 0
	s_delay_alu instid0(SALU_CYCLE_1) | instskip(NEXT) | instid1(SALU_CYCLE_1)
	s_add_nc_u64 s[68:69], s[22:23], s[68:69]
	s_add_co_u32 s0, s4, s68
	s_cselect_b32 s4, -1, 0
	v_mul_hi_u32 v24, v16, s0
	s_cmp_lg_u32 s4, 0
	s_add_co_ci_u32 s22, s5, s69
	s_and_b64 s[4:5], s[0:1], s[60:61]
	v_mul_u64_e32 v[18:19], s[22:23], v[16:17]
	v_mul_u64_e32 v[14:15], s[4:5], v[20:21]
	;; [unrolled: 1-line block ×3, first 2 shown]
	s_delay_alu instid0(VALU_DEP_3) | instskip(NEXT) | instid1(VALU_DEP_1)
	v_add_nc_u64_e32 v[18:19], v[24:25], v[18:19]
	v_add_co_u32 v3, vcc_lo, v18, v14
	s_delay_alu instid0(VALU_DEP_2) | instskip(NEXT) | instid1(VALU_DEP_4)
	v_add_co_ci_u32_e32 v24, vcc_lo, v19, v15, vcc_lo
	v_add_co_ci_u32_e32 v23, vcc_lo, 0, v23, vcc_lo
	s_delay_alu instid0(VALU_DEP_1) | instskip(NEXT) | instid1(VALU_DEP_1)
	v_add_nc_u64_e32 v[14:15], v[24:25], v[22:23]
	v_mul_u64_e32 v[14:15], s[2:3], v[14:15]
	s_delay_alu instid0(VALU_DEP_1) | instskip(NEXT) | instid1(VALU_DEP_2)
	v_sub_nc_u32_e32 v3, v20, v15
	v_sub_co_u32 v14, vcc_lo, v16, v14
	s_delay_alu instid0(VALU_DEP_1) | instskip(NEXT) | instid1(VALU_DEP_3)
	v_sub_co_ci_u32_e64 v15, null, v20, v15, vcc_lo
	v_subrev_co_ci_u32_e64 v3, null, s3, v3, vcc_lo
	s_delay_alu instid0(VALU_DEP_3) | instskip(SKIP_1) | instid1(VALU_DEP_3)
	v_sub_co_u32 v16, vcc_lo, v14, s2
	v_cmp_le_u32_e64 s0, s2, v14
	v_subrev_co_ci_u32_e64 v17, null, 0, v3, vcc_lo
	v_subrev_co_ci_u32_e64 v3, null, s3, v3, vcc_lo
	s_delay_alu instid0(VALU_DEP_3) | instskip(SKIP_2) | instid1(VALU_DEP_2)
	v_cndmask_b32_e64 v18, 0, -1, s0
	v_cmp_le_u32_e64 s0, s2, v16
	v_cmp_le_u32_e32 vcc_lo, s3, v15
	v_cndmask_b32_e64 v19, 0, -1, s0
	v_cmp_le_u32_e64 s0, s3, v17
	v_cndmask_b32_e64 v21, 0, -1, vcc_lo
	v_cmp_eq_u32_e32 vcc_lo, s3, v17
	s_delay_alu instid0(VALU_DEP_3) | instskip(SKIP_1) | instid1(VALU_DEP_1)
	v_cndmask_b32_e64 v20, 0, -1, s0
	v_cmp_eq_u32_e64 s0, s3, v15
	v_dual_cndmask_b32 v19, v20, v19, vcc_lo :: v_dual_cndmask_b32 v18, v21, v18, s0
	v_sub_co_u32 v20, vcc_lo, v16, s2
	s_delay_alu instid0(VALU_DEP_1) | instskip(NEXT) | instid1(VALU_DEP_3)
	v_subrev_co_ci_u32_e64 v3, null, 0, v3, vcc_lo
	v_cmp_ne_u32_e32 vcc_lo, 0, v19
	s_delay_alu instid0(VALU_DEP_2) | instskip(SKIP_1) | instid1(VALU_DEP_2)
	v_dual_cndmask_b32 v3, v17, v3 :: v_dual_cndmask_b32 v16, v16, v20
	v_cmp_ne_u32_e32 vcc_lo, 0, v18
	v_dual_cndmask_b32 v3, v15, v3 :: v_dual_cndmask_b32 v14, v14, v16
	s_delay_alu instid0(VALU_DEP_1) | instskip(NEXT) | instid1(VALU_DEP_2)
	v_xor_b32_e32 v15, v3, v12
	v_xor_b32_e32 v14, v14, v12
	s_delay_alu instid0(VALU_DEP_1)
	v_sub_nc_u64_e32 v[12:13], v[14:15], v[12:13]
.LBB19_14:                              ;   in Loop: Header=BB19_4 Depth=1
	s_and_not1_saveexec_b32 s0, s1
	s_cbranch_execz .LBB19_16
; %bb.15:                               ;   in Loop: Header=BB19_4 Depth=1
	v_cvt_f32_u32_e32 v3, s16
	s_sub_co_i32 s1, 0, s16
	v_mov_b32_e32 v13, v2
	s_delay_alu instid0(VALU_DEP_2) | instskip(SKIP_1) | instid1(TRANS32_DEP_1)
	v_rcp_iflag_f32_e32 v3, v3
	v_nop
	v_mul_f32_e32 v3, 0x4f7ffffe, v3
	s_delay_alu instid0(VALU_DEP_1) | instskip(NEXT) | instid1(VALU_DEP_1)
	v_cvt_u32_f32_e32 v3, v3
	v_mul_lo_u32 v12, s1, v3
	s_delay_alu instid0(VALU_DEP_1) | instskip(NEXT) | instid1(VALU_DEP_1)
	v_mul_hi_u32 v12, v3, v12
	v_add_nc_u32_e32 v3, v3, v12
	s_delay_alu instid0(VALU_DEP_1) | instskip(NEXT) | instid1(VALU_DEP_1)
	v_mul_hi_u32 v3, v10, v3
	v_mul_lo_u32 v3, v3, s16
	s_delay_alu instid0(VALU_DEP_1) | instskip(NEXT) | instid1(VALU_DEP_1)
	v_sub_nc_u32_e32 v3, v10, v3
	v_subrev_nc_u32_e32 v12, s16, v3
	v_cmp_le_u32_e32 vcc_lo, s16, v3
	s_delay_alu instid0(VALU_DEP_2) | instskip(NEXT) | instid1(VALU_DEP_1)
	v_cndmask_b32_e32 v3, v3, v12, vcc_lo
	v_subrev_nc_u32_e32 v12, s16, v3
	v_cmp_le_u32_e32 vcc_lo, s16, v3
	s_delay_alu instid0(VALU_DEP_2)
	v_cndmask_b32_e32 v12, v3, v12, vcc_lo
.LBB19_16:                              ;   in Loop: Header=BB19_4 Depth=1
	s_or_b32 exec_lo, exec_lo, s0
	v_mad_nc_u64_u32 v[14:15], s64, v10, v[0:1]
                                        ; implicit-def: $vgpr16_vgpr17
	s_mov_b32 s0, exec_lo
	s_delay_alu instid0(VALU_DEP_1) | instskip(NEXT) | instid1(VALU_DEP_1)
	v_mad_u32 v3, s65, v10, v15
	v_mad_u32 v15, s64, v11, v3
	s_delay_alu instid0(VALU_DEP_1) | instskip(NEXT) | instid1(VALU_DEP_1)
	v_or_b32_e32 v3, s13, v15
	v_cmpx_ne_u64_e32 0, v[2:3]
	s_xor_b32 s1, exec_lo, s0
	s_cbranch_execz .LBB19_18
; %bb.17:                               ;   in Loop: Header=BB19_4 Depth=1
	s_ashr_i32 s2, s13, 31
	v_dual_mov_b32 v19, v2 :: v_dual_ashrrev_i32 v16, 31, v15
	s_mov_b32 s3, s2
	v_mov_b32_e32 v27, v2
	s_add_nc_u64 s[4:5], s[12:13], s[2:3]
	s_delay_alu instid0(VALU_DEP_2) | instskip(SKIP_1) | instid1(SALU_CYCLE_1)
	v_mov_b32_e32 v17, v16
	s_xor_b64 s[4:5], s[4:5], s[2:3]
	s_cvt_f32_u32 s0, s4
	s_cvt_f32_u32 s3, s5
	s_sub_nc_u64 s[70:71], 0, s[4:5]
	v_add_nc_u64_e32 v[14:15], v[14:15], v[16:17]
	v_mov_b32_e32 v23, v2
	s_fmamk_f32 s0, s3, 0x4f800000, s0
	s_delay_alu instid0(SALU_CYCLE_3) | instskip(NEXT) | instid1(VALU_DEP_2)
	v_s_rcp_f32 s0, s0
	v_xor_b32_e32 v18, v14, v16
	s_delay_alu instid0(VALU_DEP_3) | instskip(NEXT) | instid1(TRANS32_DEP_1)
	v_xor_b32_e32 v22, v15, v16
	s_mul_f32 s0, s0, 0x5f7ffffc
	s_delay_alu instid0(SALU_CYCLE_3) | instskip(NEXT) | instid1(SALU_CYCLE_3)
	s_mul_f32 s3, s0, 0x2f800000
	s_trunc_f32 s3, s3
	s_delay_alu instid0(SALU_CYCLE_3) | instskip(SKIP_1) | instid1(SALU_CYCLE_2)
	s_fmamk_f32 s0, s3, 0xcf800000, s0
	s_cvt_u32_f32 s69, s3
	s_cvt_u32_f32 s68, s0
	s_delay_alu instid0(SALU_CYCLE_3) | instskip(NEXT) | instid1(SALU_CYCLE_1)
	s_mul_u64 s[72:73], s[70:71], s[68:69]
	s_mul_hi_u32 s75, s68, s73
	s_mul_i32 s74, s68, s73
	s_mul_hi_u32 s22, s68, s72
	s_mul_i32 s3, s69, s72
	s_add_nc_u64 s[74:75], s[22:23], s[74:75]
	s_mul_hi_u32 s0, s69, s72
	s_mul_hi_u32 s67, s69, s73
	s_add_co_u32 s3, s74, s3
	s_add_co_ci_u32 s22, s75, s0
	s_mul_i32 s72, s69, s73
	s_add_co_ci_u32 s73, s67, 0
	s_delay_alu instid0(SALU_CYCLE_1) | instskip(NEXT) | instid1(SALU_CYCLE_1)
	s_add_nc_u64 s[72:73], s[22:23], s[72:73]
	s_add_co_u32 s68, s68, s72
	s_cselect_b32 s0, -1, 0
	s_delay_alu instid0(SALU_CYCLE_1) | instskip(SKIP_1) | instid1(SALU_CYCLE_1)
	s_cmp_lg_u32 s0, 0
	s_add_co_ci_u32 s69, s69, s73
	s_mul_u64 s[70:71], s[70:71], s[68:69]
	s_delay_alu instid0(SALU_CYCLE_1)
	s_mul_hi_u32 s73, s68, s71
	s_mul_i32 s72, s68, s71
	s_mul_hi_u32 s22, s68, s70
	s_mul_i32 s3, s69, s70
	s_add_nc_u64 s[72:73], s[22:23], s[72:73]
	s_mul_hi_u32 s0, s69, s70
	s_mul_hi_u32 s67, s69, s71
	s_add_co_u32 s3, s72, s3
	s_add_co_ci_u32 s22, s73, s0
	s_mul_i32 s70, s69, s71
	s_add_co_ci_u32 s71, s67, 0
	s_delay_alu instid0(SALU_CYCLE_1) | instskip(NEXT) | instid1(SALU_CYCLE_1)
	s_add_nc_u64 s[70:71], s[22:23], s[70:71]
	s_add_co_u32 s0, s68, s70
	s_cselect_b32 s3, -1, 0
	v_mul_hi_u32 v26, v18, s0
	s_cmp_lg_u32 s3, 0
	s_add_co_ci_u32 s22, s69, s71
	s_and_b64 s[68:69], s[0:1], s[60:61]
	v_mul_u64_e32 v[20:21], s[22:23], v[18:19]
	v_mul_u64_e32 v[14:15], s[68:69], v[22:23]
	;; [unrolled: 1-line block ×3, first 2 shown]
	s_delay_alu instid0(VALU_DEP_3) | instskip(NEXT) | instid1(VALU_DEP_1)
	v_add_nc_u64_e32 v[20:21], v[26:27], v[20:21]
	v_add_co_u32 v3, vcc_lo, v20, v14
	s_delay_alu instid0(VALU_DEP_2) | instskip(NEXT) | instid1(VALU_DEP_4)
	v_add_co_ci_u32_e32 v26, vcc_lo, v21, v15, vcc_lo
	v_add_co_ci_u32_e32 v25, vcc_lo, 0, v25, vcc_lo
	s_delay_alu instid0(VALU_DEP_1) | instskip(NEXT) | instid1(VALU_DEP_1)
	v_add_nc_u64_e32 v[14:15], v[26:27], v[24:25]
	v_mul_u64_e32 v[20:21], s[4:5], v[14:15]
	s_delay_alu instid0(VALU_DEP_1) | instskip(NEXT) | instid1(VALU_DEP_2)
	v_sub_nc_u32_e32 v3, v22, v21
	v_sub_co_u32 v17, vcc_lo, v18, v20
	s_delay_alu instid0(VALU_DEP_1) | instskip(NEXT) | instid1(VALU_DEP_3)
	v_sub_co_ci_u32_e64 v22, null, v22, v21, vcc_lo
	v_subrev_co_ci_u32_e64 v3, null, s5, v3, vcc_lo
	s_delay_alu instid0(VALU_DEP_3) | instskip(SKIP_1) | instid1(VALU_DEP_3)
	v_sub_co_u32 v18, s0, v17, s4
	v_add_nc_u64_e32 v[20:21], 1, v[14:15]
	v_subrev_co_ci_u32_e64 v3, null, 0, v3, s0
	s_delay_alu instid0(VALU_DEP_3) | instskip(SKIP_1) | instid1(VALU_DEP_3)
	v_cmp_le_u32_e32 vcc_lo, s4, v18
	v_cndmask_b32_e64 v18, 0, -1, vcc_lo
	v_cmp_le_u32_e32 vcc_lo, s5, v3
	v_cndmask_b32_e64 v19, 0, -1, vcc_lo
	;; [unrolled: 2-line block ×4, first 2 shown]
	v_cmp_eq_u32_e32 vcc_lo, s5, v3
	v_cndmask_b32_e32 v3, v19, v18, vcc_lo
	v_cmp_eq_u32_e32 vcc_lo, s5, v22
	v_add_nc_u64_e32 v[18:19], 2, v[14:15]
	v_cndmask_b32_e32 v17, v23, v17, vcc_lo
	s_delay_alu instid0(VALU_DEP_4) | instskip(NEXT) | instid1(VALU_DEP_3)
	v_cmp_ne_u32_e32 vcc_lo, 0, v3
	v_cndmask_b32_e32 v3, v21, v19, vcc_lo
	s_delay_alu instid0(VALU_DEP_3) | instskip(SKIP_1) | instid1(VALU_DEP_1)
	v_cmp_ne_u32_e64 s0, 0, v17
	v_dual_cndmask_b32 v17, v20, v18, vcc_lo :: v_dual_bitop2_b32 v16, s2, v16 bitop3:0x14
	v_dual_cndmask_b32 v3, v15, v3, s0 :: v_dual_cndmask_b32 v14, v14, v17, s0
	s_delay_alu instid0(VALU_DEP_1) | instskip(NEXT) | instid1(VALU_DEP_2)
	v_dual_mov_b32 v17, v16 :: v_dual_bitop2_b32 v15, v3, v16 bitop3:0x14
	v_xor_b32_e32 v14, v14, v16
	s_delay_alu instid0(VALU_DEP_1)
	v_sub_nc_u64_e32 v[16:17], v[14:15], v[16:17]
                                        ; implicit-def: $vgpr14_vgpr15
.LBB19_18:                              ;   in Loop: Header=BB19_4 Depth=1
	s_and_not1_saveexec_b32 s0, s1
	s_cbranch_execz .LBB19_20
; %bb.19:                               ;   in Loop: Header=BB19_4 Depth=1
	v_cvt_f32_u32_e32 v3, s12
	s_sub_co_i32 s1, 0, s12
	v_mov_b32_e32 v17, v2
	s_delay_alu instid0(VALU_DEP_2) | instskip(SKIP_1) | instid1(TRANS32_DEP_1)
	v_rcp_iflag_f32_e32 v3, v3
	v_nop
	v_mul_f32_e32 v3, 0x4f7ffffe, v3
	s_delay_alu instid0(VALU_DEP_1) | instskip(NEXT) | instid1(VALU_DEP_1)
	v_cvt_u32_f32_e32 v3, v3
	v_mul_lo_u32 v15, s1, v3
	s_delay_alu instid0(VALU_DEP_1) | instskip(NEXT) | instid1(VALU_DEP_1)
	v_mul_hi_u32 v15, v3, v15
	v_add_nc_u32_e32 v3, v3, v15
	s_delay_alu instid0(VALU_DEP_1) | instskip(NEXT) | instid1(VALU_DEP_1)
	v_mul_hi_u32 v3, v14, v3
	v_mul_lo_u32 v15, v3, s12
	s_delay_alu instid0(VALU_DEP_1) | instskip(SKIP_1) | instid1(VALU_DEP_2)
	v_sub_nc_u32_e32 v14, v14, v15
	v_add_nc_u32_e32 v15, 1, v3
	v_subrev_nc_u32_e32 v16, s12, v14
	v_cmp_le_u32_e32 vcc_lo, s12, v14
	s_delay_alu instid0(VALU_DEP_2) | instskip(NEXT) | instid1(VALU_DEP_1)
	v_dual_cndmask_b32 v14, v14, v16 :: v_dual_cndmask_b32 v3, v3, v15
	v_cmp_le_u32_e32 vcc_lo, s12, v14
	s_delay_alu instid0(VALU_DEP_2) | instskip(NEXT) | instid1(VALU_DEP_1)
	v_add_nc_u32_e32 v15, 1, v3
	v_cndmask_b32_e32 v16, v3, v15, vcc_lo
.LBB19_20:                              ;   in Loop: Header=BB19_4 Depth=1
	s_or_b32 exec_lo, exec_lo, s0
	v_mul_u64_e32 v[14:15], s[52:53], v[10:11]
	v_mul_u64_e32 v[20:21], s[18:19], v[10:11]
	s_delay_alu instid0(VALU_DEP_3)
	v_mul_u64_e32 v[24:25], s[12:13], v[16:17]
	v_cmp_lt_i64_e32 vcc_lo, 0, v[16:17]
	v_cmp_ge_i64_e64 s0, s[6:7], v[16:17]
	v_mov_b32_e32 v3, 0
	s_and_b32 s0, vcc_lo, s0
	v_sub_nc_u64_e32 v[14:15], v[14:15], v[16:17]
	v_sub_nc_u64_e32 v[20:21], v[0:1], v[20:21]
	s_delay_alu instid0(VALU_DEP_2) | instskip(NEXT) | instid1(VALU_DEP_2)
	v_mul_u64_e32 v[18:19], s[12:13], v[14:15]
	v_sub_nc_u64_e32 v[20:21], v[20:21], v[24:25]
	s_delay_alu instid0(VALU_DEP_2) | instskip(SKIP_1) | instid1(VALU_DEP_2)
	v_add_nc_u64_e32 v[22:23], v[0:1], v[18:19]
	v_cmp_eq_u64_e64 s1, v[18:19], v[4:5]
	v_cmp_lt_i64_e64 s2, s[30:31], v[22:23]
	v_cmp_gt_i64_e64 s3, s[24:25], v[22:23]
	v_cmp_le_i64_e64 s4, s[40:41], v[22:23]
	v_add_nc_u64_e32 v[22:23], s[30:31], v[0:1]
	s_or_b32 s2, s1, s2
	s_and_b32 s1, s3, s4
	s_and_saveexec_b32 s3, s0
	s_cbranch_execz .LBB19_28
; %bb.21:                               ;   in Loop: Header=BB19_4 Depth=1
	v_sub_nc_u64_e32 v[24:25], s[6:7], v[16:17]
	v_mov_b32_e32 v3, 0
	s_mov_b32 s0, exec_lo
	s_delay_alu instid0(VALU_DEP_2) | instskip(NEXT) | instid1(VALU_DEP_1)
	v_mul_u64_e32 v[24:25], s[36:37], v[24:25]
	v_add_nc_u64_e32 v[26:27], v[18:19], v[24:25]
	s_delay_alu instid0(VALU_DEP_1) | instskip(NEXT) | instid1(VALU_DEP_1)
	v_add_nc_u64_e32 v[26:27], v[22:23], v[26:27]
	v_cmpx_gt_i64_e64 s[42:43], v[26:27]
	s_cbranch_execz .LBB19_23
; %bb.22:                               ;   in Loop: Header=BB19_4 Depth=1
	v_mul_u64_e32 v[30:31], s[46:47], v[8:9]
	v_mul_u64_e32 v[32:33], s[42:43], v[12:13]
	s_delay_alu instid0(VALU_DEP_2) | instskip(NEXT) | instid1(VALU_DEP_1)
	v_lshl_add_u64 v[30:31], v[30:31], 1, s[10:11]
	v_lshl_add_u64 v[30:31], v[32:33], 1, v[30:31]
	s_delay_alu instid0(VALU_DEP_1)
	v_lshl_add_u64 v[26:27], v[26:27], 1, v[30:31]
	global_load_u16 v3, v[26:27], off
	s_wait_loadcnt 0x0
	v_add_f16_e32 v3, 0, v3
.LBB19_23:                              ;   in Loop: Header=BB19_4 Depth=1
	s_wait_xcnt 0x0
	s_or_b32 exec_lo, exec_lo, s0
	s_mov_b32 s5, 0
                                        ; implicit-def: $vgpr26_vgpr27
	s_and_saveexec_b32 s0, s2
	s_delay_alu instid0(SALU_CYCLE_1)
	s_xor_b32 s4, exec_lo, s0
	s_cbranch_execnz .LBB19_45
; %bb.24:                               ;   in Loop: Header=BB19_4 Depth=1
	s_and_not1_saveexec_b32 s4, s4
	s_cbranch_execnz .LBB19_48
.LBB19_25:                              ;   in Loop: Header=BB19_4 Depth=1
	s_or_b32 exec_lo, exec_lo, s4
	s_and_saveexec_b32 s0, s5
	s_cbranch_execz .LBB19_27
.LBB19_26:                              ;   in Loop: Header=BB19_4 Depth=1
	v_mul_u64_e32 v[24:25], s[46:47], v[8:9]
	v_mul_u64_e32 v[30:31], s[42:43], v[12:13]
	s_delay_alu instid0(VALU_DEP_2) | instskip(NEXT) | instid1(VALU_DEP_1)
	v_lshl_add_u64 v[24:25], v[24:25], 1, s[10:11]
	v_lshl_add_u64 v[24:25], v[30:31], 1, v[24:25]
	s_delay_alu instid0(VALU_DEP_1)
	v_lshl_add_u64 v[24:25], v[26:27], 1, v[24:25]
	global_load_u16 v24, v[24:25], off
	s_wait_loadcnt 0x0
	v_add_f16_e32 v3, v3, v24
.LBB19_27:                              ;   in Loop: Header=BB19_4 Depth=1
	s_wait_xcnt 0x0
	s_or_b32 exec_lo, exec_lo, s0
.LBB19_28:                              ;   in Loop: Header=BB19_4 Depth=1
	s_delay_alu instid0(SALU_CYCLE_1) | instskip(SKIP_3) | instid1(SALU_CYCLE_1)
	s_or_b32 exec_lo, exec_lo, s3
	v_cmp_gt_i64_e32 vcc_lo, s[28:29], v[16:17]
	v_cmp_le_i64_e64 s0, s[38:39], v[16:17]
	s_and_b32 s0, vcc_lo, s0
	s_and_saveexec_b32 s3, s0
	s_cbranch_execz .LBB19_36
; %bb.29:                               ;   in Loop: Header=BB19_4 Depth=1
	v_sub_nc_u64_e32 v[24:25], s[48:49], v[16:17]
	s_delay_alu instid0(VALU_DEP_1) | instskip(NEXT) | instid1(VALU_DEP_1)
	v_mul_u64_e32 v[24:25], s[36:37], v[24:25]
	v_add_nc_u64_e32 v[26:27], v[24:25], v[18:19]
	s_delay_alu instid0(VALU_DEP_1) | instskip(NEXT) | instid1(VALU_DEP_1)
	v_add_nc_u64_e32 v[22:23], v[22:23], v[26:27]
	v_cmp_lt_i64_e32 vcc_lo, -1, v[22:23]
	v_cmp_gt_i64_e64 s0, s[42:43], v[22:23]
	s_and_b32 s4, vcc_lo, s0
	s_delay_alu instid0(SALU_CYCLE_1)
	s_and_saveexec_b32 s0, s4
	s_cbranch_execz .LBB19_31
; %bb.30:                               ;   in Loop: Header=BB19_4 Depth=1
	v_mul_u64_e32 v[26:27], s[46:47], v[8:9]
	v_mul_u64_e32 v[30:31], s[42:43], v[12:13]
	s_delay_alu instid0(VALU_DEP_2) | instskip(NEXT) | instid1(VALU_DEP_1)
	v_lshl_add_u64 v[26:27], v[26:27], 1, s[10:11]
	v_lshl_add_u64 v[26:27], v[30:31], 1, v[26:27]
	s_delay_alu instid0(VALU_DEP_1)
	v_lshl_add_u64 v[22:23], v[22:23], 1, v[26:27]
	global_load_u16 v22, v[22:23], off
	s_wait_loadcnt 0x0
	v_add_f16_e32 v3, v3, v22
.LBB19_31:                              ;   in Loop: Header=BB19_4 Depth=1
	s_wait_xcnt 0x0
	s_or_b32 exec_lo, exec_lo, s0
	s_mov_b32 s5, 0
                                        ; implicit-def: $vgpr22_vgpr23
	s_and_saveexec_b32 s0, s2
	s_delay_alu instid0(SALU_CYCLE_1)
	s_xor_b32 s4, exec_lo, s0
	s_cbranch_execnz .LBB19_49
; %bb.32:                               ;   in Loop: Header=BB19_4 Depth=1
	s_and_not1_saveexec_b32 s4, s4
	s_cbranch_execnz .LBB19_52
.LBB19_33:                              ;   in Loop: Header=BB19_4 Depth=1
	s_or_b32 exec_lo, exec_lo, s4
	s_and_saveexec_b32 s0, s5
	s_cbranch_execz .LBB19_35
.LBB19_34:                              ;   in Loop: Header=BB19_4 Depth=1
	v_mul_u64_e32 v[20:21], s[46:47], v[8:9]
	v_mul_u64_e32 v[24:25], s[42:43], v[12:13]
	s_delay_alu instid0(VALU_DEP_2) | instskip(NEXT) | instid1(VALU_DEP_1)
	v_lshl_add_u64 v[20:21], v[20:21], 1, s[10:11]
	v_lshl_add_u64 v[20:21], v[24:25], 1, v[20:21]
	s_delay_alu instid0(VALU_DEP_1)
	v_lshl_add_u64 v[20:21], v[22:23], 1, v[20:21]
	global_load_u16 v20, v[20:21], off
	s_wait_loadcnt 0x0
	v_add_f16_e32 v3, v3, v20
.LBB19_35:                              ;   in Loop: Header=BB19_4 Depth=1
	s_wait_xcnt 0x0
	s_or_b32 exec_lo, exec_lo, s0
.LBB19_36:                              ;   in Loop: Header=BB19_4 Depth=1
	s_delay_alu instid0(SALU_CYCLE_1) | instskip(SKIP_1) | instid1(VALU_DEP_1)
	s_or_b32 exec_lo, exec_lo, s3
	v_add_nc_u64_e32 v[22:23], s[6:7], v[16:17]
	v_mul_u64_e32 v[20:21], s[36:37], v[22:23]
	s_and_saveexec_b32 s0, s2
	s_delay_alu instid0(SALU_CYCLE_1)
	s_xor_b32 s0, exec_lo, s0
	s_cbranch_execnz .LBB19_39
; %bb.37:                               ;   in Loop: Header=BB19_4 Depth=1
	s_or_saveexec_b32 s2, s0
	v_add_nc_u64_e32 v[22:23], s[30:31], v[4:5]
	s_xor_b32 exec_lo, exec_lo, s2
	s_cbranch_execnz .LBB19_40
.LBB19_38:                              ;   in Loop: Header=BB19_4 Depth=1
	s_or_b32 exec_lo, exec_lo, s2
	s_and_saveexec_b32 s2, s1
	s_cbranch_execz .LBB19_3
	s_branch .LBB19_43
.LBB19_39:                              ;   in Loop: Header=BB19_4 Depth=1
	v_mul_u64_e32 v[20:21], s[36:37], v[22:23]
                                        ; implicit-def: $vgpr18_vgpr19
	s_or_saveexec_b32 s2, s0
	v_add_nc_u64_e32 v[22:23], s[30:31], v[4:5]
	s_xor_b32 exec_lo, exec_lo, s2
	s_cbranch_execz .LBB19_38
.LBB19_40:                              ;   in Loop: Header=BB19_4 Depth=1
	s_delay_alu instid0(VALU_DEP_2) | instskip(NEXT) | instid1(VALU_DEP_1)
	v_sub_nc_u64_e32 v[18:19], v[20:21], v[18:19]
	v_add_nc_u64_e32 v[18:19], v[22:23], v[18:19]
	s_delay_alu instid0(VALU_DEP_1) | instskip(SKIP_2) | instid1(SALU_CYCLE_1)
	v_cmp_lt_i64_e32 vcc_lo, -1, v[18:19]
	v_cmp_gt_i64_e64 s0, s[42:43], v[18:19]
	s_and_b32 s3, vcc_lo, s0
	s_and_saveexec_b32 s0, s3
	s_cbranch_execz .LBB19_42
; %bb.41:                               ;   in Loop: Header=BB19_4 Depth=1
	v_mul_u64_e32 v[24:25], s[46:47], v[8:9]
	v_mul_u64_e32 v[26:27], s[42:43], v[12:13]
	s_delay_alu instid0(VALU_DEP_2) | instskip(NEXT) | instid1(VALU_DEP_1)
	v_lshl_add_u64 v[24:25], v[24:25], 1, s[10:11]
	v_lshl_add_u64 v[24:25], v[26:27], 1, v[24:25]
	s_delay_alu instid0(VALU_DEP_1)
	v_lshl_add_u64 v[18:19], v[18:19], 1, v[24:25]
	global_load_u16 v18, v[18:19], off
	s_wait_loadcnt 0x0
	v_add_f16_e32 v3, v3, v18
.LBB19_42:                              ;   in Loop: Header=BB19_4 Depth=1
	s_wait_xcnt 0x0
	s_or_b32 exec_lo, exec_lo, s0
	s_delay_alu instid0(SALU_CYCLE_1)
	s_or_b32 exec_lo, exec_lo, s2
	s_and_saveexec_b32 s2, s1
	s_cbranch_execz .LBB19_3
.LBB19_43:                              ;   in Loop: Header=BB19_4 Depth=1
	v_mad_nc_u64_u32 v[16:17], s14, v10, v[16:17]
	s_delay_alu instid0(VALU_DEP_1) | instskip(NEXT) | instid1(VALU_DEP_1)
	v_mad_u32 v10, s15, v10, v17
	v_mad_u32 v17, s14, v11, v10
	s_delay_alu instid0(VALU_DEP_1) | instskip(NEXT) | instid1(VALU_DEP_1)
	v_add_nc_u64_e32 v[10:11], 2, v[16:17]
	v_mad_nc_u64_u32 v[16:17], s12, v10, v[20:21]
	s_delay_alu instid0(VALU_DEP_1) | instskip(NEXT) | instid1(VALU_DEP_1)
	v_mad_u32 v10, s13, v10, v17
	v_mad_u32 v17, s12, v11, v10
	s_delay_alu instid0(VALU_DEP_1) | instskip(NEXT) | instid1(VALU_DEP_1)
	v_add_nc_u64_e32 v[10:11], v[22:23], v[16:17]
	v_add_nc_u64_e32 v[10:11], -2, v[10:11]
	s_delay_alu instid0(VALU_DEP_1) | instskip(SKIP_2) | instid1(SALU_CYCLE_1)
	v_cmp_lt_i64_e32 vcc_lo, -1, v[10:11]
	v_cmp_gt_i64_e64 s0, s[42:43], v[10:11]
	s_and_b32 s1, vcc_lo, s0
	s_and_saveexec_b32 s0, s1
	s_cbranch_execz .LBB19_2
; %bb.44:                               ;   in Loop: Header=BB19_4 Depth=1
	v_mul_u64_e32 v[16:17], s[46:47], v[8:9]
	v_mul_u64_e32 v[18:19], s[42:43], v[12:13]
	s_delay_alu instid0(VALU_DEP_2) | instskip(NEXT) | instid1(VALU_DEP_1)
	v_lshl_add_u64 v[16:17], v[16:17], 1, s[10:11]
	v_lshl_add_u64 v[16:17], v[18:19], 1, v[16:17]
	s_delay_alu instid0(VALU_DEP_1)
	v_lshl_add_u64 v[10:11], v[10:11], 1, v[16:17]
	global_load_u16 v10, v[10:11], off
	s_wait_loadcnt 0x0
	v_add_f16_e32 v3, v3, v10
	s_branch .LBB19_2
.LBB19_45:                              ;   in Loop: Header=BB19_4 Depth=1
	s_mov_b32 s0, 0
                                        ; implicit-def: $vgpr26_vgpr27
	s_and_saveexec_b32 s5, s1
	s_delay_alu instid0(SALU_CYCLE_1)
	s_xor_b32 s5, exec_lo, s5
	s_cbranch_execz .LBB19_47
; %bb.46:                               ;   in Loop: Header=BB19_4 Depth=1
	v_mad_nc_u64_u32 v[26:27], s14, v10, v[16:17]
	s_delay_alu instid0(VALU_DEP_1) | instskip(NEXT) | instid1(VALU_DEP_1)
	v_mad_u32 v27, s15, v10, v27
	v_mad_u32 v27, s14, v11, v27
	s_delay_alu instid0(VALU_DEP_1) | instskip(NEXT) | instid1(VALU_DEP_1)
	v_add_nc_u64_e32 v[26:27], 2, v[26:27]
	v_mad_nc_u64_u32 v[30:31], s12, v26, v[24:25]
	s_delay_alu instid0(VALU_DEP_1) | instskip(NEXT) | instid1(VALU_DEP_1)
	v_mad_u32 v26, s13, v26, v31
	v_mad_u32 v31, s12, v27, v26
	v_add_nc_u64_e32 v[26:27], s[30:31], v[4:5]
	s_delay_alu instid0(VALU_DEP_1) | instskip(SKIP_1) | instid1(VALU_DEP_2)
	v_add_nc_u64_e32 v[26:27], v[26:27], v[30:31]
	v_sub_nc_u64_e32 v[30:31], s[44:45], v[20:21]
	v_add_nc_u64_e32 v[26:27], -2, v[26:27]
	s_delay_alu instid0(VALU_DEP_1) | instskip(SKIP_1) | instid1(VALU_DEP_4)
	v_cmp_lt_i64_e32 vcc_lo, -1, v[26:27]
	v_cmp_gt_i64_e64 s0, s[42:43], v[26:27]
	v_add_nc_u64_e32 v[26:27], v[30:31], v[24:25]
	s_and_b32 s0, vcc_lo, s0
	s_delay_alu instid0(SALU_CYCLE_1)
	s_and_b32 s0, s0, exec_lo
.LBB19_47:                              ;   in Loop: Header=BB19_4 Depth=1
	s_or_b32 exec_lo, exec_lo, s5
	s_delay_alu instid0(SALU_CYCLE_1)
	s_and_b32 s5, s0, exec_lo
                                        ; implicit-def: $vgpr24_vgpr25
	s_and_not1_saveexec_b32 s4, s4
	s_cbranch_execz .LBB19_25
.LBB19_48:                              ;   in Loop: Header=BB19_4 Depth=1
	v_sub_nc_u64_e32 v[24:25], v[24:25], v[18:19]
	v_add_nc_u64_e32 v[26:27], s[30:31], v[4:5]
	s_and_not1_b32 s5, s5, exec_lo
	s_delay_alu instid0(VALU_DEP_1) | instskip(NEXT) | instid1(VALU_DEP_1)
	v_add_nc_u64_e32 v[26:27], v[26:27], v[24:25]
	v_cmp_lt_i64_e32 vcc_lo, -1, v[26:27]
	v_cmp_gt_i64_e64 s0, s[42:43], v[26:27]
	s_and_b32 s0, vcc_lo, s0
	s_delay_alu instid0(SALU_CYCLE_1) | instskip(NEXT) | instid1(SALU_CYCLE_1)
	s_and_b32 s0, s0, exec_lo
	s_or_b32 s5, s5, s0
	s_or_b32 exec_lo, exec_lo, s4
	s_and_saveexec_b32 s0, s5
	s_cbranch_execnz .LBB19_26
	s_branch .LBB19_27
.LBB19_49:                              ;   in Loop: Header=BB19_4 Depth=1
	s_mov_b32 s0, 0
                                        ; implicit-def: $vgpr22_vgpr23
	s_and_saveexec_b32 s5, s1
	s_delay_alu instid0(SALU_CYCLE_1)
	s_xor_b32 s5, exec_lo, s5
	s_cbranch_execz .LBB19_51
; %bb.50:                               ;   in Loop: Header=BB19_4 Depth=1
	v_mad_nc_u64_u32 v[22:23], s14, v10, v[16:17]
	s_delay_alu instid0(VALU_DEP_1) | instskip(NEXT) | instid1(VALU_DEP_1)
	v_mad_u32 v23, s15, v10, v23
	v_mad_u32 v23, s14, v11, v23
	s_delay_alu instid0(VALU_DEP_1) | instskip(NEXT) | instid1(VALU_DEP_1)
	v_add_nc_u64_e32 v[22:23], 2, v[22:23]
	v_mad_nc_u64_u32 v[26:27], s12, v22, v[24:25]
	v_add_nc_u64_e32 v[24:25], s[50:51], v[24:25]
	s_delay_alu instid0(VALU_DEP_2) | instskip(NEXT) | instid1(VALU_DEP_1)
	v_mad_u32 v22, s13, v22, v27
	v_mad_u32 v27, s12, v23, v22
	v_add_nc_u64_e32 v[22:23], s[30:31], v[4:5]
	s_delay_alu instid0(VALU_DEP_1) | instskip(NEXT) | instid1(VALU_DEP_1)
	v_add_nc_u64_e32 v[22:23], v[22:23], v[26:27]
	v_add_nc_u64_e32 v[22:23], -2, v[22:23]
	s_delay_alu instid0(VALU_DEP_1) | instskip(SKIP_3) | instid1(SALU_CYCLE_1)
	v_cmp_lt_i64_e32 vcc_lo, -1, v[22:23]
	v_cmp_gt_i64_e64 s0, s[42:43], v[22:23]
	v_sub_nc_u64_e32 v[22:23], v[24:25], v[20:21]
	s_and_b32 s0, vcc_lo, s0
	s_and_b32 s0, s0, exec_lo
.LBB19_51:                              ;   in Loop: Header=BB19_4 Depth=1
	s_or_b32 exec_lo, exec_lo, s5
	s_delay_alu instid0(SALU_CYCLE_1)
	s_and_b32 s5, s0, exec_lo
                                        ; implicit-def: $vgpr24_vgpr25
	s_and_not1_saveexec_b32 s4, s4
	s_cbranch_execz .LBB19_33
.LBB19_52:                              ;   in Loop: Header=BB19_4 Depth=1
	v_sub_nc_u64_e32 v[20:21], v[24:25], v[18:19]
	v_add_nc_u64_e32 v[22:23], s[30:31], v[4:5]
	s_and_not1_b32 s5, s5, exec_lo
	s_delay_alu instid0(VALU_DEP_1) | instskip(NEXT) | instid1(VALU_DEP_1)
	v_add_nc_u64_e32 v[22:23], v[22:23], v[20:21]
	v_cmp_lt_i64_e32 vcc_lo, -1, v[22:23]
	v_cmp_gt_i64_e64 s0, s[42:43], v[22:23]
	s_and_b32 s0, vcc_lo, s0
	s_delay_alu instid0(SALU_CYCLE_1) | instskip(NEXT) | instid1(SALU_CYCLE_1)
	s_and_b32 s0, s0, exec_lo
	s_or_b32 s5, s5, s0
	s_or_b32 exec_lo, exec_lo, s4
	s_and_saveexec_b32 s0, s5
	s_cbranch_execnz .LBB19_34
	s_branch .LBB19_35
.LBB19_53:
	s_endpgm
	.section	.rodata,"a",@progbits
	.p2align	6, 0x0
	.amdhsa_kernel _ZN2at6native12_GLOBAL__N_140reflection_pad2d_backward_det_out_kernelIN3c104HalfEEEvPT_PKS5_lliiiiiii
		.amdhsa_group_segment_fixed_size 0
		.amdhsa_private_segment_fixed_size 0
		.amdhsa_kernarg_size 320
		.amdhsa_user_sgpr_count 2
		.amdhsa_user_sgpr_dispatch_ptr 0
		.amdhsa_user_sgpr_queue_ptr 0
		.amdhsa_user_sgpr_kernarg_segment_ptr 1
		.amdhsa_user_sgpr_dispatch_id 0
		.amdhsa_user_sgpr_kernarg_preload_length 0
		.amdhsa_user_sgpr_kernarg_preload_offset 0
		.amdhsa_user_sgpr_private_segment_size 0
		.amdhsa_wavefront_size32 1
		.amdhsa_uses_dynamic_stack 0
		.amdhsa_enable_private_segment 0
		.amdhsa_system_sgpr_workgroup_id_x 1
		.amdhsa_system_sgpr_workgroup_id_y 0
		.amdhsa_system_sgpr_workgroup_id_z 0
		.amdhsa_system_sgpr_workgroup_info 0
		.amdhsa_system_vgpr_workitem_id 0
		.amdhsa_next_free_vgpr 34
		.amdhsa_next_free_sgpr 76
		.amdhsa_named_barrier_count 0
		.amdhsa_reserve_vcc 1
		.amdhsa_float_round_mode_32 0
		.amdhsa_float_round_mode_16_64 0
		.amdhsa_float_denorm_mode_32 3
		.amdhsa_float_denorm_mode_16_64 3
		.amdhsa_fp16_overflow 0
		.amdhsa_memory_ordered 1
		.amdhsa_forward_progress 1
		.amdhsa_inst_pref_size 39
		.amdhsa_round_robin_scheduling 0
		.amdhsa_exception_fp_ieee_invalid_op 0
		.amdhsa_exception_fp_denorm_src 0
		.amdhsa_exception_fp_ieee_div_zero 0
		.amdhsa_exception_fp_ieee_overflow 0
		.amdhsa_exception_fp_ieee_underflow 0
		.amdhsa_exception_fp_ieee_inexact 0
		.amdhsa_exception_int_div_zero 0
	.end_amdhsa_kernel
	.section	.text._ZN2at6native12_GLOBAL__N_140reflection_pad2d_backward_det_out_kernelIN3c104HalfEEEvPT_PKS5_lliiiiiii,"axG",@progbits,_ZN2at6native12_GLOBAL__N_140reflection_pad2d_backward_det_out_kernelIN3c104HalfEEEvPT_PKS5_lliiiiiii,comdat
.Lfunc_end19:
	.size	_ZN2at6native12_GLOBAL__N_140reflection_pad2d_backward_det_out_kernelIN3c104HalfEEEvPT_PKS5_lliiiiiii, .Lfunc_end19-_ZN2at6native12_GLOBAL__N_140reflection_pad2d_backward_det_out_kernelIN3c104HalfEEEvPT_PKS5_lliiiiiii
                                        ; -- End function
	.set _ZN2at6native12_GLOBAL__N_140reflection_pad2d_backward_det_out_kernelIN3c104HalfEEEvPT_PKS5_lliiiiiii.num_vgpr, 34
	.set _ZN2at6native12_GLOBAL__N_140reflection_pad2d_backward_det_out_kernelIN3c104HalfEEEvPT_PKS5_lliiiiiii.num_agpr, 0
	.set _ZN2at6native12_GLOBAL__N_140reflection_pad2d_backward_det_out_kernelIN3c104HalfEEEvPT_PKS5_lliiiiiii.numbered_sgpr, 76
	.set _ZN2at6native12_GLOBAL__N_140reflection_pad2d_backward_det_out_kernelIN3c104HalfEEEvPT_PKS5_lliiiiiii.num_named_barrier, 0
	.set _ZN2at6native12_GLOBAL__N_140reflection_pad2d_backward_det_out_kernelIN3c104HalfEEEvPT_PKS5_lliiiiiii.private_seg_size, 0
	.set _ZN2at6native12_GLOBAL__N_140reflection_pad2d_backward_det_out_kernelIN3c104HalfEEEvPT_PKS5_lliiiiiii.uses_vcc, 1
	.set _ZN2at6native12_GLOBAL__N_140reflection_pad2d_backward_det_out_kernelIN3c104HalfEEEvPT_PKS5_lliiiiiii.uses_flat_scratch, 0
	.set _ZN2at6native12_GLOBAL__N_140reflection_pad2d_backward_det_out_kernelIN3c104HalfEEEvPT_PKS5_lliiiiiii.has_dyn_sized_stack, 0
	.set _ZN2at6native12_GLOBAL__N_140reflection_pad2d_backward_det_out_kernelIN3c104HalfEEEvPT_PKS5_lliiiiiii.has_recursion, 0
	.set _ZN2at6native12_GLOBAL__N_140reflection_pad2d_backward_det_out_kernelIN3c104HalfEEEvPT_PKS5_lliiiiiii.has_indirect_call, 0
	.section	.AMDGPU.csdata,"",@progbits
; Kernel info:
; codeLenInByte = 4936
; TotalNumSgprs: 78
; NumVgprs: 34
; ScratchSize: 0
; MemoryBound: 0
; FloatMode: 240
; IeeeMode: 1
; LDSByteSize: 0 bytes/workgroup (compile time only)
; SGPRBlocks: 0
; VGPRBlocks: 2
; NumSGPRsForWavesPerEU: 78
; NumVGPRsForWavesPerEU: 34
; NamedBarCnt: 0
; Occupancy: 16
; WaveLimiterHint : 0
; COMPUTE_PGM_RSRC2:SCRATCH_EN: 0
; COMPUTE_PGM_RSRC2:USER_SGPR: 2
; COMPUTE_PGM_RSRC2:TRAP_HANDLER: 0
; COMPUTE_PGM_RSRC2:TGID_X_EN: 1
; COMPUTE_PGM_RSRC2:TGID_Y_EN: 0
; COMPUTE_PGM_RSRC2:TGID_Z_EN: 0
; COMPUTE_PGM_RSRC2:TIDIG_COMP_CNT: 0
	.section	.text._ZN2at6native12_GLOBAL__N_136reflection_pad2d_backward_out_kernelIN3c104HalfEEEvPT_PKS5_lliiiiiii,"axG",@progbits,_ZN2at6native12_GLOBAL__N_136reflection_pad2d_backward_out_kernelIN3c104HalfEEEvPT_PKS5_lliiiiiii,comdat
	.globl	_ZN2at6native12_GLOBAL__N_136reflection_pad2d_backward_out_kernelIN3c104HalfEEEvPT_PKS5_lliiiiiii ; -- Begin function _ZN2at6native12_GLOBAL__N_136reflection_pad2d_backward_out_kernelIN3c104HalfEEEvPT_PKS5_lliiiiiii
	.p2align	8
	.type	_ZN2at6native12_GLOBAL__N_136reflection_pad2d_backward_out_kernelIN3c104HalfEEEvPT_PKS5_lliiiiiii,@function
_ZN2at6native12_GLOBAL__N_136reflection_pad2d_backward_out_kernelIN3c104HalfEEEvPT_PKS5_lliiiiiii: ; @_ZN2at6native12_GLOBAL__N_136reflection_pad2d_backward_out_kernelIN3c104HalfEEEvPT_PKS5_lliiiiiii
; %bb.0:
	s_clause 0x2
	s_load_b32 s2, s[0:1], 0x4c
	s_load_b128 s[20:23], s[0:1], 0x20
	s_load_b256 s[4:11], s[0:1], 0x0
	s_bfe_u32 s3, ttmp6, 0x4000c
	s_and_b32 s12, ttmp6, 15
	s_add_co_i32 s3, s3, 1
	s_getreg_b32 s15, hwreg(HW_REG_IB_STS2, 6, 4)
	s_mul_i32 s3, ttmp9, s3
	v_mov_b32_e32 v1, 0
	s_add_co_i32 s3, s12, s3
	s_wait_kmcnt 0x0
	s_and_b32 s14, s2, 0xffff
	s_cmp_eq_u32 s15, 0
	s_mov_b32 s2, s22
	s_cselect_b32 s16, ttmp9, s3
	s_ashr_i32 s3, s22, 31
	v_mad_u32 v0, s16, s14, v0
	s_mov_b32 s12, s23
	s_ashr_i32 s13, s23, 31
	s_add_nc_u64 s[18:19], s[8:9], s[2:3]
	s_ashr_i32 s23, s20, 31
	s_mov_b32 s22, s20
	s_add_nc_u64 s[16:17], s[18:19], s[12:13]
	s_add_nc_u64 s[24:25], s[10:11], s[22:23]
	s_ashr_i32 s13, s21, 31
	s_mov_b32 s12, s21
	s_delay_alu instid0(SALU_CYCLE_1) | instskip(NEXT) | instid1(SALU_CYCLE_1)
	s_add_nc_u64 s[20:21], s[24:25], s[12:13]
	s_mul_u64 s[12:13], s[16:17], s[20:21]
	s_delay_alu instid0(SALU_CYCLE_1)
	v_cmp_gt_i64_e32 vcc_lo, s[12:13], v[0:1]
	s_and_saveexec_b32 s12, vcc_lo
	s_cbranch_execz .LBB20_10
; %bb.1:
	s_load_b96 s[12:14], s[0:1], 0x30
	s_wait_xcnt 0x0
	s_and_b64 s[0:1], s[16:17], 0xffffffff00000000
	s_delay_alu instid0(SALU_CYCLE_1)
	s_cmp_lg_u64 s[0:1], 0
	s_cbranch_scc0 .LBB20_11
; %bb.2:
	s_ashr_i32 s26, s17, 31
	v_add_nc_u64_e32 v[2:3], 0, v[0:1]
	s_mov_b32 s27, s26
	v_mov_b32_e32 v5, 0
	s_add_nc_u64 s[0:1], s[16:17], s[26:27]
	s_delay_alu instid0(SALU_CYCLE_1) | instskip(NEXT) | instid1(VALU_DEP_2)
	s_xor_b64 s[28:29], s[0:1], s[26:27]
	v_mov_b32_e32 v4, v2
	s_cvt_f32_u32 s0, s28
	s_cvt_f32_u32 s1, s29
	s_sub_nc_u64 s[34:35], 0, s[28:29]
	s_delay_alu instid0(SALU_CYCLE_2) | instskip(NEXT) | instid1(SALU_CYCLE_3)
	s_fmamk_f32 s0, s1, 0x4f800000, s0
	v_s_rcp_f32 s0, s0
	s_delay_alu instid0(TRANS32_DEP_1) | instskip(NEXT) | instid1(SALU_CYCLE_3)
	s_mul_f32 s0, s0, 0x5f7ffffc
	s_mul_f32 s1, s0, 0x2f800000
	s_delay_alu instid0(SALU_CYCLE_3) | instskip(NEXT) | instid1(SALU_CYCLE_3)
	s_trunc_f32 s1, s1
	s_fmamk_f32 s0, s1, 0xcf800000, s0
	s_cvt_u32_f32 s31, s1
	s_mov_b32 s1, 0
	s_delay_alu instid0(SALU_CYCLE_1) | instskip(NEXT) | instid1(SALU_CYCLE_3)
	s_cvt_u32_f32 s30, s0
	s_mul_u64 s[36:37], s[34:35], s[30:31]
	s_delay_alu instid0(SALU_CYCLE_1)
	s_mul_hi_u32 s39, s30, s37
	s_mul_i32 s38, s30, s37
	s_mul_hi_u32 s0, s30, s36
	s_mul_i32 s33, s31, s36
	s_add_nc_u64 s[38:39], s[0:1], s[38:39]
	s_mul_hi_u32 s27, s31, s36
	s_mul_hi_u32 s40, s31, s37
	s_add_co_u32 s0, s38, s33
	s_add_co_ci_u32 s0, s39, s27
	s_mul_i32 s36, s31, s37
	s_add_co_ci_u32 s37, s40, 0
	s_delay_alu instid0(SALU_CYCLE_1) | instskip(NEXT) | instid1(SALU_CYCLE_1)
	s_add_nc_u64 s[36:37], s[0:1], s[36:37]
	s_add_co_u32 s30, s30, s36
	s_cselect_b32 s0, -1, 0
	s_delay_alu instid0(SALU_CYCLE_1) | instskip(SKIP_1) | instid1(SALU_CYCLE_1)
	s_cmp_lg_u32 s0, 0
	s_add_co_ci_u32 s31, s31, s37
	s_mul_u64 s[34:35], s[34:35], s[30:31]
	s_delay_alu instid0(SALU_CYCLE_1)
	s_mul_hi_u32 s37, s30, s35
	s_mul_i32 s36, s30, s35
	s_mul_hi_u32 s0, s30, s34
	s_mul_i32 s33, s31, s34
	s_add_nc_u64 s[36:37], s[0:1], s[36:37]
	s_mul_hi_u32 s27, s31, s34
	s_mul_hi_u32 s38, s31, s35
	s_add_co_u32 s0, s36, s33
	s_add_co_ci_u32 s0, s37, s27
	s_mul_i32 s34, s31, s35
	s_add_co_ci_u32 s35, s38, 0
	s_delay_alu instid0(SALU_CYCLE_1) | instskip(NEXT) | instid1(SALU_CYCLE_1)
	s_add_nc_u64 s[34:35], s[0:1], s[34:35]
	s_add_co_u32 s30, s30, s34
	s_cselect_b32 s0, -1, 0
	s_delay_alu instid0(SALU_CYCLE_1)
	s_cmp_lg_u32 s0, 0
	s_add_co_ci_u32 s0, s31, s35
	s_mov_b64 s[34:35], 0xffffffff
	v_nop
	v_mul_u64_e32 v[6:7], s[0:1], v[4:5]
	v_mul_hi_u32 v4, v2, s30
	s_and_b64 s[30:31], s[30:31], s[34:35]
	s_delay_alu instid0(VALU_DEP_1) | instskip(SKIP_1) | instid1(VALU_DEP_1)
	v_add_nc_u64_e32 v[6:7], v[4:5], v[6:7]
	v_mov_b32_e32 v4, v3
	v_mul_u64_e32 v[8:9], s[30:31], v[4:5]
	v_mul_u64_e32 v[10:11], s[0:1], v[4:5]
	s_delay_alu instid0(VALU_DEP_2) | instskip(NEXT) | instid1(VALU_DEP_3)
	v_add_co_u32 v4, vcc_lo, v6, v8
	v_add_co_ci_u32_e32 v4, vcc_lo, v7, v9, vcc_lo
	s_delay_alu instid0(VALU_DEP_3) | instskip(NEXT) | instid1(VALU_DEP_1)
	v_add_co_ci_u32_e32 v11, vcc_lo, 0, v11, vcc_lo
	v_add_nc_u64_e32 v[4:5], v[4:5], v[10:11]
	s_delay_alu instid0(VALU_DEP_1) | instskip(NEXT) | instid1(VALU_DEP_1)
	v_mul_u64_e32 v[6:7], s[28:29], v[4:5]
	v_sub_nc_u32_e32 v8, v3, v7
	s_delay_alu instid0(VALU_DEP_2) | instskip(NEXT) | instid1(VALU_DEP_1)
	v_sub_co_u32 v2, vcc_lo, v2, v6
	v_sub_co_ci_u32_e64 v7, null, v3, v7, vcc_lo
	s_delay_alu instid0(VALU_DEP_3) | instskip(NEXT) | instid1(VALU_DEP_3)
	v_subrev_co_ci_u32_e64 v6, null, s29, v8, vcc_lo
	v_sub_co_u32 v10, s0, v2, s28
	v_cmp_le_u32_e32 vcc_lo, s28, v2
	s_delay_alu instid0(VALU_DEP_3) | instskip(NEXT) | instid1(VALU_DEP_3)
	v_subrev_co_ci_u32_e64 v6, null, 0, v6, s0
	v_cmp_le_u32_e64 s0, s28, v10
	v_add_nc_u64_e32 v[8:9], 2, v[4:5]
	v_cndmask_b32_e64 v12, 0, -1, vcc_lo
	s_delay_alu instid0(VALU_DEP_4) | instskip(SKIP_3) | instid1(VALU_DEP_1)
	v_cmp_eq_u32_e32 vcc_lo, s29, v6
	v_add_nc_u64_e32 v[2:3], 1, v[4:5]
	v_cndmask_b32_e64 v10, 0, -1, s0
	v_cmp_le_u32_e64 s0, s29, v6
	v_cndmask_b32_e64 v11, 0, -1, s0
	v_cmp_eq_u32_e64 s0, s29, v7
	s_delay_alu instid0(VALU_DEP_2) | instskip(SKIP_2) | instid1(VALU_DEP_3)
	v_cndmask_b32_e32 v6, v11, v10, vcc_lo
	v_cmp_le_u32_e32 vcc_lo, s29, v7
	v_cndmask_b32_e64 v10, 0, -1, vcc_lo
	v_cmp_ne_u32_e32 vcc_lo, 0, v6
	s_delay_alu instid0(VALU_DEP_2) | instskip(SKIP_1) | instid1(VALU_DEP_2)
	v_dual_cndmask_b32 v6, v10, v12, s0 :: v_dual_cndmask_b32 v3, v3, v9, vcc_lo
	v_cndmask_b32_e32 v2, v2, v8, vcc_lo
	v_cmp_ne_u32_e32 vcc_lo, 0, v6
	s_delay_alu instid0(VALU_DEP_2) | instskip(SKIP_1) | instid1(VALU_DEP_2)
	v_dual_cndmask_b32 v5, v5, v3 :: v_dual_cndmask_b32 v4, v4, v2
	v_dual_mov_b32 v3, s26 :: v_dual_mov_b32 v2, s26
	v_xor_b32_e32 v5, s26, v5
	s_delay_alu instid0(VALU_DEP_3) | instskip(NEXT) | instid1(VALU_DEP_1)
	v_xor_b32_e32 v4, s26, v4
	v_sub_nc_u64_e32 v[2:3], v[4:5], v[2:3]
	s_cbranch_execnz .LBB20_4
.LBB20_3:
	v_cvt_f32_u32_e32 v2, s16
	s_sub_co_i32 s0, 0, s16
	s_delay_alu instid0(VALU_DEP_1) | instskip(SKIP_1) | instid1(TRANS32_DEP_1)
	v_rcp_iflag_f32_e32 v2, v2
	v_nop
	v_mul_f32_e32 v2, 0x4f7ffffe, v2
	s_delay_alu instid0(VALU_DEP_1) | instskip(NEXT) | instid1(VALU_DEP_1)
	v_cvt_u32_f32_e32 v2, v2
	v_mul_lo_u32 v3, s0, v2
	s_delay_alu instid0(VALU_DEP_1) | instskip(NEXT) | instid1(VALU_DEP_1)
	v_mul_hi_u32 v3, v2, v3
	v_add_nc_u32_e32 v2, v2, v3
	s_delay_alu instid0(VALU_DEP_1) | instskip(NEXT) | instid1(VALU_DEP_1)
	v_mul_hi_u32 v2, v0, v2
	v_mul_lo_u32 v3, v2, s16
	s_delay_alu instid0(VALU_DEP_1) | instskip(NEXT) | instid1(VALU_DEP_1)
	v_dual_add_nc_u32 v4, 1, v2 :: v_dual_sub_nc_u32 v3, v0, v3
	v_subrev_nc_u32_e32 v5, s16, v3
	v_cmp_le_u32_e32 vcc_lo, s16, v3
	s_delay_alu instid0(VALU_DEP_2) | instskip(NEXT) | instid1(VALU_DEP_1)
	v_dual_cndmask_b32 v3, v3, v5 :: v_dual_cndmask_b32 v2, v2, v4
	v_cmp_le_u32_e32 vcc_lo, s16, v3
	s_delay_alu instid0(VALU_DEP_2) | instskip(NEXT) | instid1(VALU_DEP_1)
	v_dual_mov_b32 v3, 0 :: v_dual_add_nc_u32 v4, 1, v2
	v_cndmask_b32_e32 v2, v2, v4, vcc_lo
.LBB20_4:
	s_delay_alu instid0(VALU_DEP_1)
	v_mul_u64_e32 v[4:5], s[16:17], v[2:3]
	v_max_i64 v[6:7], s[22:23], 0
	v_sub_nc_u64_e64 v[8:9], v[2:3], s[24:25]
	s_sub_nc_u64 s[0:1], 0, s[22:23]
	s_bfe_u32 s29, ttmp6, 0x40010
	v_max_i64 v[10:11], s[0:1], 0
	s_bfe_u32 s33, ttmp6, 0x40014
	s_add_nc_u64 s[0:1], s[24:25], s[22:23]
	s_and_b32 s28, ttmp7, 0xffff
	v_add_nc_u64_e32 v[12:13], 1, v[8:9]
	v_not_b32_e32 v9, v9
	v_not_b32_e32 v8, v8
	s_lshr_b32 s31, ttmp7, 16
	s_add_co_i32 s29, s29, 1
	s_add_co_i32 s33, s33, 1
	s_bfe_u32 s30, ttmp6, 0x40004
	v_max_i64 v[8:9], v[12:13], v[8:9]
	v_sub_nc_u64_e64 v[12:13], v[2:3], s[22:23]
	s_bfe_u32 s34, ttmp6, 0x40008
	v_max_i64 v[14:15], s[2:3], 0
	s_mul_i32 s22, s28, s29
	s_mul_i32 s23, s31, s33
	s_add_co_i32 s30, s30, s22
	s_add_co_i32 s34, s34, s23
	v_sub_nc_u64_e32 v[16:17], 0, v[12:13]
	s_cmp_eq_u32 s15, 0
	s_sub_nc_u64 s[26:27], 0, s[2:3]
	v_sub_nc_u64_e32 v[4:5], v[0:1], v[4:5]
	v_not_b32_e32 v0, v6
	v_not_b32_e32 v1, v7
	s_delay_alu instid0(VALU_DEP_4) | instskip(SKIP_1) | instid1(VALU_DEP_3)
	v_max_i64 v[6:7], v[12:13], v[16:17]
	v_max_i64 v[16:17], s[26:27], 0
	v_add_nc_u64_e32 v[0:1], s[0:1], v[0:1]
	v_sub_nc_u64_e64 v[12:13], v[4:5], s[18:19]
	s_cselect_b32 s0, s31, s34
	s_cselect_b32 s1, s28, s30
	s_wait_kmcnt 0x0
	s_add_co_i32 s0, s13, s0
	s_add_co_i32 s1, s12, s1
	s_mul_i32 s0, s0, s14
	v_add_nc_u64_e32 v[0:1], v[0:1], v[10:11]
	v_add_nc_u64_e32 v[10:11], 1, v[12:13]
	v_not_b32_e32 v13, v13
	v_not_b32_e32 v12, v12
	s_mov_b32 s13, 0
	s_add_co_i32 s12, s1, s0
	v_add_nc_u64_e32 v[8:9], v[2:3], v[8:9]
	s_mul_u64 s[0:1], s[10:11], s[12:13]
	v_max_i64 v[10:11], v[10:11], v[12:13]
	v_add_nc_u64_e32 v[0:1], s[0:1], v[0:1]
	v_sub_nc_u64_e64 v[12:13], v[4:5], s[2:3]
	v_mad_nc_u64_u32 v[2:3], s20, s12, v[2:3]
	s_add_nc_u64 s[0:1], s[18:19], s[2:3]
	s_delay_alu instid0(VALU_DEP_3) | instskip(NEXT) | instid1(VALU_DEP_3)
	v_sub_nc_u64_e32 v[0:1], v[0:1], v[8:9]
	v_sub_nc_u64_e32 v[8:9], 0, v[12:13]
	s_delay_alu instid0(VALU_DEP_3) | instskip(NEXT) | instid1(VALU_DEP_3)
	v_mad_u32 v3, s21, s12, v3
	v_add_nc_u64_e32 v[0:1], v[0:1], v[6:7]
	s_delay_alu instid0(VALU_DEP_3) | instskip(SKIP_2) | instid1(VALU_DEP_4)
	v_max_i64 v[8:9], v[12:13], v[8:9]
	v_not_b32_e32 v6, v14
	v_not_b32_e32 v7, v15
	v_mul_u64_e32 v[0:1], s[8:9], v[0:1]
	s_delay_alu instid0(VALU_DEP_2) | instskip(SKIP_1) | instid1(VALU_DEP_2)
	v_add_nc_u64_e32 v[6:7], s[0:1], v[6:7]
	v_mul_u64_e32 v[2:3], s[16:17], v[2:3]
	v_add_nc_u64_e32 v[6:7], v[6:7], v[16:17]
	v_add_nc_u64_e32 v[10:11], v[4:5], v[10:11]
	s_delay_alu instid0(VALU_DEP_1) | instskip(NEXT) | instid1(VALU_DEP_1)
	v_sub_nc_u64_e32 v[6:7], v[6:7], v[10:11]
	v_lshl_add_u64 v[6:7], v[6:7], 1, s[4:5]
	s_delay_alu instid0(VALU_DEP_1) | instskip(NEXT) | instid1(VALU_DEP_1)
	v_lshl_add_u64 v[6:7], v[8:9], 1, v[6:7]
	v_lshl_add_u64 v[0:1], v[0:1], 1, v[6:7]
	v_lshl_add_u64 v[2:3], v[2:3], 1, s[6:7]
	s_delay_alu instid0(VALU_DEP_2) | instskip(NEXT) | instid1(VALU_DEP_1)
	v_dual_mov_b32 v7, 0 :: v_dual_bitop2_b32 v6, 2, v0 bitop3:0x40
	v_sub_nc_u64_e32 v[8:9], 0, v[6:7]
	v_cmp_ne_u32_e64 s0, 0, v6
	v_cmp_eq_u64_e32 vcc_lo, 0, v[6:7]
	s_delay_alu instid0(VALU_DEP_3)
	v_add_nc_u64_e32 v[0:1], v[0:1], v[8:9]
	v_lshl_add_u64 v[8:9], v[4:5], 1, v[2:3]
	global_load_u16 v4, v[8:9], off
	global_load_b32 v3, v[0:1], off
	s_branch .LBB20_6
.LBB20_5:                               ;   in Loop: Header=BB20_6 Depth=1
	s_or_b32 exec_lo, exec_lo, s1
	global_atomic_cmpswap_b32 v2, v[0:1], v[2:3], off th:TH_ATOMIC_RETURN scope:SCOPE_DEV
	s_wait_loadcnt 0x0
	v_cmp_eq_u32_e64 s1, v3, v2
	v_mov_b32_e32 v3, v2
	s_or_b32 s13, s1, s13
	s_delay_alu instid0(SALU_CYCLE_1)
	s_and_not1_b32 exec_lo, exec_lo, s13
	s_cbranch_execz .LBB20_10
.LBB20_6:                               ; =>This Inner Loop Header: Depth=1
	s_wait_loadcnt 0x0
	v_lshrrev_b32_e32 v2, 16, v3
	s_delay_alu instid0(VALU_DEP_1) | instskip(NEXT) | instid1(VALU_DEP_1)
	v_cndmask_b32_e32 v2, v2, v3, vcc_lo
	v_add_f16_e32 v2, v4, v2
	s_delay_alu instid0(VALU_DEP_1) | instskip(SKIP_1) | instid1(SALU_CYCLE_1)
	v_and_b32_e32 v5, 0xffff, v2
	s_and_saveexec_b32 s1, s0
	s_xor_b32 s1, exec_lo, s1
; %bb.7:                                ;   in Loop: Header=BB20_6 Depth=1
	v_and_b32_e32 v2, 0xffff, v3
	s_delay_alu instid0(VALU_DEP_1)
	v_lshl_or_b32 v2, v5, 16, v2
                                        ; implicit-def: $vgpr5
; %bb.8:                                ;   in Loop: Header=BB20_6 Depth=1
	s_and_not1_saveexec_b32 s1, s1
	s_cbranch_execz .LBB20_5
; %bb.9:                                ;   in Loop: Header=BB20_6 Depth=1
	v_and_or_b32 v2, 0xffff0000, v3, v5
	s_branch .LBB20_5
.LBB20_10:
	s_endpgm
.LBB20_11:
                                        ; implicit-def: $vgpr2_vgpr3
	s_branch .LBB20_3
	.section	.rodata,"a",@progbits
	.p2align	6, 0x0
	.amdhsa_kernel _ZN2at6native12_GLOBAL__N_136reflection_pad2d_backward_out_kernelIN3c104HalfEEEvPT_PKS5_lliiiiiii
		.amdhsa_group_segment_fixed_size 0
		.amdhsa_private_segment_fixed_size 0
		.amdhsa_kernarg_size 320
		.amdhsa_user_sgpr_count 2
		.amdhsa_user_sgpr_dispatch_ptr 0
		.amdhsa_user_sgpr_queue_ptr 0
		.amdhsa_user_sgpr_kernarg_segment_ptr 1
		.amdhsa_user_sgpr_dispatch_id 0
		.amdhsa_user_sgpr_kernarg_preload_length 0
		.amdhsa_user_sgpr_kernarg_preload_offset 0
		.amdhsa_user_sgpr_private_segment_size 0
		.amdhsa_wavefront_size32 1
		.amdhsa_uses_dynamic_stack 0
		.amdhsa_enable_private_segment 0
		.amdhsa_system_sgpr_workgroup_id_x 1
		.amdhsa_system_sgpr_workgroup_id_y 1
		.amdhsa_system_sgpr_workgroup_id_z 1
		.amdhsa_system_sgpr_workgroup_info 0
		.amdhsa_system_vgpr_workitem_id 0
		.amdhsa_next_free_vgpr 18
		.amdhsa_next_free_sgpr 41
		.amdhsa_named_barrier_count 0
		.amdhsa_reserve_vcc 1
		.amdhsa_float_round_mode_32 0
		.amdhsa_float_round_mode_16_64 0
		.amdhsa_float_denorm_mode_32 3
		.amdhsa_float_denorm_mode_16_64 3
		.amdhsa_fp16_overflow 0
		.amdhsa_memory_ordered 1
		.amdhsa_forward_progress 1
		.amdhsa_inst_pref_size 12
		.amdhsa_round_robin_scheduling 0
		.amdhsa_exception_fp_ieee_invalid_op 0
		.amdhsa_exception_fp_denorm_src 0
		.amdhsa_exception_fp_ieee_div_zero 0
		.amdhsa_exception_fp_ieee_overflow 0
		.amdhsa_exception_fp_ieee_underflow 0
		.amdhsa_exception_fp_ieee_inexact 0
		.amdhsa_exception_int_div_zero 0
	.end_amdhsa_kernel
	.section	.text._ZN2at6native12_GLOBAL__N_136reflection_pad2d_backward_out_kernelIN3c104HalfEEEvPT_PKS5_lliiiiiii,"axG",@progbits,_ZN2at6native12_GLOBAL__N_136reflection_pad2d_backward_out_kernelIN3c104HalfEEEvPT_PKS5_lliiiiiii,comdat
.Lfunc_end20:
	.size	_ZN2at6native12_GLOBAL__N_136reflection_pad2d_backward_out_kernelIN3c104HalfEEEvPT_PKS5_lliiiiiii, .Lfunc_end20-_ZN2at6native12_GLOBAL__N_136reflection_pad2d_backward_out_kernelIN3c104HalfEEEvPT_PKS5_lliiiiiii
                                        ; -- End function
	.set _ZN2at6native12_GLOBAL__N_136reflection_pad2d_backward_out_kernelIN3c104HalfEEEvPT_PKS5_lliiiiiii.num_vgpr, 18
	.set _ZN2at6native12_GLOBAL__N_136reflection_pad2d_backward_out_kernelIN3c104HalfEEEvPT_PKS5_lliiiiiii.num_agpr, 0
	.set _ZN2at6native12_GLOBAL__N_136reflection_pad2d_backward_out_kernelIN3c104HalfEEEvPT_PKS5_lliiiiiii.numbered_sgpr, 41
	.set _ZN2at6native12_GLOBAL__N_136reflection_pad2d_backward_out_kernelIN3c104HalfEEEvPT_PKS5_lliiiiiii.num_named_barrier, 0
	.set _ZN2at6native12_GLOBAL__N_136reflection_pad2d_backward_out_kernelIN3c104HalfEEEvPT_PKS5_lliiiiiii.private_seg_size, 0
	.set _ZN2at6native12_GLOBAL__N_136reflection_pad2d_backward_out_kernelIN3c104HalfEEEvPT_PKS5_lliiiiiii.uses_vcc, 1
	.set _ZN2at6native12_GLOBAL__N_136reflection_pad2d_backward_out_kernelIN3c104HalfEEEvPT_PKS5_lliiiiiii.uses_flat_scratch, 0
	.set _ZN2at6native12_GLOBAL__N_136reflection_pad2d_backward_out_kernelIN3c104HalfEEEvPT_PKS5_lliiiiiii.has_dyn_sized_stack, 0
	.set _ZN2at6native12_GLOBAL__N_136reflection_pad2d_backward_out_kernelIN3c104HalfEEEvPT_PKS5_lliiiiiii.has_recursion, 0
	.set _ZN2at6native12_GLOBAL__N_136reflection_pad2d_backward_out_kernelIN3c104HalfEEEvPT_PKS5_lliiiiiii.has_indirect_call, 0
	.section	.AMDGPU.csdata,"",@progbits
; Kernel info:
; codeLenInByte = 1524
; TotalNumSgprs: 43
; NumVgprs: 18
; ScratchSize: 0
; MemoryBound: 0
; FloatMode: 240
; IeeeMode: 1
; LDSByteSize: 0 bytes/workgroup (compile time only)
; SGPRBlocks: 0
; VGPRBlocks: 1
; NumSGPRsForWavesPerEU: 43
; NumVGPRsForWavesPerEU: 18
; NamedBarCnt: 0
; Occupancy: 16
; WaveLimiterHint : 0
; COMPUTE_PGM_RSRC2:SCRATCH_EN: 0
; COMPUTE_PGM_RSRC2:USER_SGPR: 2
; COMPUTE_PGM_RSRC2:TRAP_HANDLER: 0
; COMPUTE_PGM_RSRC2:TGID_X_EN: 1
; COMPUTE_PGM_RSRC2:TGID_Y_EN: 1
; COMPUTE_PGM_RSRC2:TGID_Z_EN: 1
; COMPUTE_PGM_RSRC2:TIDIG_COMP_CNT: 0
	.section	.text._ZN2at6native12_GLOBAL__N_140reflection_pad2d_backward_det_out_kernelIN3c108BFloat16EEEvPT_PKS5_lliiiiiii,"axG",@progbits,_ZN2at6native12_GLOBAL__N_140reflection_pad2d_backward_det_out_kernelIN3c108BFloat16EEEvPT_PKS5_lliiiiiii,comdat
	.globl	_ZN2at6native12_GLOBAL__N_140reflection_pad2d_backward_det_out_kernelIN3c108BFloat16EEEvPT_PKS5_lliiiiiii ; -- Begin function _ZN2at6native12_GLOBAL__N_140reflection_pad2d_backward_det_out_kernelIN3c108BFloat16EEEvPT_PKS5_lliiiiiii
	.p2align	8
	.type	_ZN2at6native12_GLOBAL__N_140reflection_pad2d_backward_det_out_kernelIN3c108BFloat16EEEvPT_PKS5_lliiiiiii,@function
_ZN2at6native12_GLOBAL__N_140reflection_pad2d_backward_det_out_kernelIN3c108BFloat16EEEvPT_PKS5_lliiiiiii: ; @_ZN2at6native12_GLOBAL__N_140reflection_pad2d_backward_det_out_kernelIN3c108BFloat16EEEvPT_PKS5_lliiiiiii
; %bb.0:
	s_clause 0x2
	s_load_b32 s2, s[0:1], 0x4c
	s_load_b64 s[4:5], s[0:1], 0x30
	s_load_b256 s[8:15], s[0:1], 0x0
	s_bfe_u32 s3, ttmp6, 0x4000c
	s_and_b32 s6, ttmp6, 15
	s_add_co_i32 s3, s3, 1
	s_getreg_b32 s7, hwreg(HW_REG_IB_STS2, 6, 4)
	s_mul_i32 s3, ttmp9, s3
	v_mov_b32_e32 v2, 0
	s_add_co_i32 s6, s6, s3
	s_mov_b32 s23, 0
	s_delay_alu instid0(VALU_DEP_1)
	v_mov_b32_e32 v1, v2
	s_wait_kmcnt 0x0
	s_and_b32 s2, s2, 0xffff
	s_cmp_eq_u32 s7, 0
	s_mul_u64 s[18:19], s[14:15], s[12:13]
	s_cselect_b32 s3, ttmp9, s6
	s_ashr_i32 s7, s4, 31
	v_mad_u32 v0, s3, s2, v0
	s_mov_b32 s6, s4
	s_ashr_i32 s17, s5, 31
	s_mov_b32 s16, s5
	s_mul_u64 s[4:5], s[18:19], s[6:7]
	s_mov_b32 s3, exec_lo
	s_mul_u64 s[20:21], s[4:5], s[16:17]
	s_delay_alu instid0(VALU_DEP_1) | instid1(SALU_CYCLE_1)
	v_cmpx_gt_i64_e64 s[20:21], v[0:1]
	s_cbranch_execz .LBB21_53
; %bb.1:
	s_load_b128 s[4:7], s[0:1], 0x20
	s_wait_xcnt 0x0
	s_add_nc_u64 s[0:1], s[0:1], 64
	s_mul_u64 s[26:27], s[18:19], s[16:17]
	s_load_b32 s22, s[0:1], 0x0
	v_cvt_f32_u32_e32 v3, s26
	s_mov_b32 s3, s23
	s_add_nc_u64 s[28:29], s[14:15], -1
	v_sub_nc_u64_e32 v[4:5], 0, v[0:1]
	v_lshlrev_b64_e32 v[6:7], 1, v[0:1]
	v_rcp_iflag_f32_e32 v3, v3
	s_add_nc_u64 s[24:25], s[12:13], -1
	s_sub_nc_u64 s[52:53], 0, s[14:15]
	s_lshl_b64 s[54:55], s[16:17], 1
	s_lshl_b64 s[56:57], s[12:13], 1
	s_mov_b64 s[60:61], 0xffffffff
	s_sub_nc_u64 s[64:65], 0, s[18:19]
	v_nop
	v_mul_f32_e32 v3, 0x4f7ffffe, v3
	s_ashr_i32 s66, s27, 31
	s_mov_b32 s33, 0
	s_wait_kmcnt 0x0
	s_ashr_i32 s31, s6, 31
	s_mov_b32 s30, s6
	s_ashr_i32 s1, s7, 31
	s_mov_b32 s0, s7
	;; [unrolled: 2-line block ×4, first 2 shown]
	s_add_nc_u64 s[4:5], s[12:13], s[30:31]
	s_add_nc_u64 s[40:41], s[14:15], s[6:7]
	s_not_b64 s[42:43], s[0:1]
	s_add_nc_u64 s[36:37], s[4:5], s[0:1]
	s_add_nc_u64 s[0:1], s[40:41], s[38:39]
	s_mul_u64 s[34:35], s[2:3], s[22:23]
	s_not_b64 s[2:3], s[38:39]
	s_add_nc_u64 s[40:41], s[12:13], s[42:43]
	s_mul_u64 s[42:43], s[36:37], s[0:1]
	s_lshl_b64 s[0:1], s[28:29], 1
	v_cvt_u32_f32_e32 v28, v3
	s_add_nc_u64 s[4:5], s[4:5], s[24:25]
	s_add_nc_u64 s[38:39], s[14:15], s[2:3]
	s_lshl_b64 s[2:3], s[24:25], 1
	s_add_nc_u64 s[48:49], s[0:1], s[6:7]
	s_lshl_b64 s[0:1], s[30:31], 1
	s_add_nc_u64 s[44:45], s[4:5], -1
	s_mul_u64 s[46:47], s[42:43], s[16:17]
	s_add_nc_u64 s[50:51], s[2:3], s[30:31]
	s_add_nc_u64 s[58:59], s[10:11], s[0:1]
	s_lshl_b64 s[62:63], s[34:35], 1
	s_branch .LBB21_4
.LBB21_2:                               ;   in Loop: Header=BB21_4 Depth=1
	s_or_b32 exec_lo, exec_lo, s0
.LBB21_3:                               ;   in Loop: Header=BB21_4 Depth=1
	s_delay_alu instid0(SALU_CYCLE_1)
	s_or_b32 exec_lo, exec_lo, s2
	v_mul_u64_e32 v[10:11], s[56:57], v[14:15]
	v_lshlrev_b64_e32 v[12:13], 1, v[12:13]
	v_add_nc_u64_e32 v[0:1], s[34:35], v[0:1]
	v_sub_nc_u64_e64 v[4:5], v[4:5], s[34:35]
	v_lshlrev_b32_e32 v3, 16, v3
	s_delay_alu instid0(VALU_DEP_4) | instskip(NEXT) | instid1(VALU_DEP_1)
	v_mad_nc_u64_u32 v[12:13], s54, v8, v[12:13]
	v_mad_u32 v8, s55, v8, v13
	s_delay_alu instid0(VALU_DEP_1) | instskip(NEXT) | instid1(VALU_DEP_3)
	v_mad_u32 v8, s54, v9, v8
	v_mad_nc_u64_u32 v[10:11], s42, v12, v[10:11]
	s_delay_alu instid0(VALU_DEP_1) | instskip(NEXT) | instid1(VALU_DEP_1)
	v_mad_u32 v9, s43, v12, v11
	v_mad_u32 v11, s42, v8, v9
	s_delay_alu instid0(VALU_DEP_1) | instskip(NEXT) | instid1(VALU_DEP_1)
	v_lshl_add_u64 v[8:9], v[20:21], 1, v[10:11]
	v_add_nc_u64_e32 v[8:9], v[6:7], v[8:9]
	s_delay_alu instid0(VALU_DEP_1)
	v_add_nc_u64_e32 v[8:9], s[58:59], v[8:9]
	global_load_u16 v10, v[8:9], off
	s_wait_xcnt 0x0
	v_add_nc_u64_e32 v[8:9], s[8:9], v[6:7]
	v_add_nc_u64_e32 v[6:7], s[62:63], v[6:7]
	global_load_u16 v11, v[8:9], off
	s_wait_loadcnt 0x1
	v_lshlrev_b32_e32 v10, 16, v10
	s_delay_alu instid0(VALU_DEP_1) | instskip(SKIP_2) | instid1(VALU_DEP_2)
	v_add_f32_e32 v3, v10, v3
	s_wait_loadcnt 0x0
	v_lshlrev_b32_e32 v11, 16, v11
	v_bfe_u32 v10, v3, 16, 1
	v_cmp_o_f32_e32 vcc_lo, v3, v3
	s_delay_alu instid0(VALU_DEP_2) | instskip(NEXT) | instid1(VALU_DEP_1)
	v_add3_u32 v10, v3, v10, 0x7fff
	v_and_b32_e32 v10, 0xffff0000, v10
	s_delay_alu instid0(VALU_DEP_1) | instskip(SKIP_1) | instid1(VALU_DEP_2)
	v_cndmask_b32_e32 v3, 0x7fc00000, v10, vcc_lo
	v_cmp_le_i64_e32 vcc_lo, s[20:21], v[0:1]
	v_add_f32_e32 v3, v3, v11
	s_or_b32 s33, vcc_lo, s33
	s_delay_alu instid0(VALU_DEP_1) | instskip(SKIP_1) | instid1(VALU_DEP_2)
	v_bfe_u32 v10, v3, 16, 1
	v_cmp_o_f32_e64 s0, v3, v3
	v_add3_u32 v10, v3, v10, 0x7fff
	s_delay_alu instid0(VALU_DEP_1) | instskip(NEXT) | instid1(VALU_DEP_1)
	v_lshrrev_b32_e32 v10, 16, v10
	v_cndmask_b32_e64 v3, 0x7fc0, v10, s0
	global_store_b16 v[8:9], v3, off
	s_wait_xcnt 0x0
	s_and_not1_b32 exec_lo, exec_lo, s33
	s_cbranch_execz .LBB21_53
.LBB21_4:                               ; =>This Inner Loop Header: Depth=1
	v_dual_ashrrev_i32 v12, 31, v1 :: v_dual_bitop2_b32 v3, s27, v1 bitop3:0x54
                                        ; implicit-def: $vgpr8_vgpr9
	s_mov_b32 s0, exec_lo
	s_delay_alu instid0(VALU_DEP_1)
	v_cmpx_ne_u64_e32 0, v[2:3]
	s_xor_b32 s1, exec_lo, s0
	s_cbranch_execz .LBB21_6
; %bb.5:                                ;   in Loop: Header=BB21_4 Depth=1
	s_mov_b32 s67, s66
	v_dual_mov_b32 v13, v12 :: v_dual_mov_b32 v11, v2
	s_add_nc_u64 s[2:3], s[26:27], s[66:67]
	v_mov_b32_e32 v17, v2
	s_xor_b64 s[2:3], s[2:3], s[66:67]
	s_delay_alu instid0(VALU_DEP_2) | instskip(SKIP_4) | instid1(SALU_CYCLE_1)
	v_add_nc_u64_e32 v[8:9], v[0:1], v[12:13]
	s_cvt_f32_u32 s0, s2
	s_cvt_f32_u32 s4, s3
	s_sub_nc_u64 s[68:69], 0, s[2:3]
	v_mov_b32_e32 v21, v2
	s_fmamk_f32 s0, s4, 0x4f800000, s0
	s_delay_alu instid0(VALU_DEP_2) | instskip(SKIP_1) | instid1(SALU_CYCLE_1)
	v_xor_b32_e32 v10, v8, v12
	v_xor_b32_e32 v16, v9, v12
	v_s_rcp_f32 s0, s0
	s_delay_alu instid0(TRANS32_DEP_1) | instskip(NEXT) | instid1(SALU_CYCLE_3)
	s_mul_f32 s0, s0, 0x5f7ffffc
	s_mul_f32 s4, s0, 0x2f800000
	s_delay_alu instid0(SALU_CYCLE_3) | instskip(NEXT) | instid1(SALU_CYCLE_3)
	s_trunc_f32 s4, s4
	s_fmamk_f32 s0, s4, 0xcf800000, s0
	s_cvt_u32_f32 s5, s4
	s_delay_alu instid0(SALU_CYCLE_2) | instskip(NEXT) | instid1(SALU_CYCLE_3)
	s_cvt_u32_f32 s4, s0
	s_mul_u64 s[70:71], s[68:69], s[4:5]
	s_delay_alu instid0(SALU_CYCLE_1)
	s_mul_hi_u32 s73, s4, s71
	s_mul_i32 s72, s4, s71
	s_mul_hi_u32 s22, s4, s70
	s_mul_i32 s67, s5, s70
	s_add_nc_u64 s[72:73], s[22:23], s[72:73]
	s_mul_hi_u32 s0, s5, s70
	s_mul_hi_u32 s74, s5, s71
	s_add_co_u32 s22, s72, s67
	s_add_co_ci_u32 s22, s73, s0
	s_mul_i32 s70, s5, s71
	s_add_co_ci_u32 s71, s74, 0
	s_delay_alu instid0(SALU_CYCLE_1) | instskip(NEXT) | instid1(SALU_CYCLE_1)
	s_add_nc_u64 s[70:71], s[22:23], s[70:71]
	s_add_co_u32 s4, s4, s70
	s_cselect_b32 s0, -1, 0
	s_delay_alu instid0(SALU_CYCLE_1) | instskip(SKIP_1) | instid1(SALU_CYCLE_1)
	s_cmp_lg_u32 s0, 0
	s_add_co_ci_u32 s5, s5, s71
	s_mul_u64 s[68:69], s[68:69], s[4:5]
	s_delay_alu instid0(SALU_CYCLE_1)
	s_mul_hi_u32 s71, s4, s69
	s_mul_i32 s70, s4, s69
	s_mul_hi_u32 s22, s4, s68
	s_mul_i32 s67, s5, s68
	s_add_nc_u64 s[70:71], s[22:23], s[70:71]
	s_mul_hi_u32 s0, s5, s68
	s_mul_hi_u32 s72, s5, s69
	s_add_co_u32 s22, s70, s67
	s_add_co_ci_u32 s22, s71, s0
	s_mul_i32 s68, s5, s69
	s_add_co_ci_u32 s69, s72, 0
	s_delay_alu instid0(SALU_CYCLE_1) | instskip(NEXT) | instid1(SALU_CYCLE_1)
	s_add_nc_u64 s[68:69], s[22:23], s[68:69]
	s_add_co_u32 s0, s4, s68
	s_cselect_b32 s4, -1, 0
	v_nop
	v_mul_hi_u32 v20, v10, s0
	s_cmp_lg_u32 s4, 0
	s_add_co_ci_u32 s22, s5, s69
	s_and_b64 s[4:5], s[0:1], s[60:61]
	v_mul_u64_e32 v[14:15], s[22:23], v[10:11]
	v_mul_u64_e32 v[8:9], s[4:5], v[16:17]
	;; [unrolled: 1-line block ×3, first 2 shown]
	s_delay_alu instid0(VALU_DEP_3) | instskip(NEXT) | instid1(VALU_DEP_1)
	v_add_nc_u64_e32 v[14:15], v[20:21], v[14:15]
	v_add_co_u32 v3, vcc_lo, v14, v8
	s_delay_alu instid0(VALU_DEP_2) | instskip(NEXT) | instid1(VALU_DEP_4)
	v_add_co_ci_u32_e32 v20, vcc_lo, v15, v9, vcc_lo
	v_add_co_ci_u32_e32 v19, vcc_lo, 0, v19, vcc_lo
	s_delay_alu instid0(VALU_DEP_1) | instskip(NEXT) | instid1(VALU_DEP_1)
	v_add_nc_u64_e32 v[8:9], v[20:21], v[18:19]
	v_mul_u64_e32 v[14:15], s[2:3], v[8:9]
	s_delay_alu instid0(VALU_DEP_1) | instskip(NEXT) | instid1(VALU_DEP_2)
	v_sub_nc_u32_e32 v3, v16, v15
	v_sub_co_u32 v10, vcc_lo, v10, v14
	s_delay_alu instid0(VALU_DEP_1) | instskip(NEXT) | instid1(VALU_DEP_3)
	v_sub_co_ci_u32_e64 v13, null, v16, v15, vcc_lo
	v_subrev_co_ci_u32_e64 v3, null, s3, v3, vcc_lo
	s_delay_alu instid0(VALU_DEP_3) | instskip(NEXT) | instid1(VALU_DEP_1)
	v_sub_co_u32 v11, s0, v10, s2
	v_subrev_co_ci_u32_e64 v3, null, 0, v3, s0
	s_delay_alu instid0(VALU_DEP_2) | instskip(SKIP_1) | instid1(VALU_DEP_3)
	v_cmp_le_u32_e32 vcc_lo, s2, v11
	v_cndmask_b32_e64 v11, 0, -1, vcc_lo
	v_cmp_le_u32_e32 vcc_lo, s3, v3
	v_cndmask_b32_e64 v14, 0, -1, vcc_lo
	;; [unrolled: 2-line block ×4, first 2 shown]
	v_cmp_eq_u32_e32 vcc_lo, s3, v3
	v_cndmask_b32_e32 v3, v14, v11, vcc_lo
	v_cmp_eq_u32_e32 vcc_lo, s3, v13
	v_add_nc_u64_e32 v[10:11], 2, v[8:9]
	v_add_nc_u64_e32 v[14:15], 1, v[8:9]
	v_cndmask_b32_e32 v13, v17, v16, vcc_lo
	v_cmp_ne_u32_e32 vcc_lo, 0, v3
	s_delay_alu instid0(VALU_DEP_2) | instskip(NEXT) | instid1(VALU_DEP_4)
	v_cmp_ne_u32_e64 s0, 0, v13
	v_dual_cndmask_b32 v3, v15, v11, vcc_lo :: v_dual_cndmask_b32 v11, v14, v10, vcc_lo
	s_delay_alu instid0(VALU_DEP_1) | instskip(NEXT) | instid1(VALU_DEP_1)
	v_dual_cndmask_b32 v3, v9, v3, s0 :: v_dual_bitop2_b32 v10, s66, v12 bitop3:0x14
	v_dual_cndmask_b32 v8, v8, v11, s0 :: v_dual_mov_b32 v11, v10
	s_delay_alu instid0(VALU_DEP_2) | instskip(NEXT) | instid1(VALU_DEP_2)
	v_xor_b32_e32 v9, v3, v10
	v_xor_b32_e32 v8, v8, v10
	s_delay_alu instid0(VALU_DEP_1)
	v_sub_nc_u64_e32 v[8:9], v[8:9], v[10:11]
.LBB21_6:                               ;   in Loop: Header=BB21_4 Depth=1
	s_and_not1_saveexec_b32 s0, s1
	s_cbranch_execz .LBB21_8
; %bb.7:                                ;   in Loop: Header=BB21_4 Depth=1
	s_sub_co_i32 s1, 0, s26
	s_delay_alu instid0(SALU_CYCLE_1) | instskip(NEXT) | instid1(VALU_DEP_1)
	v_mul_lo_u32 v3, s1, v28
	v_mul_hi_u32 v3, v28, v3
	s_delay_alu instid0(VALU_DEP_1) | instskip(NEXT) | instid1(VALU_DEP_1)
	v_add_nc_u32_e32 v3, v28, v3
	v_mul_hi_u32 v3, v0, v3
	s_delay_alu instid0(VALU_DEP_1) | instskip(NEXT) | instid1(VALU_DEP_1)
	v_mul_lo_u32 v8, v3, s26
	v_dual_add_nc_u32 v9, 1, v3 :: v_dual_sub_nc_u32 v8, v0, v8
	s_delay_alu instid0(VALU_DEP_1) | instskip(SKIP_1) | instid1(VALU_DEP_2)
	v_subrev_nc_u32_e32 v10, s26, v8
	v_cmp_le_u32_e32 vcc_lo, s26, v8
	v_dual_cndmask_b32 v8, v8, v10 :: v_dual_cndmask_b32 v3, v3, v9
	s_delay_alu instid0(VALU_DEP_1) | instskip(NEXT) | instid1(VALU_DEP_2)
	v_cmp_le_u32_e32 vcc_lo, s26, v8
	v_add_nc_u32_e32 v9, 1, v3
	s_delay_alu instid0(VALU_DEP_1)
	v_dual_cndmask_b32 v8, v3, v9 :: v_dual_mov_b32 v9, v2
.LBB21_8:                               ;   in Loop: Header=BB21_4 Depth=1
	s_or_b32 exec_lo, exec_lo, s0
	v_or_b32_e32 v3, s19, v1
                                        ; implicit-def: $vgpr10_vgpr11
	s_mov_b32 s0, exec_lo
	s_delay_alu instid0(VALU_DEP_1)
	v_cmpx_ne_u64_e32 0, v[2:3]
	s_xor_b32 s1, exec_lo, s0
	s_cbranch_execz .LBB21_10
; %bb.9:                                ;   in Loop: Header=BB21_4 Depth=1
	s_ashr_i32 s2, s19, 31
	v_dual_mov_b32 v13, v12 :: v_dual_mov_b32 v15, v2
	s_mov_b32 s3, s2
	v_mov_b32_e32 v23, v2
	s_add_nc_u64 s[4:5], s[18:19], s[2:3]
	s_delay_alu instid0(VALU_DEP_2)
	v_add_nc_u64_e32 v[10:11], v[0:1], v[12:13]
	s_xor_b64 s[4:5], s[4:5], s[2:3]
	v_mov_b32_e32 v19, v2
	s_cvt_f32_u32 s0, s4
	s_cvt_f32_u32 s3, s5
	s_sub_nc_u64 s[70:71], 0, s[4:5]
	s_delay_alu instid0(VALU_DEP_2) | instskip(NEXT) | instid1(SALU_CYCLE_1)
	v_xor_b32_e32 v14, v10, v12
	s_fmamk_f32 s0, s3, 0x4f800000, s0
	v_xor_b32_e32 v18, v11, v12
	v_xor_b32_e32 v12, s2, v12
	s_delay_alu instid0(SALU_CYCLE_1) | instskip(NEXT) | instid1(TRANS32_DEP_1)
	v_s_rcp_f32 s0, s0
	s_mul_f32 s0, s0, 0x5f7ffffc
	s_delay_alu instid0(SALU_CYCLE_3) | instskip(NEXT) | instid1(SALU_CYCLE_3)
	s_mul_f32 s3, s0, 0x2f800000
	s_trunc_f32 s3, s3
	s_delay_alu instid0(SALU_CYCLE_3) | instskip(SKIP_1) | instid1(SALU_CYCLE_2)
	s_fmamk_f32 s0, s3, 0xcf800000, s0
	s_cvt_u32_f32 s69, s3
	s_cvt_u32_f32 s68, s0
	s_delay_alu instid0(SALU_CYCLE_3) | instskip(NEXT) | instid1(SALU_CYCLE_1)
	s_mul_u64 s[72:73], s[70:71], s[68:69]
	s_mul_hi_u32 s75, s68, s73
	s_mul_i32 s74, s68, s73
	s_mul_hi_u32 s22, s68, s72
	s_mul_i32 s3, s69, s72
	s_add_nc_u64 s[74:75], s[22:23], s[74:75]
	s_mul_hi_u32 s0, s69, s72
	s_mul_hi_u32 s67, s69, s73
	s_add_co_u32 s3, s74, s3
	s_add_co_ci_u32 s22, s75, s0
	s_mul_i32 s72, s69, s73
	s_add_co_ci_u32 s73, s67, 0
	s_delay_alu instid0(SALU_CYCLE_1) | instskip(NEXT) | instid1(SALU_CYCLE_1)
	s_add_nc_u64 s[72:73], s[22:23], s[72:73]
	s_add_co_u32 s68, s68, s72
	s_cselect_b32 s0, -1, 0
	s_delay_alu instid0(SALU_CYCLE_1) | instskip(SKIP_1) | instid1(SALU_CYCLE_1)
	s_cmp_lg_u32 s0, 0
	s_add_co_ci_u32 s69, s69, s73
	s_mul_u64 s[70:71], s[70:71], s[68:69]
	s_delay_alu instid0(SALU_CYCLE_1)
	s_mul_hi_u32 s73, s68, s71
	s_mul_i32 s72, s68, s71
	s_mul_hi_u32 s22, s68, s70
	s_mul_i32 s3, s69, s70
	s_add_nc_u64 s[72:73], s[22:23], s[72:73]
	s_mul_hi_u32 s0, s69, s70
	s_mul_hi_u32 s67, s69, s71
	s_add_co_u32 s3, s72, s3
	s_add_co_ci_u32 s22, s73, s0
	s_mul_i32 s70, s69, s71
	s_add_co_ci_u32 s71, s67, 0
	s_delay_alu instid0(SALU_CYCLE_1) | instskip(NEXT) | instid1(SALU_CYCLE_1)
	s_add_nc_u64 s[70:71], s[22:23], s[70:71]
	s_add_co_u32 s0, s68, s70
	s_cselect_b32 s3, -1, 0
	v_nop
	v_mul_hi_u32 v22, v14, s0
	s_cmp_lg_u32 s3, 0
	s_add_co_ci_u32 s22, s69, s71
	s_and_b64 s[68:69], s[0:1], s[60:61]
	v_mul_u64_e32 v[16:17], s[22:23], v[14:15]
	v_mul_u64_e32 v[10:11], s[68:69], v[18:19]
	;; [unrolled: 1-line block ×3, first 2 shown]
	s_delay_alu instid0(VALU_DEP_3) | instskip(NEXT) | instid1(VALU_DEP_1)
	v_add_nc_u64_e32 v[16:17], v[22:23], v[16:17]
	v_add_co_u32 v3, vcc_lo, v16, v10
	s_delay_alu instid0(VALU_DEP_2) | instskip(NEXT) | instid1(VALU_DEP_4)
	v_add_co_ci_u32_e32 v22, vcc_lo, v17, v11, vcc_lo
	v_add_co_ci_u32_e32 v21, vcc_lo, 0, v21, vcc_lo
	s_delay_alu instid0(VALU_DEP_1) | instskip(NEXT) | instid1(VALU_DEP_1)
	v_add_nc_u64_e32 v[10:11], v[22:23], v[20:21]
	v_mul_u64_e32 v[16:17], s[4:5], v[10:11]
	s_delay_alu instid0(VALU_DEP_1) | instskip(NEXT) | instid1(VALU_DEP_2)
	v_sub_nc_u32_e32 v3, v18, v17
	v_sub_co_u32 v13, vcc_lo, v14, v16
	s_delay_alu instid0(VALU_DEP_1) | instskip(NEXT) | instid1(VALU_DEP_3)
	v_sub_co_ci_u32_e64 v18, null, v18, v17, vcc_lo
	v_subrev_co_ci_u32_e64 v3, null, s5, v3, vcc_lo
	s_delay_alu instid0(VALU_DEP_3) | instskip(SKIP_1) | instid1(VALU_DEP_3)
	v_sub_co_u32 v14, s0, v13, s4
	v_add_nc_u64_e32 v[16:17], 1, v[10:11]
	v_subrev_co_ci_u32_e64 v3, null, 0, v3, s0
	s_delay_alu instid0(VALU_DEP_3) | instskip(SKIP_1) | instid1(VALU_DEP_3)
	v_cmp_le_u32_e32 vcc_lo, s4, v14
	v_cndmask_b32_e64 v14, 0, -1, vcc_lo
	v_cmp_le_u32_e32 vcc_lo, s5, v3
	v_cndmask_b32_e64 v15, 0, -1, vcc_lo
	;; [unrolled: 2-line block ×4, first 2 shown]
	v_cmp_eq_u32_e32 vcc_lo, s5, v3
	v_cndmask_b32_e32 v3, v15, v14, vcc_lo
	v_cmp_eq_u32_e32 vcc_lo, s5, v18
	v_add_nc_u64_e32 v[14:15], 2, v[10:11]
	v_cndmask_b32_e32 v13, v19, v13, vcc_lo
	s_delay_alu instid0(VALU_DEP_4) | instskip(NEXT) | instid1(VALU_DEP_2)
	v_cmp_ne_u32_e32 vcc_lo, 0, v3
	v_cmp_ne_u32_e64 s0, 0, v13
	s_delay_alu instid0(VALU_DEP_4) | instskip(NEXT) | instid1(VALU_DEP_1)
	v_dual_cndmask_b32 v3, v17, v15, vcc_lo :: v_dual_cndmask_b32 v13, v16, v14, vcc_lo
	v_dual_cndmask_b32 v3, v11, v3, s0 :: v_dual_cndmask_b32 v10, v10, v13, s0
	s_delay_alu instid0(VALU_DEP_1) | instskip(NEXT) | instid1(VALU_DEP_2)
	v_dual_mov_b32 v13, v12 :: v_dual_bitop2_b32 v11, v3, v12 bitop3:0x14
	v_xor_b32_e32 v10, v10, v12
	s_delay_alu instid0(VALU_DEP_1)
	v_sub_nc_u64_e32 v[10:11], v[10:11], v[12:13]
.LBB21_10:                              ;   in Loop: Header=BB21_4 Depth=1
	s_and_not1_saveexec_b32 s0, s1
	s_cbranch_execz .LBB21_12
; %bb.11:                               ;   in Loop: Header=BB21_4 Depth=1
	v_cvt_f32_u32_e32 v3, s18
	s_sub_co_i32 s1, 0, s18
	s_delay_alu instid0(VALU_DEP_1) | instskip(SKIP_1) | instid1(TRANS32_DEP_1)
	v_rcp_iflag_f32_e32 v3, v3
	v_nop
	v_mul_f32_e32 v3, 0x4f7ffffe, v3
	s_delay_alu instid0(VALU_DEP_1) | instskip(NEXT) | instid1(VALU_DEP_1)
	v_cvt_u32_f32_e32 v3, v3
	v_mul_lo_u32 v10, s1, v3
	s_delay_alu instid0(VALU_DEP_1) | instskip(NEXT) | instid1(VALU_DEP_1)
	v_mul_hi_u32 v10, v3, v10
	v_add_nc_u32_e32 v3, v3, v10
	s_delay_alu instid0(VALU_DEP_1) | instskip(NEXT) | instid1(VALU_DEP_1)
	v_mul_hi_u32 v3, v0, v3
	v_mul_lo_u32 v10, v3, s18
	s_delay_alu instid0(VALU_DEP_1) | instskip(NEXT) | instid1(VALU_DEP_1)
	v_dual_add_nc_u32 v11, 1, v3 :: v_dual_sub_nc_u32 v10, v0, v10
	v_subrev_nc_u32_e32 v12, s18, v10
	v_cmp_le_u32_e32 vcc_lo, s18, v10
	s_delay_alu instid0(VALU_DEP_2) | instskip(NEXT) | instid1(VALU_DEP_1)
	v_dual_cndmask_b32 v10, v10, v12 :: v_dual_cndmask_b32 v3, v3, v11
	v_cmp_le_u32_e32 vcc_lo, s18, v10
	s_delay_alu instid0(VALU_DEP_2) | instskip(NEXT) | instid1(VALU_DEP_1)
	v_add_nc_u32_e32 v11, 1, v3
	v_dual_cndmask_b32 v10, v3, v11 :: v_dual_mov_b32 v11, v2
.LBB21_12:                              ;   in Loop: Header=BB21_4 Depth=1
	s_or_b32 exec_lo, exec_lo, s0
	s_delay_alu instid0(VALU_DEP_1) | instskip(SKIP_1) | instid1(VALU_DEP_1)
	v_or_b32_e32 v3, s17, v11
                                        ; implicit-def: $vgpr12_vgpr13
	s_mov_b32 s0, exec_lo
	v_cmpx_ne_u64_e32 0, v[2:3]
	s_xor_b32 s1, exec_lo, s0
	s_cbranch_execz .LBB21_14
; %bb.13:                               ;   in Loop: Header=BB21_4 Depth=1
	s_ashr_i32 s2, s17, 31
	v_dual_mov_b32 v17, v2 :: v_dual_ashrrev_i32 v12, 31, v11
	s_mov_b32 s3, s2
	s_delay_alu instid0(SALU_CYCLE_1) | instskip(NEXT) | instid1(VALU_DEP_1)
	s_add_nc_u64 s[4:5], s[16:17], s[2:3]
	v_mov_b32_e32 v13, v12
	s_xor_b64 s[2:3], s[4:5], s[2:3]
	s_delay_alu instid0(SALU_CYCLE_1)
	s_cvt_f32_u32 s0, s2
	s_cvt_f32_u32 s4, s3
	s_sub_nc_u64 s[68:69], 0, s[2:3]
	v_add_nc_u64_e32 v[14:15], v[10:11], v[12:13]
	v_mov_b32_e32 v21, v2
	s_fmamk_f32 s0, s4, 0x4f800000, s0
	s_delay_alu instid0(SALU_CYCLE_3) | instskip(NEXT) | instid1(VALU_DEP_2)
	v_s_rcp_f32 s0, s0
	v_xor_b32_e32 v16, v14, v12
	s_delay_alu instid0(VALU_DEP_3) | instskip(NEXT) | instid1(TRANS32_DEP_1)
	v_dual_mov_b32 v25, v2 :: v_dual_bitop2_b32 v20, v15, v12 bitop3:0x14
	s_mul_f32 s0, s0, 0x5f7ffffc
	s_delay_alu instid0(SALU_CYCLE_3) | instskip(NEXT) | instid1(SALU_CYCLE_3)
	s_mul_f32 s4, s0, 0x2f800000
	s_trunc_f32 s4, s4
	s_delay_alu instid0(SALU_CYCLE_3) | instskip(SKIP_1) | instid1(SALU_CYCLE_2)
	s_fmamk_f32 s0, s4, 0xcf800000, s0
	s_cvt_u32_f32 s5, s4
	s_cvt_u32_f32 s4, s0
	s_delay_alu instid0(SALU_CYCLE_3) | instskip(NEXT) | instid1(SALU_CYCLE_1)
	s_mul_u64 s[70:71], s[68:69], s[4:5]
	s_mul_hi_u32 s73, s4, s71
	s_mul_i32 s72, s4, s71
	s_mul_hi_u32 s22, s4, s70
	s_mul_i32 s67, s5, s70
	s_add_nc_u64 s[72:73], s[22:23], s[72:73]
	s_mul_hi_u32 s0, s5, s70
	s_mul_hi_u32 s74, s5, s71
	s_add_co_u32 s22, s72, s67
	s_add_co_ci_u32 s22, s73, s0
	s_mul_i32 s70, s5, s71
	s_add_co_ci_u32 s71, s74, 0
	s_delay_alu instid0(SALU_CYCLE_1) | instskip(NEXT) | instid1(SALU_CYCLE_1)
	s_add_nc_u64 s[70:71], s[22:23], s[70:71]
	s_add_co_u32 s4, s4, s70
	s_cselect_b32 s0, -1, 0
	s_delay_alu instid0(SALU_CYCLE_1) | instskip(SKIP_1) | instid1(SALU_CYCLE_1)
	s_cmp_lg_u32 s0, 0
	s_add_co_ci_u32 s5, s5, s71
	s_mul_u64 s[68:69], s[68:69], s[4:5]
	s_delay_alu instid0(SALU_CYCLE_1)
	s_mul_hi_u32 s71, s4, s69
	s_mul_i32 s70, s4, s69
	s_mul_hi_u32 s22, s4, s68
	s_mul_i32 s67, s5, s68
	s_add_nc_u64 s[70:71], s[22:23], s[70:71]
	s_mul_hi_u32 s0, s5, s68
	s_mul_hi_u32 s72, s5, s69
	s_add_co_u32 s22, s70, s67
	s_add_co_ci_u32 s22, s71, s0
	s_mul_i32 s68, s5, s69
	s_add_co_ci_u32 s69, s72, 0
	s_delay_alu instid0(SALU_CYCLE_1) | instskip(NEXT) | instid1(SALU_CYCLE_1)
	s_add_nc_u64 s[68:69], s[22:23], s[68:69]
	s_add_co_u32 s0, s4, s68
	s_cselect_b32 s4, -1, 0
	v_mul_hi_u32 v24, v16, s0
	s_cmp_lg_u32 s4, 0
	s_add_co_ci_u32 s22, s5, s69
	s_and_b64 s[4:5], s[0:1], s[60:61]
	v_mul_u64_e32 v[18:19], s[22:23], v[16:17]
	v_mul_u64_e32 v[14:15], s[4:5], v[20:21]
	;; [unrolled: 1-line block ×3, first 2 shown]
	s_delay_alu instid0(VALU_DEP_3) | instskip(NEXT) | instid1(VALU_DEP_1)
	v_add_nc_u64_e32 v[18:19], v[24:25], v[18:19]
	v_add_co_u32 v3, vcc_lo, v18, v14
	s_delay_alu instid0(VALU_DEP_2) | instskip(NEXT) | instid1(VALU_DEP_4)
	v_add_co_ci_u32_e32 v24, vcc_lo, v19, v15, vcc_lo
	v_add_co_ci_u32_e32 v23, vcc_lo, 0, v23, vcc_lo
	s_delay_alu instid0(VALU_DEP_1) | instskip(NEXT) | instid1(VALU_DEP_1)
	v_add_nc_u64_e32 v[14:15], v[24:25], v[22:23]
	v_mul_u64_e32 v[14:15], s[2:3], v[14:15]
	s_delay_alu instid0(VALU_DEP_1) | instskip(NEXT) | instid1(VALU_DEP_2)
	v_sub_nc_u32_e32 v3, v20, v15
	v_sub_co_u32 v14, vcc_lo, v16, v14
	s_delay_alu instid0(VALU_DEP_1) | instskip(NEXT) | instid1(VALU_DEP_3)
	v_sub_co_ci_u32_e64 v15, null, v20, v15, vcc_lo
	v_subrev_co_ci_u32_e64 v3, null, s3, v3, vcc_lo
	s_delay_alu instid0(VALU_DEP_3) | instskip(SKIP_1) | instid1(VALU_DEP_3)
	v_sub_co_u32 v16, vcc_lo, v14, s2
	v_cmp_le_u32_e64 s0, s2, v14
	v_subrev_co_ci_u32_e64 v17, null, 0, v3, vcc_lo
	v_subrev_co_ci_u32_e64 v3, null, s3, v3, vcc_lo
	s_delay_alu instid0(VALU_DEP_3) | instskip(SKIP_2) | instid1(VALU_DEP_2)
	v_cndmask_b32_e64 v18, 0, -1, s0
	v_cmp_le_u32_e64 s0, s2, v16
	v_cmp_le_u32_e32 vcc_lo, s3, v15
	v_cndmask_b32_e64 v19, 0, -1, s0
	v_cmp_le_u32_e64 s0, s3, v17
	v_cndmask_b32_e64 v21, 0, -1, vcc_lo
	v_cmp_eq_u32_e32 vcc_lo, s3, v17
	s_delay_alu instid0(VALU_DEP_3) | instskip(SKIP_1) | instid1(VALU_DEP_1)
	v_cndmask_b32_e64 v20, 0, -1, s0
	v_cmp_eq_u32_e64 s0, s3, v15
	v_dual_cndmask_b32 v19, v20, v19, vcc_lo :: v_dual_cndmask_b32 v18, v21, v18, s0
	v_sub_co_u32 v20, vcc_lo, v16, s2
	s_delay_alu instid0(VALU_DEP_1) | instskip(NEXT) | instid1(VALU_DEP_3)
	v_subrev_co_ci_u32_e64 v3, null, 0, v3, vcc_lo
	v_cmp_ne_u32_e32 vcc_lo, 0, v19
	s_delay_alu instid0(VALU_DEP_2) | instskip(SKIP_1) | instid1(VALU_DEP_2)
	v_dual_cndmask_b32 v3, v17, v3 :: v_dual_cndmask_b32 v16, v16, v20
	v_cmp_ne_u32_e32 vcc_lo, 0, v18
	v_dual_cndmask_b32 v3, v15, v3 :: v_dual_cndmask_b32 v14, v14, v16
	s_delay_alu instid0(VALU_DEP_1) | instskip(NEXT) | instid1(VALU_DEP_2)
	v_xor_b32_e32 v15, v3, v12
	v_xor_b32_e32 v14, v14, v12
	s_delay_alu instid0(VALU_DEP_1)
	v_sub_nc_u64_e32 v[12:13], v[14:15], v[12:13]
.LBB21_14:                              ;   in Loop: Header=BB21_4 Depth=1
	s_and_not1_saveexec_b32 s0, s1
	s_cbranch_execz .LBB21_16
; %bb.15:                               ;   in Loop: Header=BB21_4 Depth=1
	v_cvt_f32_u32_e32 v3, s16
	s_sub_co_i32 s1, 0, s16
	v_mov_b32_e32 v13, v2
	s_delay_alu instid0(VALU_DEP_2) | instskip(SKIP_1) | instid1(TRANS32_DEP_1)
	v_rcp_iflag_f32_e32 v3, v3
	v_nop
	v_mul_f32_e32 v3, 0x4f7ffffe, v3
	s_delay_alu instid0(VALU_DEP_1) | instskip(NEXT) | instid1(VALU_DEP_1)
	v_cvt_u32_f32_e32 v3, v3
	v_mul_lo_u32 v12, s1, v3
	s_delay_alu instid0(VALU_DEP_1) | instskip(NEXT) | instid1(VALU_DEP_1)
	v_mul_hi_u32 v12, v3, v12
	v_add_nc_u32_e32 v3, v3, v12
	s_delay_alu instid0(VALU_DEP_1) | instskip(NEXT) | instid1(VALU_DEP_1)
	v_mul_hi_u32 v3, v10, v3
	v_mul_lo_u32 v3, v3, s16
	s_delay_alu instid0(VALU_DEP_1) | instskip(NEXT) | instid1(VALU_DEP_1)
	v_sub_nc_u32_e32 v3, v10, v3
	v_subrev_nc_u32_e32 v12, s16, v3
	v_cmp_le_u32_e32 vcc_lo, s16, v3
	s_delay_alu instid0(VALU_DEP_2) | instskip(NEXT) | instid1(VALU_DEP_1)
	v_cndmask_b32_e32 v3, v3, v12, vcc_lo
	v_subrev_nc_u32_e32 v12, s16, v3
	v_cmp_le_u32_e32 vcc_lo, s16, v3
	s_delay_alu instid0(VALU_DEP_2)
	v_cndmask_b32_e32 v12, v3, v12, vcc_lo
.LBB21_16:                              ;   in Loop: Header=BB21_4 Depth=1
	s_or_b32 exec_lo, exec_lo, s0
	v_mad_nc_u64_u32 v[14:15], s64, v10, v[0:1]
                                        ; implicit-def: $vgpr16_vgpr17
	s_mov_b32 s0, exec_lo
	s_delay_alu instid0(VALU_DEP_1) | instskip(NEXT) | instid1(VALU_DEP_1)
	v_mad_u32 v3, s65, v10, v15
	v_mad_u32 v15, s64, v11, v3
	s_delay_alu instid0(VALU_DEP_1) | instskip(NEXT) | instid1(VALU_DEP_1)
	v_or_b32_e32 v3, s13, v15
	v_cmpx_ne_u64_e32 0, v[2:3]
	s_xor_b32 s1, exec_lo, s0
	s_cbranch_execz .LBB21_18
; %bb.17:                               ;   in Loop: Header=BB21_4 Depth=1
	s_ashr_i32 s2, s13, 31
	v_dual_mov_b32 v19, v2 :: v_dual_ashrrev_i32 v16, 31, v15
	s_mov_b32 s3, s2
	v_mov_b32_e32 v27, v2
	s_add_nc_u64 s[4:5], s[12:13], s[2:3]
	s_delay_alu instid0(VALU_DEP_2) | instskip(SKIP_1) | instid1(SALU_CYCLE_1)
	v_mov_b32_e32 v17, v16
	s_xor_b64 s[4:5], s[4:5], s[2:3]
	s_cvt_f32_u32 s0, s4
	s_cvt_f32_u32 s3, s5
	s_sub_nc_u64 s[70:71], 0, s[4:5]
	v_add_nc_u64_e32 v[14:15], v[14:15], v[16:17]
	v_mov_b32_e32 v23, v2
	s_fmamk_f32 s0, s3, 0x4f800000, s0
	s_delay_alu instid0(SALU_CYCLE_3) | instskip(NEXT) | instid1(VALU_DEP_2)
	v_s_rcp_f32 s0, s0
	v_xor_b32_e32 v18, v14, v16
	s_delay_alu instid0(VALU_DEP_3) | instskip(NEXT) | instid1(TRANS32_DEP_1)
	v_xor_b32_e32 v22, v15, v16
	s_mul_f32 s0, s0, 0x5f7ffffc
	s_delay_alu instid0(SALU_CYCLE_3) | instskip(NEXT) | instid1(SALU_CYCLE_3)
	s_mul_f32 s3, s0, 0x2f800000
	s_trunc_f32 s3, s3
	s_delay_alu instid0(SALU_CYCLE_3) | instskip(SKIP_1) | instid1(SALU_CYCLE_2)
	s_fmamk_f32 s0, s3, 0xcf800000, s0
	s_cvt_u32_f32 s69, s3
	s_cvt_u32_f32 s68, s0
	s_delay_alu instid0(SALU_CYCLE_3) | instskip(NEXT) | instid1(SALU_CYCLE_1)
	s_mul_u64 s[72:73], s[70:71], s[68:69]
	s_mul_hi_u32 s75, s68, s73
	s_mul_i32 s74, s68, s73
	s_mul_hi_u32 s22, s68, s72
	s_mul_i32 s3, s69, s72
	s_add_nc_u64 s[74:75], s[22:23], s[74:75]
	s_mul_hi_u32 s0, s69, s72
	s_mul_hi_u32 s67, s69, s73
	s_add_co_u32 s3, s74, s3
	s_add_co_ci_u32 s22, s75, s0
	s_mul_i32 s72, s69, s73
	s_add_co_ci_u32 s73, s67, 0
	s_delay_alu instid0(SALU_CYCLE_1) | instskip(NEXT) | instid1(SALU_CYCLE_1)
	s_add_nc_u64 s[72:73], s[22:23], s[72:73]
	s_add_co_u32 s68, s68, s72
	s_cselect_b32 s0, -1, 0
	s_delay_alu instid0(SALU_CYCLE_1) | instskip(SKIP_1) | instid1(SALU_CYCLE_1)
	s_cmp_lg_u32 s0, 0
	s_add_co_ci_u32 s69, s69, s73
	s_mul_u64 s[70:71], s[70:71], s[68:69]
	s_delay_alu instid0(SALU_CYCLE_1)
	s_mul_hi_u32 s73, s68, s71
	s_mul_i32 s72, s68, s71
	s_mul_hi_u32 s22, s68, s70
	s_mul_i32 s3, s69, s70
	s_add_nc_u64 s[72:73], s[22:23], s[72:73]
	s_mul_hi_u32 s0, s69, s70
	s_mul_hi_u32 s67, s69, s71
	s_add_co_u32 s3, s72, s3
	s_add_co_ci_u32 s22, s73, s0
	s_mul_i32 s70, s69, s71
	s_add_co_ci_u32 s71, s67, 0
	s_delay_alu instid0(SALU_CYCLE_1) | instskip(NEXT) | instid1(SALU_CYCLE_1)
	s_add_nc_u64 s[70:71], s[22:23], s[70:71]
	s_add_co_u32 s0, s68, s70
	s_cselect_b32 s3, -1, 0
	v_mul_hi_u32 v26, v18, s0
	s_cmp_lg_u32 s3, 0
	s_add_co_ci_u32 s22, s69, s71
	s_and_b64 s[68:69], s[0:1], s[60:61]
	v_mul_u64_e32 v[20:21], s[22:23], v[18:19]
	v_mul_u64_e32 v[14:15], s[68:69], v[22:23]
	v_mul_u64_e32 v[24:25], s[22:23], v[22:23]
	s_delay_alu instid0(VALU_DEP_3) | instskip(NEXT) | instid1(VALU_DEP_1)
	v_add_nc_u64_e32 v[20:21], v[26:27], v[20:21]
	v_add_co_u32 v3, vcc_lo, v20, v14
	s_delay_alu instid0(VALU_DEP_2) | instskip(NEXT) | instid1(VALU_DEP_4)
	v_add_co_ci_u32_e32 v26, vcc_lo, v21, v15, vcc_lo
	v_add_co_ci_u32_e32 v25, vcc_lo, 0, v25, vcc_lo
	s_delay_alu instid0(VALU_DEP_1) | instskip(NEXT) | instid1(VALU_DEP_1)
	v_add_nc_u64_e32 v[14:15], v[26:27], v[24:25]
	v_mul_u64_e32 v[20:21], s[4:5], v[14:15]
	s_delay_alu instid0(VALU_DEP_1) | instskip(NEXT) | instid1(VALU_DEP_2)
	v_sub_nc_u32_e32 v3, v22, v21
	v_sub_co_u32 v17, vcc_lo, v18, v20
	s_delay_alu instid0(VALU_DEP_1) | instskip(NEXT) | instid1(VALU_DEP_3)
	v_sub_co_ci_u32_e64 v22, null, v22, v21, vcc_lo
	v_subrev_co_ci_u32_e64 v3, null, s5, v3, vcc_lo
	s_delay_alu instid0(VALU_DEP_3) | instskip(SKIP_1) | instid1(VALU_DEP_3)
	v_sub_co_u32 v18, s0, v17, s4
	v_add_nc_u64_e32 v[20:21], 1, v[14:15]
	v_subrev_co_ci_u32_e64 v3, null, 0, v3, s0
	s_delay_alu instid0(VALU_DEP_3) | instskip(SKIP_1) | instid1(VALU_DEP_3)
	v_cmp_le_u32_e32 vcc_lo, s4, v18
	v_cndmask_b32_e64 v18, 0, -1, vcc_lo
	v_cmp_le_u32_e32 vcc_lo, s5, v3
	v_cndmask_b32_e64 v19, 0, -1, vcc_lo
	;; [unrolled: 2-line block ×4, first 2 shown]
	v_cmp_eq_u32_e32 vcc_lo, s5, v3
	v_cndmask_b32_e32 v3, v19, v18, vcc_lo
	v_cmp_eq_u32_e32 vcc_lo, s5, v22
	v_add_nc_u64_e32 v[18:19], 2, v[14:15]
	v_cndmask_b32_e32 v17, v23, v17, vcc_lo
	s_delay_alu instid0(VALU_DEP_4) | instskip(NEXT) | instid1(VALU_DEP_3)
	v_cmp_ne_u32_e32 vcc_lo, 0, v3
	v_cndmask_b32_e32 v3, v21, v19, vcc_lo
	s_delay_alu instid0(VALU_DEP_3) | instskip(SKIP_1) | instid1(VALU_DEP_1)
	v_cmp_ne_u32_e64 s0, 0, v17
	v_dual_cndmask_b32 v17, v20, v18, vcc_lo :: v_dual_bitop2_b32 v16, s2, v16 bitop3:0x14
	v_dual_cndmask_b32 v3, v15, v3, s0 :: v_dual_cndmask_b32 v14, v14, v17, s0
	s_delay_alu instid0(VALU_DEP_1) | instskip(NEXT) | instid1(VALU_DEP_2)
	v_dual_mov_b32 v17, v16 :: v_dual_bitop2_b32 v15, v3, v16 bitop3:0x14
	v_xor_b32_e32 v14, v14, v16
	s_delay_alu instid0(VALU_DEP_1)
	v_sub_nc_u64_e32 v[16:17], v[14:15], v[16:17]
                                        ; implicit-def: $vgpr14_vgpr15
.LBB21_18:                              ;   in Loop: Header=BB21_4 Depth=1
	s_and_not1_saveexec_b32 s0, s1
	s_cbranch_execz .LBB21_20
; %bb.19:                               ;   in Loop: Header=BB21_4 Depth=1
	v_cvt_f32_u32_e32 v3, s12
	s_sub_co_i32 s1, 0, s12
	v_mov_b32_e32 v17, v2
	s_delay_alu instid0(VALU_DEP_2) | instskip(SKIP_1) | instid1(TRANS32_DEP_1)
	v_rcp_iflag_f32_e32 v3, v3
	v_nop
	v_mul_f32_e32 v3, 0x4f7ffffe, v3
	s_delay_alu instid0(VALU_DEP_1) | instskip(NEXT) | instid1(VALU_DEP_1)
	v_cvt_u32_f32_e32 v3, v3
	v_mul_lo_u32 v15, s1, v3
	s_delay_alu instid0(VALU_DEP_1) | instskip(NEXT) | instid1(VALU_DEP_1)
	v_mul_hi_u32 v15, v3, v15
	v_add_nc_u32_e32 v3, v3, v15
	s_delay_alu instid0(VALU_DEP_1) | instskip(NEXT) | instid1(VALU_DEP_1)
	v_mul_hi_u32 v3, v14, v3
	v_mul_lo_u32 v15, v3, s12
	s_delay_alu instid0(VALU_DEP_1) | instskip(SKIP_1) | instid1(VALU_DEP_2)
	v_sub_nc_u32_e32 v14, v14, v15
	v_add_nc_u32_e32 v15, 1, v3
	v_subrev_nc_u32_e32 v16, s12, v14
	v_cmp_le_u32_e32 vcc_lo, s12, v14
	s_delay_alu instid0(VALU_DEP_2) | instskip(NEXT) | instid1(VALU_DEP_1)
	v_dual_cndmask_b32 v14, v14, v16 :: v_dual_cndmask_b32 v3, v3, v15
	v_cmp_le_u32_e32 vcc_lo, s12, v14
	s_delay_alu instid0(VALU_DEP_2) | instskip(NEXT) | instid1(VALU_DEP_1)
	v_add_nc_u32_e32 v15, 1, v3
	v_cndmask_b32_e32 v16, v3, v15, vcc_lo
.LBB21_20:                              ;   in Loop: Header=BB21_4 Depth=1
	s_or_b32 exec_lo, exec_lo, s0
	v_mul_u64_e32 v[14:15], s[52:53], v[10:11]
	v_mul_u64_e32 v[20:21], s[18:19], v[10:11]
	s_delay_alu instid0(VALU_DEP_3)
	v_mul_u64_e32 v[24:25], s[12:13], v[16:17]
	v_cmp_lt_i64_e32 vcc_lo, 0, v[16:17]
	v_cmp_ge_i64_e64 s0, s[6:7], v[16:17]
	v_mov_b32_e32 v3, 0
	s_and_b32 s0, vcc_lo, s0
	v_sub_nc_u64_e32 v[14:15], v[14:15], v[16:17]
	v_sub_nc_u64_e32 v[20:21], v[0:1], v[20:21]
	s_delay_alu instid0(VALU_DEP_2) | instskip(NEXT) | instid1(VALU_DEP_2)
	v_mul_u64_e32 v[18:19], s[12:13], v[14:15]
	v_sub_nc_u64_e32 v[20:21], v[20:21], v[24:25]
	s_delay_alu instid0(VALU_DEP_2) | instskip(SKIP_1) | instid1(VALU_DEP_2)
	v_add_nc_u64_e32 v[22:23], v[0:1], v[18:19]
	v_cmp_eq_u64_e64 s1, v[18:19], v[4:5]
	v_cmp_lt_i64_e64 s2, s[30:31], v[22:23]
	v_cmp_gt_i64_e64 s3, s[24:25], v[22:23]
	v_cmp_le_i64_e64 s4, s[40:41], v[22:23]
	v_add_nc_u64_e32 v[22:23], s[30:31], v[0:1]
	s_or_b32 s2, s1, s2
	s_and_b32 s1, s3, s4
	s_and_saveexec_b32 s3, s0
	s_cbranch_execz .LBB21_28
; %bb.21:                               ;   in Loop: Header=BB21_4 Depth=1
	v_sub_nc_u64_e32 v[24:25], s[6:7], v[16:17]
	v_mov_b32_e32 v3, 0
	s_mov_b32 s0, exec_lo
	s_delay_alu instid0(VALU_DEP_2) | instskip(NEXT) | instid1(VALU_DEP_1)
	v_mul_u64_e32 v[24:25], s[36:37], v[24:25]
	v_add_nc_u64_e32 v[26:27], v[18:19], v[24:25]
	s_delay_alu instid0(VALU_DEP_1) | instskip(NEXT) | instid1(VALU_DEP_1)
	v_add_nc_u64_e32 v[26:27], v[22:23], v[26:27]
	v_cmpx_gt_i64_e64 s[42:43], v[26:27]
	s_cbranch_execz .LBB21_23
; %bb.22:                               ;   in Loop: Header=BB21_4 Depth=1
	v_mul_u64_e32 v[30:31], s[46:47], v[8:9]
	v_mul_u64_e32 v[32:33], s[42:43], v[12:13]
	s_delay_alu instid0(VALU_DEP_2) | instskip(NEXT) | instid1(VALU_DEP_1)
	v_lshl_add_u64 v[30:31], v[30:31], 1, s[10:11]
	v_lshl_add_u64 v[30:31], v[32:33], 1, v[30:31]
	s_delay_alu instid0(VALU_DEP_1) | instskip(SKIP_4) | instid1(VALU_DEP_1)
	v_lshl_add_u64 v[26:27], v[26:27], 1, v[30:31]
	global_load_u16 v3, v[26:27], off
	s_wait_loadcnt 0x0
	v_lshlrev_b32_e32 v3, 16, v3
	s_wait_xcnt 0x0
	v_add_f32_e32 v26, 0, v3
	s_delay_alu instid0(VALU_DEP_1) | instskip(NEXT) | instid1(VALU_DEP_1)
	v_bfe_u32 v27, v26, 16, 1
	v_add3_u32 v26, v26, v27, 0x7fff
	s_delay_alu instid0(VALU_DEP_1) | instskip(SKIP_1) | instid1(VALU_DEP_2)
	v_lshrrev_b32_e32 v26, 16, v26
	v_cmp_o_f32_e32 vcc_lo, v3, v3
	v_cndmask_b32_e32 v3, 0x7fc0, v26, vcc_lo
.LBB21_23:                              ;   in Loop: Header=BB21_4 Depth=1
	s_or_b32 exec_lo, exec_lo, s0
	s_mov_b32 s5, 0
                                        ; implicit-def: $vgpr26_vgpr27
	s_and_saveexec_b32 s0, s2
	s_delay_alu instid0(SALU_CYCLE_1)
	s_xor_b32 s4, exec_lo, s0
	s_cbranch_execnz .LBB21_45
; %bb.24:                               ;   in Loop: Header=BB21_4 Depth=1
	s_and_not1_saveexec_b32 s4, s4
	s_cbranch_execnz .LBB21_48
.LBB21_25:                              ;   in Loop: Header=BB21_4 Depth=1
	s_or_b32 exec_lo, exec_lo, s4
	s_and_saveexec_b32 s0, s5
	s_cbranch_execz .LBB21_27
.LBB21_26:                              ;   in Loop: Header=BB21_4 Depth=1
	v_mul_u64_e32 v[24:25], s[46:47], v[8:9]
	v_mul_u64_e32 v[30:31], s[42:43], v[12:13]
	v_lshlrev_b32_e32 v3, 16, v3
	s_delay_alu instid0(VALU_DEP_3) | instskip(NEXT) | instid1(VALU_DEP_1)
	v_lshl_add_u64 v[24:25], v[24:25], 1, s[10:11]
	v_lshl_add_u64 v[24:25], v[30:31], 1, v[24:25]
	s_delay_alu instid0(VALU_DEP_1) | instskip(SKIP_4) | instid1(VALU_DEP_1)
	v_lshl_add_u64 v[24:25], v[26:27], 1, v[24:25]
	global_load_u16 v24, v[24:25], off
	s_wait_loadcnt 0x0
	s_wait_xcnt 0x0
	v_lshlrev_b32_e32 v24, 16, v24
	v_add_f32_e32 v3, v24, v3
	s_delay_alu instid0(VALU_DEP_1) | instskip(NEXT) | instid1(VALU_DEP_1)
	v_bfe_u32 v24, v3, 16, 1
	v_add3_u32 v24, v3, v24, 0x7fff
	s_delay_alu instid0(VALU_DEP_1) | instskip(SKIP_1) | instid1(VALU_DEP_2)
	v_lshrrev_b32_e32 v24, 16, v24
	v_cmp_o_f32_e32 vcc_lo, v3, v3
	v_cndmask_b32_e32 v3, 0x7fc0, v24, vcc_lo
.LBB21_27:                              ;   in Loop: Header=BB21_4 Depth=1
	s_or_b32 exec_lo, exec_lo, s0
.LBB21_28:                              ;   in Loop: Header=BB21_4 Depth=1
	s_delay_alu instid0(SALU_CYCLE_1) | instskip(SKIP_3) | instid1(SALU_CYCLE_1)
	s_or_b32 exec_lo, exec_lo, s3
	v_cmp_gt_i64_e32 vcc_lo, s[28:29], v[16:17]
	v_cmp_le_i64_e64 s0, s[38:39], v[16:17]
	s_and_b32 s0, vcc_lo, s0
	s_and_saveexec_b32 s3, s0
	s_cbranch_execz .LBB21_36
; %bb.29:                               ;   in Loop: Header=BB21_4 Depth=1
	v_sub_nc_u64_e32 v[24:25], s[48:49], v[16:17]
	s_delay_alu instid0(VALU_DEP_1) | instskip(NEXT) | instid1(VALU_DEP_1)
	v_mul_u64_e32 v[24:25], s[36:37], v[24:25]
	v_add_nc_u64_e32 v[26:27], v[24:25], v[18:19]
	s_delay_alu instid0(VALU_DEP_1) | instskip(NEXT) | instid1(VALU_DEP_1)
	v_add_nc_u64_e32 v[22:23], v[22:23], v[26:27]
	v_cmp_lt_i64_e32 vcc_lo, -1, v[22:23]
	v_cmp_gt_i64_e64 s0, s[42:43], v[22:23]
	s_and_b32 s4, vcc_lo, s0
	s_delay_alu instid0(SALU_CYCLE_1)
	s_and_saveexec_b32 s0, s4
	s_cbranch_execz .LBB21_31
; %bb.30:                               ;   in Loop: Header=BB21_4 Depth=1
	v_mul_u64_e32 v[26:27], s[46:47], v[8:9]
	v_mul_u64_e32 v[30:31], s[42:43], v[12:13]
	v_lshlrev_b32_e32 v3, 16, v3
	s_delay_alu instid0(VALU_DEP_3) | instskip(NEXT) | instid1(VALU_DEP_1)
	v_lshl_add_u64 v[26:27], v[26:27], 1, s[10:11]
	v_lshl_add_u64 v[26:27], v[30:31], 1, v[26:27]
	s_delay_alu instid0(VALU_DEP_1) | instskip(SKIP_4) | instid1(VALU_DEP_1)
	v_lshl_add_u64 v[22:23], v[22:23], 1, v[26:27]
	global_load_u16 v22, v[22:23], off
	s_wait_loadcnt 0x0
	s_wait_xcnt 0x0
	v_lshlrev_b32_e32 v22, 16, v22
	v_add_f32_e32 v3, v22, v3
	s_delay_alu instid0(VALU_DEP_1) | instskip(NEXT) | instid1(VALU_DEP_1)
	v_bfe_u32 v22, v3, 16, 1
	v_add3_u32 v22, v3, v22, 0x7fff
	s_delay_alu instid0(VALU_DEP_1) | instskip(SKIP_1) | instid1(VALU_DEP_2)
	v_lshrrev_b32_e32 v22, 16, v22
	v_cmp_o_f32_e32 vcc_lo, v3, v3
	v_cndmask_b32_e32 v3, 0x7fc0, v22, vcc_lo
.LBB21_31:                              ;   in Loop: Header=BB21_4 Depth=1
	s_or_b32 exec_lo, exec_lo, s0
	s_mov_b32 s5, 0
                                        ; implicit-def: $vgpr22_vgpr23
	s_and_saveexec_b32 s0, s2
	s_delay_alu instid0(SALU_CYCLE_1)
	s_xor_b32 s4, exec_lo, s0
	s_cbranch_execnz .LBB21_49
; %bb.32:                               ;   in Loop: Header=BB21_4 Depth=1
	s_and_not1_saveexec_b32 s4, s4
	s_cbranch_execnz .LBB21_52
.LBB21_33:                              ;   in Loop: Header=BB21_4 Depth=1
	s_or_b32 exec_lo, exec_lo, s4
	s_and_saveexec_b32 s0, s5
	s_cbranch_execz .LBB21_35
.LBB21_34:                              ;   in Loop: Header=BB21_4 Depth=1
	v_mul_u64_e32 v[20:21], s[46:47], v[8:9]
	v_mul_u64_e32 v[24:25], s[42:43], v[12:13]
	v_lshlrev_b32_e32 v3, 16, v3
	s_delay_alu instid0(VALU_DEP_3) | instskip(NEXT) | instid1(VALU_DEP_1)
	v_lshl_add_u64 v[20:21], v[20:21], 1, s[10:11]
	v_lshl_add_u64 v[20:21], v[24:25], 1, v[20:21]
	s_delay_alu instid0(VALU_DEP_1) | instskip(SKIP_4) | instid1(VALU_DEP_1)
	v_lshl_add_u64 v[20:21], v[22:23], 1, v[20:21]
	global_load_u16 v20, v[20:21], off
	s_wait_loadcnt 0x0
	s_wait_xcnt 0x0
	v_lshlrev_b32_e32 v20, 16, v20
	v_add_f32_e32 v3, v20, v3
	s_delay_alu instid0(VALU_DEP_1) | instskip(NEXT) | instid1(VALU_DEP_1)
	v_bfe_u32 v20, v3, 16, 1
	v_add3_u32 v20, v3, v20, 0x7fff
	s_delay_alu instid0(VALU_DEP_1) | instskip(SKIP_1) | instid1(VALU_DEP_2)
	v_lshrrev_b32_e32 v20, 16, v20
	v_cmp_o_f32_e32 vcc_lo, v3, v3
	v_cndmask_b32_e32 v3, 0x7fc0, v20, vcc_lo
.LBB21_35:                              ;   in Loop: Header=BB21_4 Depth=1
	s_or_b32 exec_lo, exec_lo, s0
.LBB21_36:                              ;   in Loop: Header=BB21_4 Depth=1
	s_delay_alu instid0(SALU_CYCLE_1) | instskip(SKIP_1) | instid1(VALU_DEP_1)
	s_or_b32 exec_lo, exec_lo, s3
	v_add_nc_u64_e32 v[22:23], s[6:7], v[16:17]
	v_mul_u64_e32 v[20:21], s[36:37], v[22:23]
	s_and_saveexec_b32 s0, s2
	s_delay_alu instid0(SALU_CYCLE_1)
	s_xor_b32 s0, exec_lo, s0
	s_cbranch_execnz .LBB21_39
; %bb.37:                               ;   in Loop: Header=BB21_4 Depth=1
	s_or_saveexec_b32 s2, s0
	v_add_nc_u64_e32 v[22:23], s[30:31], v[4:5]
	s_xor_b32 exec_lo, exec_lo, s2
	s_cbranch_execnz .LBB21_40
.LBB21_38:                              ;   in Loop: Header=BB21_4 Depth=1
	s_or_b32 exec_lo, exec_lo, s2
	s_and_saveexec_b32 s2, s1
	s_cbranch_execz .LBB21_3
	s_branch .LBB21_43
.LBB21_39:                              ;   in Loop: Header=BB21_4 Depth=1
	v_mul_u64_e32 v[20:21], s[36:37], v[22:23]
                                        ; implicit-def: $vgpr18_vgpr19
	s_or_saveexec_b32 s2, s0
	v_add_nc_u64_e32 v[22:23], s[30:31], v[4:5]
	s_xor_b32 exec_lo, exec_lo, s2
	s_cbranch_execz .LBB21_38
.LBB21_40:                              ;   in Loop: Header=BB21_4 Depth=1
	s_delay_alu instid0(VALU_DEP_2) | instskip(NEXT) | instid1(VALU_DEP_1)
	v_sub_nc_u64_e32 v[18:19], v[20:21], v[18:19]
	v_add_nc_u64_e32 v[18:19], v[22:23], v[18:19]
	s_delay_alu instid0(VALU_DEP_1) | instskip(SKIP_2) | instid1(SALU_CYCLE_1)
	v_cmp_lt_i64_e32 vcc_lo, -1, v[18:19]
	v_cmp_gt_i64_e64 s0, s[42:43], v[18:19]
	s_and_b32 s3, vcc_lo, s0
	s_and_saveexec_b32 s0, s3
	s_cbranch_execz .LBB21_42
; %bb.41:                               ;   in Loop: Header=BB21_4 Depth=1
	v_mul_u64_e32 v[24:25], s[46:47], v[8:9]
	v_mul_u64_e32 v[26:27], s[42:43], v[12:13]
	v_lshlrev_b32_e32 v3, 16, v3
	s_delay_alu instid0(VALU_DEP_3) | instskip(NEXT) | instid1(VALU_DEP_1)
	v_lshl_add_u64 v[24:25], v[24:25], 1, s[10:11]
	v_lshl_add_u64 v[24:25], v[26:27], 1, v[24:25]
	s_delay_alu instid0(VALU_DEP_1) | instskip(SKIP_4) | instid1(VALU_DEP_1)
	v_lshl_add_u64 v[18:19], v[18:19], 1, v[24:25]
	global_load_u16 v18, v[18:19], off
	s_wait_loadcnt 0x0
	s_wait_xcnt 0x0
	v_lshlrev_b32_e32 v18, 16, v18
	v_add_f32_e32 v3, v18, v3
	s_delay_alu instid0(VALU_DEP_1) | instskip(NEXT) | instid1(VALU_DEP_1)
	v_bfe_u32 v18, v3, 16, 1
	v_add3_u32 v18, v3, v18, 0x7fff
	s_delay_alu instid0(VALU_DEP_1) | instskip(SKIP_1) | instid1(VALU_DEP_2)
	v_lshrrev_b32_e32 v18, 16, v18
	v_cmp_o_f32_e32 vcc_lo, v3, v3
	v_cndmask_b32_e32 v3, 0x7fc0, v18, vcc_lo
.LBB21_42:                              ;   in Loop: Header=BB21_4 Depth=1
	s_or_b32 exec_lo, exec_lo, s0
	s_delay_alu instid0(SALU_CYCLE_1)
	s_or_b32 exec_lo, exec_lo, s2
	s_and_saveexec_b32 s2, s1
	s_cbranch_execz .LBB21_3
.LBB21_43:                              ;   in Loop: Header=BB21_4 Depth=1
	v_mad_nc_u64_u32 v[16:17], s14, v10, v[16:17]
	s_delay_alu instid0(VALU_DEP_1) | instskip(NEXT) | instid1(VALU_DEP_1)
	v_mad_u32 v10, s15, v10, v17
	v_mad_u32 v17, s14, v11, v10
	s_delay_alu instid0(VALU_DEP_1) | instskip(NEXT) | instid1(VALU_DEP_1)
	v_add_nc_u64_e32 v[10:11], 2, v[16:17]
	v_mad_nc_u64_u32 v[16:17], s12, v10, v[20:21]
	s_delay_alu instid0(VALU_DEP_1) | instskip(NEXT) | instid1(VALU_DEP_1)
	v_mad_u32 v10, s13, v10, v17
	v_mad_u32 v17, s12, v11, v10
	s_delay_alu instid0(VALU_DEP_1) | instskip(NEXT) | instid1(VALU_DEP_1)
	v_add_nc_u64_e32 v[10:11], v[22:23], v[16:17]
	v_add_nc_u64_e32 v[10:11], -2, v[10:11]
	s_delay_alu instid0(VALU_DEP_1) | instskip(SKIP_2) | instid1(SALU_CYCLE_1)
	v_cmp_lt_i64_e32 vcc_lo, -1, v[10:11]
	v_cmp_gt_i64_e64 s0, s[42:43], v[10:11]
	s_and_b32 s1, vcc_lo, s0
	s_and_saveexec_b32 s0, s1
	s_cbranch_execz .LBB21_2
; %bb.44:                               ;   in Loop: Header=BB21_4 Depth=1
	v_mul_u64_e32 v[16:17], s[46:47], v[8:9]
	v_mul_u64_e32 v[18:19], s[42:43], v[12:13]
	v_lshlrev_b32_e32 v3, 16, v3
	s_delay_alu instid0(VALU_DEP_3) | instskip(NEXT) | instid1(VALU_DEP_1)
	v_lshl_add_u64 v[16:17], v[16:17], 1, s[10:11]
	v_lshl_add_u64 v[16:17], v[18:19], 1, v[16:17]
	s_delay_alu instid0(VALU_DEP_1) | instskip(SKIP_4) | instid1(VALU_DEP_1)
	v_lshl_add_u64 v[10:11], v[10:11], 1, v[16:17]
	global_load_u16 v10, v[10:11], off
	s_wait_loadcnt 0x0
	s_wait_xcnt 0x0
	v_lshlrev_b32_e32 v10, 16, v10
	v_add_f32_e32 v3, v10, v3
	s_delay_alu instid0(VALU_DEP_1) | instskip(NEXT) | instid1(VALU_DEP_1)
	v_bfe_u32 v10, v3, 16, 1
	v_add3_u32 v10, v3, v10, 0x7fff
	s_delay_alu instid0(VALU_DEP_1) | instskip(SKIP_1) | instid1(VALU_DEP_2)
	v_lshrrev_b32_e32 v10, 16, v10
	v_cmp_o_f32_e32 vcc_lo, v3, v3
	v_cndmask_b32_e32 v3, 0x7fc0, v10, vcc_lo
	s_branch .LBB21_2
.LBB21_45:                              ;   in Loop: Header=BB21_4 Depth=1
	s_mov_b32 s0, 0
                                        ; implicit-def: $vgpr26_vgpr27
	s_and_saveexec_b32 s5, s1
	s_delay_alu instid0(SALU_CYCLE_1)
	s_xor_b32 s5, exec_lo, s5
	s_cbranch_execz .LBB21_47
; %bb.46:                               ;   in Loop: Header=BB21_4 Depth=1
	v_mad_nc_u64_u32 v[26:27], s14, v10, v[16:17]
	s_delay_alu instid0(VALU_DEP_1) | instskip(NEXT) | instid1(VALU_DEP_1)
	v_mad_u32 v27, s15, v10, v27
	v_mad_u32 v27, s14, v11, v27
	s_delay_alu instid0(VALU_DEP_1) | instskip(NEXT) | instid1(VALU_DEP_1)
	v_add_nc_u64_e32 v[26:27], 2, v[26:27]
	v_mad_nc_u64_u32 v[30:31], s12, v26, v[24:25]
	s_delay_alu instid0(VALU_DEP_1) | instskip(NEXT) | instid1(VALU_DEP_1)
	v_mad_u32 v26, s13, v26, v31
	v_mad_u32 v31, s12, v27, v26
	v_add_nc_u64_e32 v[26:27], s[30:31], v[4:5]
	s_delay_alu instid0(VALU_DEP_1) | instskip(SKIP_1) | instid1(VALU_DEP_2)
	v_add_nc_u64_e32 v[26:27], v[26:27], v[30:31]
	v_sub_nc_u64_e32 v[30:31], s[44:45], v[20:21]
	v_add_nc_u64_e32 v[26:27], -2, v[26:27]
	s_delay_alu instid0(VALU_DEP_1) | instskip(SKIP_1) | instid1(VALU_DEP_4)
	v_cmp_lt_i64_e32 vcc_lo, -1, v[26:27]
	v_cmp_gt_i64_e64 s0, s[42:43], v[26:27]
	v_add_nc_u64_e32 v[26:27], v[30:31], v[24:25]
	s_and_b32 s0, vcc_lo, s0
	s_delay_alu instid0(SALU_CYCLE_1)
	s_and_b32 s0, s0, exec_lo
.LBB21_47:                              ;   in Loop: Header=BB21_4 Depth=1
	s_or_b32 exec_lo, exec_lo, s5
	s_delay_alu instid0(SALU_CYCLE_1)
	s_and_b32 s5, s0, exec_lo
                                        ; implicit-def: $vgpr24_vgpr25
	s_and_not1_saveexec_b32 s4, s4
	s_cbranch_execz .LBB21_25
.LBB21_48:                              ;   in Loop: Header=BB21_4 Depth=1
	v_sub_nc_u64_e32 v[24:25], v[24:25], v[18:19]
	v_add_nc_u64_e32 v[26:27], s[30:31], v[4:5]
	s_and_not1_b32 s5, s5, exec_lo
	s_delay_alu instid0(VALU_DEP_1) | instskip(NEXT) | instid1(VALU_DEP_1)
	v_add_nc_u64_e32 v[26:27], v[26:27], v[24:25]
	v_cmp_lt_i64_e32 vcc_lo, -1, v[26:27]
	v_cmp_gt_i64_e64 s0, s[42:43], v[26:27]
	s_and_b32 s0, vcc_lo, s0
	s_delay_alu instid0(SALU_CYCLE_1) | instskip(NEXT) | instid1(SALU_CYCLE_1)
	s_and_b32 s0, s0, exec_lo
	s_or_b32 s5, s5, s0
	s_or_b32 exec_lo, exec_lo, s4
	s_and_saveexec_b32 s0, s5
	s_cbranch_execnz .LBB21_26
	s_branch .LBB21_27
.LBB21_49:                              ;   in Loop: Header=BB21_4 Depth=1
	s_mov_b32 s0, 0
                                        ; implicit-def: $vgpr22_vgpr23
	s_and_saveexec_b32 s5, s1
	s_delay_alu instid0(SALU_CYCLE_1)
	s_xor_b32 s5, exec_lo, s5
	s_cbranch_execz .LBB21_51
; %bb.50:                               ;   in Loop: Header=BB21_4 Depth=1
	v_mad_nc_u64_u32 v[22:23], s14, v10, v[16:17]
	s_delay_alu instid0(VALU_DEP_1) | instskip(NEXT) | instid1(VALU_DEP_1)
	v_mad_u32 v23, s15, v10, v23
	v_mad_u32 v23, s14, v11, v23
	s_delay_alu instid0(VALU_DEP_1) | instskip(NEXT) | instid1(VALU_DEP_1)
	v_add_nc_u64_e32 v[22:23], 2, v[22:23]
	v_mad_nc_u64_u32 v[26:27], s12, v22, v[24:25]
	v_add_nc_u64_e32 v[24:25], s[50:51], v[24:25]
	s_delay_alu instid0(VALU_DEP_2) | instskip(NEXT) | instid1(VALU_DEP_1)
	v_mad_u32 v22, s13, v22, v27
	v_mad_u32 v27, s12, v23, v22
	v_add_nc_u64_e32 v[22:23], s[30:31], v[4:5]
	s_delay_alu instid0(VALU_DEP_1) | instskip(NEXT) | instid1(VALU_DEP_1)
	v_add_nc_u64_e32 v[22:23], v[22:23], v[26:27]
	v_add_nc_u64_e32 v[22:23], -2, v[22:23]
	s_delay_alu instid0(VALU_DEP_1) | instskip(SKIP_3) | instid1(SALU_CYCLE_1)
	v_cmp_lt_i64_e32 vcc_lo, -1, v[22:23]
	v_cmp_gt_i64_e64 s0, s[42:43], v[22:23]
	v_sub_nc_u64_e32 v[22:23], v[24:25], v[20:21]
	s_and_b32 s0, vcc_lo, s0
	s_and_b32 s0, s0, exec_lo
.LBB21_51:                              ;   in Loop: Header=BB21_4 Depth=1
	s_or_b32 exec_lo, exec_lo, s5
	s_delay_alu instid0(SALU_CYCLE_1)
	s_and_b32 s5, s0, exec_lo
                                        ; implicit-def: $vgpr24_vgpr25
	s_and_not1_saveexec_b32 s4, s4
	s_cbranch_execz .LBB21_33
.LBB21_52:                              ;   in Loop: Header=BB21_4 Depth=1
	v_sub_nc_u64_e32 v[20:21], v[24:25], v[18:19]
	v_add_nc_u64_e32 v[22:23], s[30:31], v[4:5]
	s_and_not1_b32 s5, s5, exec_lo
	s_delay_alu instid0(VALU_DEP_1) | instskip(NEXT) | instid1(VALU_DEP_1)
	v_add_nc_u64_e32 v[22:23], v[22:23], v[20:21]
	v_cmp_lt_i64_e32 vcc_lo, -1, v[22:23]
	v_cmp_gt_i64_e64 s0, s[42:43], v[22:23]
	s_and_b32 s0, vcc_lo, s0
	s_delay_alu instid0(SALU_CYCLE_1) | instskip(NEXT) | instid1(SALU_CYCLE_1)
	s_and_b32 s0, s0, exec_lo
	s_or_b32 s5, s5, s0
	s_or_b32 exec_lo, exec_lo, s4
	s_and_saveexec_b32 s0, s5
	s_cbranch_execnz .LBB21_34
	s_branch .LBB21_35
.LBB21_53:
	s_endpgm
	.section	.rodata,"a",@progbits
	.p2align	6, 0x0
	.amdhsa_kernel _ZN2at6native12_GLOBAL__N_140reflection_pad2d_backward_det_out_kernelIN3c108BFloat16EEEvPT_PKS5_lliiiiiii
		.amdhsa_group_segment_fixed_size 0
		.amdhsa_private_segment_fixed_size 0
		.amdhsa_kernarg_size 320
		.amdhsa_user_sgpr_count 2
		.amdhsa_user_sgpr_dispatch_ptr 0
		.amdhsa_user_sgpr_queue_ptr 0
		.amdhsa_user_sgpr_kernarg_segment_ptr 1
		.amdhsa_user_sgpr_dispatch_id 0
		.amdhsa_user_sgpr_kernarg_preload_length 0
		.amdhsa_user_sgpr_kernarg_preload_offset 0
		.amdhsa_user_sgpr_private_segment_size 0
		.amdhsa_wavefront_size32 1
		.amdhsa_uses_dynamic_stack 0
		.amdhsa_enable_private_segment 0
		.amdhsa_system_sgpr_workgroup_id_x 1
		.amdhsa_system_sgpr_workgroup_id_y 0
		.amdhsa_system_sgpr_workgroup_id_z 0
		.amdhsa_system_sgpr_workgroup_info 0
		.amdhsa_system_vgpr_workitem_id 0
		.amdhsa_next_free_vgpr 34
		.amdhsa_next_free_sgpr 76
		.amdhsa_named_barrier_count 0
		.amdhsa_reserve_vcc 1
		.amdhsa_float_round_mode_32 0
		.amdhsa_float_round_mode_16_64 0
		.amdhsa_float_denorm_mode_32 3
		.amdhsa_float_denorm_mode_16_64 3
		.amdhsa_fp16_overflow 0
		.amdhsa_memory_ordered 1
		.amdhsa_forward_progress 1
		.amdhsa_inst_pref_size 42
		.amdhsa_round_robin_scheduling 0
		.amdhsa_exception_fp_ieee_invalid_op 0
		.amdhsa_exception_fp_denorm_src 0
		.amdhsa_exception_fp_ieee_div_zero 0
		.amdhsa_exception_fp_ieee_overflow 0
		.amdhsa_exception_fp_ieee_underflow 0
		.amdhsa_exception_fp_ieee_inexact 0
		.amdhsa_exception_int_div_zero 0
	.end_amdhsa_kernel
	.section	.text._ZN2at6native12_GLOBAL__N_140reflection_pad2d_backward_det_out_kernelIN3c108BFloat16EEEvPT_PKS5_lliiiiiii,"axG",@progbits,_ZN2at6native12_GLOBAL__N_140reflection_pad2d_backward_det_out_kernelIN3c108BFloat16EEEvPT_PKS5_lliiiiiii,comdat
.Lfunc_end21:
	.size	_ZN2at6native12_GLOBAL__N_140reflection_pad2d_backward_det_out_kernelIN3c108BFloat16EEEvPT_PKS5_lliiiiiii, .Lfunc_end21-_ZN2at6native12_GLOBAL__N_140reflection_pad2d_backward_det_out_kernelIN3c108BFloat16EEEvPT_PKS5_lliiiiiii
                                        ; -- End function
	.set _ZN2at6native12_GLOBAL__N_140reflection_pad2d_backward_det_out_kernelIN3c108BFloat16EEEvPT_PKS5_lliiiiiii.num_vgpr, 34
	.set _ZN2at6native12_GLOBAL__N_140reflection_pad2d_backward_det_out_kernelIN3c108BFloat16EEEvPT_PKS5_lliiiiiii.num_agpr, 0
	.set _ZN2at6native12_GLOBAL__N_140reflection_pad2d_backward_det_out_kernelIN3c108BFloat16EEEvPT_PKS5_lliiiiiii.numbered_sgpr, 76
	.set _ZN2at6native12_GLOBAL__N_140reflection_pad2d_backward_det_out_kernelIN3c108BFloat16EEEvPT_PKS5_lliiiiiii.num_named_barrier, 0
	.set _ZN2at6native12_GLOBAL__N_140reflection_pad2d_backward_det_out_kernelIN3c108BFloat16EEEvPT_PKS5_lliiiiiii.private_seg_size, 0
	.set _ZN2at6native12_GLOBAL__N_140reflection_pad2d_backward_det_out_kernelIN3c108BFloat16EEEvPT_PKS5_lliiiiiii.uses_vcc, 1
	.set _ZN2at6native12_GLOBAL__N_140reflection_pad2d_backward_det_out_kernelIN3c108BFloat16EEEvPT_PKS5_lliiiiiii.uses_flat_scratch, 0
	.set _ZN2at6native12_GLOBAL__N_140reflection_pad2d_backward_det_out_kernelIN3c108BFloat16EEEvPT_PKS5_lliiiiiii.has_dyn_sized_stack, 0
	.set _ZN2at6native12_GLOBAL__N_140reflection_pad2d_backward_det_out_kernelIN3c108BFloat16EEEvPT_PKS5_lliiiiiii.has_recursion, 0
	.set _ZN2at6native12_GLOBAL__N_140reflection_pad2d_backward_det_out_kernelIN3c108BFloat16EEEvPT_PKS5_lliiiiiii.has_indirect_call, 0
	.section	.AMDGPU.csdata,"",@progbits
; Kernel info:
; codeLenInByte = 5360
; TotalNumSgprs: 78
; NumVgprs: 34
; ScratchSize: 0
; MemoryBound: 0
; FloatMode: 240
; IeeeMode: 1
; LDSByteSize: 0 bytes/workgroup (compile time only)
; SGPRBlocks: 0
; VGPRBlocks: 2
; NumSGPRsForWavesPerEU: 78
; NumVGPRsForWavesPerEU: 34
; NamedBarCnt: 0
; Occupancy: 16
; WaveLimiterHint : 0
; COMPUTE_PGM_RSRC2:SCRATCH_EN: 0
; COMPUTE_PGM_RSRC2:USER_SGPR: 2
; COMPUTE_PGM_RSRC2:TRAP_HANDLER: 0
; COMPUTE_PGM_RSRC2:TGID_X_EN: 1
; COMPUTE_PGM_RSRC2:TGID_Y_EN: 0
; COMPUTE_PGM_RSRC2:TGID_Z_EN: 0
; COMPUTE_PGM_RSRC2:TIDIG_COMP_CNT: 0
	.section	.text._ZN2at6native12_GLOBAL__N_136reflection_pad2d_backward_out_kernelIN3c108BFloat16EEEvPT_PKS5_lliiiiiii,"axG",@progbits,_ZN2at6native12_GLOBAL__N_136reflection_pad2d_backward_out_kernelIN3c108BFloat16EEEvPT_PKS5_lliiiiiii,comdat
	.globl	_ZN2at6native12_GLOBAL__N_136reflection_pad2d_backward_out_kernelIN3c108BFloat16EEEvPT_PKS5_lliiiiiii ; -- Begin function _ZN2at6native12_GLOBAL__N_136reflection_pad2d_backward_out_kernelIN3c108BFloat16EEEvPT_PKS5_lliiiiiii
	.p2align	8
	.type	_ZN2at6native12_GLOBAL__N_136reflection_pad2d_backward_out_kernelIN3c108BFloat16EEEvPT_PKS5_lliiiiiii,@function
_ZN2at6native12_GLOBAL__N_136reflection_pad2d_backward_out_kernelIN3c108BFloat16EEEvPT_PKS5_lliiiiiii: ; @_ZN2at6native12_GLOBAL__N_136reflection_pad2d_backward_out_kernelIN3c108BFloat16EEEvPT_PKS5_lliiiiiii
; %bb.0:
	s_clause 0x2
	s_load_b32 s2, s[0:1], 0x4c
	s_load_b128 s[20:23], s[0:1], 0x20
	s_load_b256 s[4:11], s[0:1], 0x0
	s_bfe_u32 s3, ttmp6, 0x4000c
	s_and_b32 s12, ttmp6, 15
	s_add_co_i32 s3, s3, 1
	s_getreg_b32 s15, hwreg(HW_REG_IB_STS2, 6, 4)
	s_mul_i32 s3, ttmp9, s3
	v_mov_b32_e32 v1, 0
	s_add_co_i32 s3, s12, s3
	s_wait_kmcnt 0x0
	s_and_b32 s14, s2, 0xffff
	s_cmp_eq_u32 s15, 0
	s_mov_b32 s2, s22
	s_cselect_b32 s16, ttmp9, s3
	s_ashr_i32 s3, s22, 31
	v_mad_u32 v0, s16, s14, v0
	s_mov_b32 s12, s23
	s_ashr_i32 s13, s23, 31
	s_add_nc_u64 s[18:19], s[8:9], s[2:3]
	s_ashr_i32 s23, s20, 31
	s_mov_b32 s22, s20
	s_add_nc_u64 s[16:17], s[18:19], s[12:13]
	s_add_nc_u64 s[24:25], s[10:11], s[22:23]
	s_ashr_i32 s13, s21, 31
	s_mov_b32 s12, s21
	s_delay_alu instid0(SALU_CYCLE_1) | instskip(NEXT) | instid1(SALU_CYCLE_1)
	s_add_nc_u64 s[20:21], s[24:25], s[12:13]
	s_mul_u64 s[12:13], s[16:17], s[20:21]
	s_delay_alu instid0(SALU_CYCLE_1)
	v_cmp_gt_i64_e32 vcc_lo, s[12:13], v[0:1]
	s_and_saveexec_b32 s12, vcc_lo
	s_cbranch_execz .LBB22_6
; %bb.1:
	s_load_b96 s[12:14], s[0:1], 0x30
	s_wait_xcnt 0x0
	s_and_b64 s[0:1], s[16:17], 0xffffffff00000000
	s_delay_alu instid0(SALU_CYCLE_1)
	s_cmp_lg_u64 s[0:1], 0
	s_cbranch_scc0 .LBB22_7
; %bb.2:
	s_ashr_i32 s26, s17, 31
	v_add_nc_u64_e32 v[2:3], 0, v[0:1]
	s_mov_b32 s27, s26
	v_mov_b32_e32 v5, 0
	s_add_nc_u64 s[0:1], s[16:17], s[26:27]
	s_delay_alu instid0(SALU_CYCLE_1) | instskip(NEXT) | instid1(VALU_DEP_2)
	s_xor_b64 s[28:29], s[0:1], s[26:27]
	v_mov_b32_e32 v4, v2
	s_cvt_f32_u32 s0, s28
	s_cvt_f32_u32 s1, s29
	s_sub_nc_u64 s[34:35], 0, s[28:29]
	s_delay_alu instid0(SALU_CYCLE_2) | instskip(NEXT) | instid1(SALU_CYCLE_3)
	s_fmamk_f32 s0, s1, 0x4f800000, s0
	v_s_rcp_f32 s0, s0
	s_delay_alu instid0(TRANS32_DEP_1) | instskip(NEXT) | instid1(SALU_CYCLE_3)
	s_mul_f32 s0, s0, 0x5f7ffffc
	s_mul_f32 s1, s0, 0x2f800000
	s_delay_alu instid0(SALU_CYCLE_3) | instskip(NEXT) | instid1(SALU_CYCLE_3)
	s_trunc_f32 s1, s1
	s_fmamk_f32 s0, s1, 0xcf800000, s0
	s_cvt_u32_f32 s31, s1
	s_mov_b32 s1, 0
	s_delay_alu instid0(SALU_CYCLE_1) | instskip(NEXT) | instid1(SALU_CYCLE_3)
	s_cvt_u32_f32 s30, s0
	s_mul_u64 s[36:37], s[34:35], s[30:31]
	s_delay_alu instid0(SALU_CYCLE_1)
	s_mul_hi_u32 s39, s30, s37
	s_mul_i32 s38, s30, s37
	s_mul_hi_u32 s0, s30, s36
	s_mul_i32 s33, s31, s36
	s_add_nc_u64 s[38:39], s[0:1], s[38:39]
	s_mul_hi_u32 s27, s31, s36
	s_mul_hi_u32 s40, s31, s37
	s_add_co_u32 s0, s38, s33
	s_add_co_ci_u32 s0, s39, s27
	s_mul_i32 s36, s31, s37
	s_add_co_ci_u32 s37, s40, 0
	s_delay_alu instid0(SALU_CYCLE_1) | instskip(NEXT) | instid1(SALU_CYCLE_1)
	s_add_nc_u64 s[36:37], s[0:1], s[36:37]
	s_add_co_u32 s30, s30, s36
	s_cselect_b32 s0, -1, 0
	s_delay_alu instid0(SALU_CYCLE_1) | instskip(SKIP_1) | instid1(SALU_CYCLE_1)
	s_cmp_lg_u32 s0, 0
	s_add_co_ci_u32 s31, s31, s37
	s_mul_u64 s[34:35], s[34:35], s[30:31]
	s_delay_alu instid0(SALU_CYCLE_1)
	s_mul_hi_u32 s37, s30, s35
	s_mul_i32 s36, s30, s35
	s_mul_hi_u32 s0, s30, s34
	s_mul_i32 s33, s31, s34
	s_add_nc_u64 s[36:37], s[0:1], s[36:37]
	s_mul_hi_u32 s27, s31, s34
	s_mul_hi_u32 s38, s31, s35
	s_add_co_u32 s0, s36, s33
	s_add_co_ci_u32 s0, s37, s27
	s_mul_i32 s34, s31, s35
	s_add_co_ci_u32 s35, s38, 0
	s_delay_alu instid0(SALU_CYCLE_1) | instskip(NEXT) | instid1(SALU_CYCLE_1)
	s_add_nc_u64 s[34:35], s[0:1], s[34:35]
	s_add_co_u32 s30, s30, s34
	s_cselect_b32 s0, -1, 0
	s_delay_alu instid0(SALU_CYCLE_1)
	s_cmp_lg_u32 s0, 0
	s_add_co_ci_u32 s0, s31, s35
	s_mov_b64 s[34:35], 0xffffffff
	v_nop
	v_mul_u64_e32 v[6:7], s[0:1], v[4:5]
	v_mul_hi_u32 v4, v2, s30
	s_and_b64 s[30:31], s[30:31], s[34:35]
	s_delay_alu instid0(VALU_DEP_1) | instskip(SKIP_1) | instid1(VALU_DEP_1)
	v_add_nc_u64_e32 v[6:7], v[4:5], v[6:7]
	v_mov_b32_e32 v4, v3
	v_mul_u64_e32 v[8:9], s[30:31], v[4:5]
	v_mul_u64_e32 v[10:11], s[0:1], v[4:5]
	s_delay_alu instid0(VALU_DEP_2) | instskip(NEXT) | instid1(VALU_DEP_3)
	v_add_co_u32 v4, vcc_lo, v6, v8
	v_add_co_ci_u32_e32 v4, vcc_lo, v7, v9, vcc_lo
	s_delay_alu instid0(VALU_DEP_3) | instskip(NEXT) | instid1(VALU_DEP_1)
	v_add_co_ci_u32_e32 v11, vcc_lo, 0, v11, vcc_lo
	v_add_nc_u64_e32 v[4:5], v[4:5], v[10:11]
	s_delay_alu instid0(VALU_DEP_1) | instskip(NEXT) | instid1(VALU_DEP_1)
	v_mul_u64_e32 v[6:7], s[28:29], v[4:5]
	v_sub_nc_u32_e32 v8, v3, v7
	s_delay_alu instid0(VALU_DEP_2) | instskip(NEXT) | instid1(VALU_DEP_1)
	v_sub_co_u32 v2, vcc_lo, v2, v6
	v_sub_co_ci_u32_e64 v7, null, v3, v7, vcc_lo
	s_delay_alu instid0(VALU_DEP_3) | instskip(NEXT) | instid1(VALU_DEP_3)
	v_subrev_co_ci_u32_e64 v6, null, s29, v8, vcc_lo
	v_sub_co_u32 v10, s0, v2, s28
	v_cmp_le_u32_e32 vcc_lo, s28, v2
	s_delay_alu instid0(VALU_DEP_3) | instskip(NEXT) | instid1(VALU_DEP_3)
	v_subrev_co_ci_u32_e64 v6, null, 0, v6, s0
	v_cmp_le_u32_e64 s0, s28, v10
	v_add_nc_u64_e32 v[8:9], 2, v[4:5]
	v_cndmask_b32_e64 v12, 0, -1, vcc_lo
	s_delay_alu instid0(VALU_DEP_4) | instskip(SKIP_3) | instid1(VALU_DEP_1)
	v_cmp_eq_u32_e32 vcc_lo, s29, v6
	v_add_nc_u64_e32 v[2:3], 1, v[4:5]
	v_cndmask_b32_e64 v10, 0, -1, s0
	v_cmp_le_u32_e64 s0, s29, v6
	v_cndmask_b32_e64 v11, 0, -1, s0
	v_cmp_eq_u32_e64 s0, s29, v7
	s_delay_alu instid0(VALU_DEP_2) | instskip(SKIP_2) | instid1(VALU_DEP_3)
	v_cndmask_b32_e32 v6, v11, v10, vcc_lo
	v_cmp_le_u32_e32 vcc_lo, s29, v7
	v_cndmask_b32_e64 v10, 0, -1, vcc_lo
	v_cmp_ne_u32_e32 vcc_lo, 0, v6
	s_delay_alu instid0(VALU_DEP_2) | instskip(SKIP_1) | instid1(VALU_DEP_2)
	v_dual_cndmask_b32 v6, v10, v12, s0 :: v_dual_cndmask_b32 v3, v3, v9, vcc_lo
	v_cndmask_b32_e32 v2, v2, v8, vcc_lo
	v_cmp_ne_u32_e32 vcc_lo, 0, v6
	s_delay_alu instid0(VALU_DEP_2) | instskip(SKIP_1) | instid1(VALU_DEP_2)
	v_dual_cndmask_b32 v5, v5, v3 :: v_dual_cndmask_b32 v4, v4, v2
	v_dual_mov_b32 v3, s26 :: v_dual_mov_b32 v2, s26
	v_xor_b32_e32 v5, s26, v5
	s_delay_alu instid0(VALU_DEP_3) | instskip(NEXT) | instid1(VALU_DEP_1)
	v_xor_b32_e32 v4, s26, v4
	v_sub_nc_u64_e32 v[2:3], v[4:5], v[2:3]
	s_cbranch_execnz .LBB22_4
.LBB22_3:
	v_cvt_f32_u32_e32 v2, s16
	s_sub_co_i32 s0, 0, s16
	s_delay_alu instid0(VALU_DEP_1) | instskip(SKIP_1) | instid1(TRANS32_DEP_1)
	v_rcp_iflag_f32_e32 v2, v2
	v_nop
	v_mul_f32_e32 v2, 0x4f7ffffe, v2
	s_delay_alu instid0(VALU_DEP_1) | instskip(NEXT) | instid1(VALU_DEP_1)
	v_cvt_u32_f32_e32 v2, v2
	v_mul_lo_u32 v3, s0, v2
	s_delay_alu instid0(VALU_DEP_1) | instskip(NEXT) | instid1(VALU_DEP_1)
	v_mul_hi_u32 v3, v2, v3
	v_add_nc_u32_e32 v2, v2, v3
	s_delay_alu instid0(VALU_DEP_1) | instskip(NEXT) | instid1(VALU_DEP_1)
	v_mul_hi_u32 v2, v0, v2
	v_mul_lo_u32 v3, v2, s16
	s_delay_alu instid0(VALU_DEP_1) | instskip(NEXT) | instid1(VALU_DEP_1)
	v_dual_add_nc_u32 v4, 1, v2 :: v_dual_sub_nc_u32 v3, v0, v3
	v_subrev_nc_u32_e32 v5, s16, v3
	v_cmp_le_u32_e32 vcc_lo, s16, v3
	s_delay_alu instid0(VALU_DEP_2) | instskip(NEXT) | instid1(VALU_DEP_1)
	v_dual_cndmask_b32 v3, v3, v5 :: v_dual_cndmask_b32 v2, v2, v4
	v_cmp_le_u32_e32 vcc_lo, s16, v3
	s_delay_alu instid0(VALU_DEP_2) | instskip(NEXT) | instid1(VALU_DEP_1)
	v_dual_mov_b32 v3, 0 :: v_dual_add_nc_u32 v4, 1, v2
	v_cndmask_b32_e32 v2, v2, v4, vcc_lo
.LBB22_4:
	s_delay_alu instid0(VALU_DEP_1)
	v_mul_u64_e32 v[4:5], s[16:17], v[2:3]
	v_max_i64 v[6:7], s[22:23], 0
	v_sub_nc_u64_e64 v[8:9], v[2:3], s[24:25]
	s_sub_nc_u64 s[0:1], 0, s[22:23]
	s_bfe_u32 s29, ttmp6, 0x40010
	v_max_i64 v[10:11], s[0:1], 0
	s_bfe_u32 s33, ttmp6, 0x40014
	s_add_nc_u64 s[0:1], s[24:25], s[22:23]
	s_and_b32 s28, ttmp7, 0xffff
	v_add_nc_u64_e32 v[12:13], 1, v[8:9]
	v_not_b32_e32 v9, v9
	v_not_b32_e32 v8, v8
	s_lshr_b32 s31, ttmp7, 16
	s_add_co_i32 s29, s29, 1
	s_add_co_i32 s33, s33, 1
	s_bfe_u32 s30, ttmp6, 0x40004
	v_max_i64 v[8:9], v[12:13], v[8:9]
	v_sub_nc_u64_e64 v[12:13], v[2:3], s[22:23]
	s_bfe_u32 s34, ttmp6, 0x40008
	v_max_i64 v[14:15], s[2:3], 0
	s_mul_i32 s22, s28, s29
	s_mul_i32 s23, s31, s33
	s_add_co_i32 s30, s30, s22
	s_add_co_i32 s34, s34, s23
	v_sub_nc_u64_e32 v[16:17], 0, v[12:13]
	s_cmp_eq_u32 s15, 0
	s_sub_nc_u64 s[26:27], 0, s[2:3]
	v_sub_nc_u64_e32 v[0:1], v[0:1], v[4:5]
	v_not_b32_e32 v4, v6
	v_not_b32_e32 v5, v7
	s_delay_alu instid0(VALU_DEP_4) | instskip(SKIP_1) | instid1(VALU_DEP_3)
	v_max_i64 v[6:7], v[12:13], v[16:17]
	v_max_i64 v[16:17], s[26:27], 0
	v_add_nc_u64_e32 v[4:5], s[0:1], v[4:5]
	v_sub_nc_u64_e64 v[12:13], v[0:1], s[18:19]
	s_cselect_b32 s0, s31, s34
	s_cselect_b32 s1, s28, s30
	s_wait_kmcnt 0x0
	s_add_co_i32 s0, s13, s0
	s_add_co_i32 s12, s12, s1
	s_mul_i32 s0, s0, s14
	v_add_nc_u64_e32 v[4:5], v[4:5], v[10:11]
	v_add_nc_u64_e32 v[10:11], 1, v[12:13]
	v_not_b32_e32 v13, v13
	v_not_b32_e32 v12, v12
	s_mov_b32 s1, 0
	s_add_co_i32 s0, s12, s0
	v_add_nc_u64_e32 v[8:9], v[2:3], v[8:9]
	s_mul_u64 s[10:11], s[10:11], s[0:1]
	v_max_i64 v[10:11], v[10:11], v[12:13]
	v_add_nc_u64_e32 v[4:5], s[10:11], v[4:5]
	v_sub_nc_u64_e64 v[12:13], v[0:1], s[2:3]
	v_mad_nc_u64_u32 v[2:3], s20, s0, v[2:3]
	s_add_nc_u64 s[2:3], s[18:19], s[2:3]
	s_delay_alu instid0(VALU_DEP_3) | instskip(NEXT) | instid1(VALU_DEP_3)
	v_sub_nc_u64_e32 v[4:5], v[4:5], v[8:9]
	v_sub_nc_u64_e32 v[8:9], 0, v[12:13]
	s_delay_alu instid0(VALU_DEP_3) | instskip(NEXT) | instid1(VALU_DEP_3)
	v_mad_u32 v3, s21, s0, v3
	v_add_nc_u64_e32 v[4:5], v[4:5], v[6:7]
	s_delay_alu instid0(VALU_DEP_3) | instskip(SKIP_2) | instid1(VALU_DEP_4)
	v_max_i64 v[8:9], v[12:13], v[8:9]
	v_not_b32_e32 v6, v14
	v_not_b32_e32 v7, v15
	v_mul_u64_e32 v[4:5], s[8:9], v[4:5]
	s_delay_alu instid0(VALU_DEP_2) | instskip(SKIP_1) | instid1(VALU_DEP_2)
	v_add_nc_u64_e32 v[6:7], s[2:3], v[6:7]
	v_mul_u64_e32 v[2:3], s[16:17], v[2:3]
	v_add_nc_u64_e32 v[6:7], v[6:7], v[16:17]
	v_add_nc_u64_e32 v[10:11], v[0:1], v[10:11]
	s_delay_alu instid0(VALU_DEP_1) | instskip(NEXT) | instid1(VALU_DEP_1)
	v_sub_nc_u64_e32 v[6:7], v[6:7], v[10:11]
	v_lshl_add_u64 v[6:7], v[6:7], 1, s[4:5]
	s_delay_alu instid0(VALU_DEP_1) | instskip(NEXT) | instid1(VALU_DEP_1)
	v_lshl_add_u64 v[6:7], v[8:9], 1, v[6:7]
	v_lshl_add_u64 v[4:5], v[4:5], 1, v[6:7]
	;; [unrolled: 1-line block ×3, first 2 shown]
	s_delay_alu instid0(VALU_DEP_2) | instskip(NEXT) | instid1(VALU_DEP_2)
	v_dual_mov_b32 v7, 0 :: v_dual_bitop2_b32 v6, 2, v4 bitop3:0x40
	v_lshl_add_u64 v[10:11], v[0:1], 1, v[2:3]
	s_delay_alu instid0(VALU_DEP_2) | instskip(SKIP_1) | instid1(VALU_DEP_2)
	v_sub_nc_u64_e32 v[8:9], 0, v[6:7]
	v_cmp_eq_u64_e32 vcc_lo, 0, v[6:7]
	v_add_nc_u64_e32 v[0:1], v[4:5], v[8:9]
	global_load_u16 v2, v[10:11], off
	global_load_b32 v3, v[0:1], off
	s_wait_loadcnt 0x1
	v_lshlrev_b32_e32 v4, 16, v2
.LBB22_5:                               ; =>This Inner Loop Header: Depth=1
	s_wait_loadcnt 0x0
	v_lshrrev_b32_e32 v2, 16, v3
	v_and_b32_e32 v5, 0xffff, v3
	s_delay_alu instid0(VALU_DEP_1) | instskip(NEXT) | instid1(VALU_DEP_1)
	v_cndmask_b32_e32 v2, v2, v5, vcc_lo
	v_lshlrev_b32_e32 v2, 16, v2
	s_delay_alu instid0(VALU_DEP_1) | instskip(NEXT) | instid1(VALU_DEP_1)
	v_add_f32_e32 v2, v4, v2
	v_bfe_u32 v6, v2, 16, 1
	v_cmp_o_f32_e64 s0, v2, v2
	s_delay_alu instid0(VALU_DEP_2) | instskip(NEXT) | instid1(VALU_DEP_1)
	v_add3_u32 v6, v2, v6, 0x7fff
	v_lshrrev_b32_e32 v6, 16, v6
	s_delay_alu instid0(VALU_DEP_1) | instskip(NEXT) | instid1(VALU_DEP_1)
	v_cndmask_b32_e64 v2, 0x7fc0, v6, s0
	v_lshl_or_b32 v5, v2, 16, v5
	v_and_or_b32 v2, 0xffff0000, v3, v2
	s_delay_alu instid0(VALU_DEP_1)
	v_cndmask_b32_e32 v2, v5, v2, vcc_lo
	global_atomic_cmpswap_b32 v2, v[0:1], v[2:3], off th:TH_ATOMIC_RETURN scope:SCOPE_DEV
	s_wait_loadcnt 0x0
	v_cmp_eq_u32_e64 s0, v3, v2
	v_mov_b32_e32 v3, v2
	s_or_b32 s1, s0, s1
	s_delay_alu instid0(SALU_CYCLE_1)
	s_and_not1_b32 exec_lo, exec_lo, s1
	s_cbranch_execnz .LBB22_5
.LBB22_6:
	s_endpgm
.LBB22_7:
                                        ; implicit-def: $vgpr2_vgpr3
	s_branch .LBB22_3
	.section	.rodata,"a",@progbits
	.p2align	6, 0x0
	.amdhsa_kernel _ZN2at6native12_GLOBAL__N_136reflection_pad2d_backward_out_kernelIN3c108BFloat16EEEvPT_PKS5_lliiiiiii
		.amdhsa_group_segment_fixed_size 0
		.amdhsa_private_segment_fixed_size 0
		.amdhsa_kernarg_size 320
		.amdhsa_user_sgpr_count 2
		.amdhsa_user_sgpr_dispatch_ptr 0
		.amdhsa_user_sgpr_queue_ptr 0
		.amdhsa_user_sgpr_kernarg_segment_ptr 1
		.amdhsa_user_sgpr_dispatch_id 0
		.amdhsa_user_sgpr_kernarg_preload_length 0
		.amdhsa_user_sgpr_kernarg_preload_offset 0
		.amdhsa_user_sgpr_private_segment_size 0
		.amdhsa_wavefront_size32 1
		.amdhsa_uses_dynamic_stack 0
		.amdhsa_enable_private_segment 0
		.amdhsa_system_sgpr_workgroup_id_x 1
		.amdhsa_system_sgpr_workgroup_id_y 1
		.amdhsa_system_sgpr_workgroup_id_z 1
		.amdhsa_system_sgpr_workgroup_info 0
		.amdhsa_system_vgpr_workitem_id 0
		.amdhsa_next_free_vgpr 18
		.amdhsa_next_free_sgpr 41
		.amdhsa_named_barrier_count 0
		.amdhsa_reserve_vcc 1
		.amdhsa_float_round_mode_32 0
		.amdhsa_float_round_mode_16_64 0
		.amdhsa_float_denorm_mode_32 3
		.amdhsa_float_denorm_mode_16_64 3
		.amdhsa_fp16_overflow 0
		.amdhsa_memory_ordered 1
		.amdhsa_forward_progress 1
		.amdhsa_inst_pref_size 13
		.amdhsa_round_robin_scheduling 0
		.amdhsa_exception_fp_ieee_invalid_op 0
		.amdhsa_exception_fp_denorm_src 0
		.amdhsa_exception_fp_ieee_div_zero 0
		.amdhsa_exception_fp_ieee_overflow 0
		.amdhsa_exception_fp_ieee_underflow 0
		.amdhsa_exception_fp_ieee_inexact 0
		.amdhsa_exception_int_div_zero 0
	.end_amdhsa_kernel
	.section	.text._ZN2at6native12_GLOBAL__N_136reflection_pad2d_backward_out_kernelIN3c108BFloat16EEEvPT_PKS5_lliiiiiii,"axG",@progbits,_ZN2at6native12_GLOBAL__N_136reflection_pad2d_backward_out_kernelIN3c108BFloat16EEEvPT_PKS5_lliiiiiii,comdat
.Lfunc_end22:
	.size	_ZN2at6native12_GLOBAL__N_136reflection_pad2d_backward_out_kernelIN3c108BFloat16EEEvPT_PKS5_lliiiiiii, .Lfunc_end22-_ZN2at6native12_GLOBAL__N_136reflection_pad2d_backward_out_kernelIN3c108BFloat16EEEvPT_PKS5_lliiiiiii
                                        ; -- End function
	.set _ZN2at6native12_GLOBAL__N_136reflection_pad2d_backward_out_kernelIN3c108BFloat16EEEvPT_PKS5_lliiiiiii.num_vgpr, 18
	.set _ZN2at6native12_GLOBAL__N_136reflection_pad2d_backward_out_kernelIN3c108BFloat16EEEvPT_PKS5_lliiiiiii.num_agpr, 0
	.set _ZN2at6native12_GLOBAL__N_136reflection_pad2d_backward_out_kernelIN3c108BFloat16EEEvPT_PKS5_lliiiiiii.numbered_sgpr, 41
	.set _ZN2at6native12_GLOBAL__N_136reflection_pad2d_backward_out_kernelIN3c108BFloat16EEEvPT_PKS5_lliiiiiii.num_named_barrier, 0
	.set _ZN2at6native12_GLOBAL__N_136reflection_pad2d_backward_out_kernelIN3c108BFloat16EEEvPT_PKS5_lliiiiiii.private_seg_size, 0
	.set _ZN2at6native12_GLOBAL__N_136reflection_pad2d_backward_out_kernelIN3c108BFloat16EEEvPT_PKS5_lliiiiiii.uses_vcc, 1
	.set _ZN2at6native12_GLOBAL__N_136reflection_pad2d_backward_out_kernelIN3c108BFloat16EEEvPT_PKS5_lliiiiiii.uses_flat_scratch, 0
	.set _ZN2at6native12_GLOBAL__N_136reflection_pad2d_backward_out_kernelIN3c108BFloat16EEEvPT_PKS5_lliiiiiii.has_dyn_sized_stack, 0
	.set _ZN2at6native12_GLOBAL__N_136reflection_pad2d_backward_out_kernelIN3c108BFloat16EEEvPT_PKS5_lliiiiiii.has_recursion, 0
	.set _ZN2at6native12_GLOBAL__N_136reflection_pad2d_backward_out_kernelIN3c108BFloat16EEEvPT_PKS5_lliiiiiii.has_indirect_call, 0
	.section	.AMDGPU.csdata,"",@progbits
; Kernel info:
; codeLenInByte = 1548
; TotalNumSgprs: 43
; NumVgprs: 18
; ScratchSize: 0
; MemoryBound: 0
; FloatMode: 240
; IeeeMode: 1
; LDSByteSize: 0 bytes/workgroup (compile time only)
; SGPRBlocks: 0
; VGPRBlocks: 1
; NumSGPRsForWavesPerEU: 43
; NumVGPRsForWavesPerEU: 18
; NamedBarCnt: 0
; Occupancy: 16
; WaveLimiterHint : 0
; COMPUTE_PGM_RSRC2:SCRATCH_EN: 0
; COMPUTE_PGM_RSRC2:USER_SGPR: 2
; COMPUTE_PGM_RSRC2:TRAP_HANDLER: 0
; COMPUTE_PGM_RSRC2:TGID_X_EN: 1
; COMPUTE_PGM_RSRC2:TGID_Y_EN: 1
; COMPUTE_PGM_RSRC2:TGID_Z_EN: 1
; COMPUTE_PGM_RSRC2:TIDIG_COMP_CNT: 0
	.section	.text._ZN2at6native12_GLOBAL__N_127reflection_pad1d_out_kernelIhEEvPKT_PS3_lll,"axG",@progbits,_ZN2at6native12_GLOBAL__N_127reflection_pad1d_out_kernelIhEEvPKT_PS3_lll,comdat
	.globl	_ZN2at6native12_GLOBAL__N_127reflection_pad1d_out_kernelIhEEvPKT_PS3_lll ; -- Begin function _ZN2at6native12_GLOBAL__N_127reflection_pad1d_out_kernelIhEEvPKT_PS3_lll
	.p2align	8
	.type	_ZN2at6native12_GLOBAL__N_127reflection_pad1d_out_kernelIhEEvPKT_PS3_lll,@function
_ZN2at6native12_GLOBAL__N_127reflection_pad1d_out_kernelIhEEvPKT_PS3_lll: ; @_ZN2at6native12_GLOBAL__N_127reflection_pad1d_out_kernelIhEEvPKT_PS3_lll
; %bb.0:
	s_clause 0x2
	s_load_b32 s13, s[0:1], 0x34
	s_load_b64 s[2:3], s[0:1], 0x20
	s_load_b256 s[4:11], s[0:1], 0x0
	s_bfe_u32 s12, ttmp6, 0x4000c
	s_and_b32 s14, ttmp6, 15
	s_add_co_i32 s15, s12, 1
	s_getreg_b32 s12, hwreg(HW_REG_IB_STS2, 6, 4)
	s_mul_i32 s15, ttmp9, s15
	v_mov_b32_e32 v1, 0
	s_add_co_i32 s14, s14, s15
	s_mov_b32 s16, exec_lo
	s_wait_kmcnt 0x0
	s_and_b32 s13, s13, 0xffff
	s_cmp_eq_u32 s12, 0
	s_cselect_b32 s14, ttmp9, s14
	s_delay_alu instid0(SALU_CYCLE_1)
	v_mad_nc_u64_u32 v[0:1], s13, s14, v[0:1]
	s_add_nc_u64 s[14:15], s[10:11], s[8:9]
	s_mov_b32 s13, 0
	s_add_nc_u64 s[2:3], s[14:15], s[2:3]
	s_delay_alu instid0(VALU_DEP_1) | instid1(SALU_CYCLE_1)
	v_cmpx_gt_i64_e64 s[2:3], v[0:1]
	s_cbranch_execz .LBB23_2
; %bb.1:
	v_sub_nc_u64_e64 v[4:5], v[0:1], s[14:15]
	v_max_i64 v[2:3], s[10:11], 0
	s_sub_nc_u64 s[16:17], 0, s[10:11]
	s_add_nc_u64 s[0:1], s[0:1], 40
	v_max_i64 v[8:9], s[16:17], 0
	s_load_b32 s0, s[0:1], 0x4
	s_wait_xcnt 0x0
	s_bfe_u32 s1, ttmp6, 0x40010
	v_add_nc_u64_e32 v[6:7], 1, v[4:5]
	v_not_b32_e32 v5, v5
	v_not_b32_e32 v4, v4
	s_add_co_i32 s1, s1, 1
	s_delay_alu instid0(VALU_DEP_1) | instskip(SKIP_4) | instid1(VALU_DEP_1)
	v_max_i64 v[4:5], v[6:7], v[4:5]
	v_sub_nc_u64_e64 v[6:7], v[0:1], s[10:11]
	s_add_nc_u64 s[10:11], s[14:15], s[10:11]
	s_lshr_b32 s14, ttmp7, 16
	s_bfe_u32 s15, ttmp6, 0x40004
	v_sub_nc_u64_e32 v[10:11], 0, v[6:7]
	s_delay_alu instid0(VALU_DEP_1) | instskip(SKIP_2) | instid1(VALU_DEP_1)
	v_max_i64 v[6:7], v[6:7], v[10:11]
	v_not_b32_e32 v2, v2
	v_not_b32_e32 v3, v3
	v_add_nc_u64_e32 v[2:3], s[10:11], v[2:3]
	s_bfe_u32 s11, ttmp6, 0x40014
	s_and_b32 s10, ttmp7, 0xffff
	s_add_co_i32 s11, s11, 1
	s_mul_i32 s1, s10, s1
	s_mul_i32 s11, s14, s11
	s_add_co_i32 s15, s15, s1
	v_add_nc_u64_e32 v[2:3], v[2:3], v[8:9]
	v_add_nc_u64_e32 v[4:5], v[0:1], v[4:5]
	s_delay_alu instid0(VALU_DEP_1) | instskip(NEXT) | instid1(VALU_DEP_1)
	v_sub_nc_u64_e32 v[2:3], v[2:3], v[4:5]
	v_add_nc_u64_e32 v[2:3], s[4:5], v[2:3]
	s_bfe_u32 s4, ttmp6, 0x40008
	s_delay_alu instid0(SALU_CYCLE_1) | instskip(SKIP_2) | instid1(VALU_DEP_1)
	s_add_co_i32 s4, s4, s11
	s_cmp_eq_u32 s12, 0
	s_cselect_b32 s1, s14, s4
	v_add_nc_u64_e32 v[2:3], v[2:3], v[6:7]
	s_wait_kmcnt 0x0
	s_mul_i32 s0, s0, s1
	s_cselect_b32 s1, s10, s15
	s_delay_alu instid0(SALU_CYCLE_1) | instskip(NEXT) | instid1(SALU_CYCLE_1)
	s_add_co_i32 s12, s0, s1
	s_mul_u64 s[0:1], s[2:3], s[12:13]
	s_delay_alu instid0(VALU_DEP_1) | instskip(SKIP_1) | instid1(SALU_CYCLE_1)
	v_mad_nc_u64_u32 v[2:3], s8, s12, v[2:3]
	s_add_nc_u64 s[0:1], s[6:7], s[0:1]
	v_add_nc_u64_e32 v[0:1], s[0:1], v[0:1]
	s_delay_alu instid0(VALU_DEP_2)
	v_mad_u32 v3, s9, s12, v3
	global_load_u8 v2, v[2:3], off
	s_wait_loadcnt 0x0
	global_store_b8 v[0:1], v2, off
.LBB23_2:
	s_endpgm
	.section	.rodata,"a",@progbits
	.p2align	6, 0x0
	.amdhsa_kernel _ZN2at6native12_GLOBAL__N_127reflection_pad1d_out_kernelIhEEvPKT_PS3_lll
		.amdhsa_group_segment_fixed_size 0
		.amdhsa_private_segment_fixed_size 0
		.amdhsa_kernarg_size 296
		.amdhsa_user_sgpr_count 2
		.amdhsa_user_sgpr_dispatch_ptr 0
		.amdhsa_user_sgpr_queue_ptr 0
		.amdhsa_user_sgpr_kernarg_segment_ptr 1
		.amdhsa_user_sgpr_dispatch_id 0
		.amdhsa_user_sgpr_kernarg_preload_length 0
		.amdhsa_user_sgpr_kernarg_preload_offset 0
		.amdhsa_user_sgpr_private_segment_size 0
		.amdhsa_wavefront_size32 1
		.amdhsa_uses_dynamic_stack 0
		.amdhsa_enable_private_segment 0
		.amdhsa_system_sgpr_workgroup_id_x 1
		.amdhsa_system_sgpr_workgroup_id_y 1
		.amdhsa_system_sgpr_workgroup_id_z 1
		.amdhsa_system_sgpr_workgroup_info 0
		.amdhsa_system_vgpr_workitem_id 0
		.amdhsa_next_free_vgpr 12
		.amdhsa_next_free_sgpr 18
		.amdhsa_named_barrier_count 0
		.amdhsa_reserve_vcc 0
		.amdhsa_float_round_mode_32 0
		.amdhsa_float_round_mode_16_64 0
		.amdhsa_float_denorm_mode_32 3
		.amdhsa_float_denorm_mode_16_64 3
		.amdhsa_fp16_overflow 0
		.amdhsa_memory_ordered 1
		.amdhsa_forward_progress 1
		.amdhsa_inst_pref_size 4
		.amdhsa_round_robin_scheduling 0
		.amdhsa_exception_fp_ieee_invalid_op 0
		.amdhsa_exception_fp_denorm_src 0
		.amdhsa_exception_fp_ieee_div_zero 0
		.amdhsa_exception_fp_ieee_overflow 0
		.amdhsa_exception_fp_ieee_underflow 0
		.amdhsa_exception_fp_ieee_inexact 0
		.amdhsa_exception_int_div_zero 0
	.end_amdhsa_kernel
	.section	.text._ZN2at6native12_GLOBAL__N_127reflection_pad1d_out_kernelIhEEvPKT_PS3_lll,"axG",@progbits,_ZN2at6native12_GLOBAL__N_127reflection_pad1d_out_kernelIhEEvPKT_PS3_lll,comdat
.Lfunc_end23:
	.size	_ZN2at6native12_GLOBAL__N_127reflection_pad1d_out_kernelIhEEvPKT_PS3_lll, .Lfunc_end23-_ZN2at6native12_GLOBAL__N_127reflection_pad1d_out_kernelIhEEvPKT_PS3_lll
                                        ; -- End function
	.set _ZN2at6native12_GLOBAL__N_127reflection_pad1d_out_kernelIhEEvPKT_PS3_lll.num_vgpr, 12
	.set _ZN2at6native12_GLOBAL__N_127reflection_pad1d_out_kernelIhEEvPKT_PS3_lll.num_agpr, 0
	.set _ZN2at6native12_GLOBAL__N_127reflection_pad1d_out_kernelIhEEvPKT_PS3_lll.numbered_sgpr, 18
	.set _ZN2at6native12_GLOBAL__N_127reflection_pad1d_out_kernelIhEEvPKT_PS3_lll.num_named_barrier, 0
	.set _ZN2at6native12_GLOBAL__N_127reflection_pad1d_out_kernelIhEEvPKT_PS3_lll.private_seg_size, 0
	.set _ZN2at6native12_GLOBAL__N_127reflection_pad1d_out_kernelIhEEvPKT_PS3_lll.uses_vcc, 0
	.set _ZN2at6native12_GLOBAL__N_127reflection_pad1d_out_kernelIhEEvPKT_PS3_lll.uses_flat_scratch, 0
	.set _ZN2at6native12_GLOBAL__N_127reflection_pad1d_out_kernelIhEEvPKT_PS3_lll.has_dyn_sized_stack, 0
	.set _ZN2at6native12_GLOBAL__N_127reflection_pad1d_out_kernelIhEEvPKT_PS3_lll.has_recursion, 0
	.set _ZN2at6native12_GLOBAL__N_127reflection_pad1d_out_kernelIhEEvPKT_PS3_lll.has_indirect_call, 0
	.section	.AMDGPU.csdata,"",@progbits
; Kernel info:
; codeLenInByte = 424
; TotalNumSgprs: 18
; NumVgprs: 12
; ScratchSize: 0
; MemoryBound: 0
; FloatMode: 240
; IeeeMode: 1
; LDSByteSize: 0 bytes/workgroup (compile time only)
; SGPRBlocks: 0
; VGPRBlocks: 0
; NumSGPRsForWavesPerEU: 18
; NumVGPRsForWavesPerEU: 12
; NamedBarCnt: 0
; Occupancy: 16
; WaveLimiterHint : 0
; COMPUTE_PGM_RSRC2:SCRATCH_EN: 0
; COMPUTE_PGM_RSRC2:USER_SGPR: 2
; COMPUTE_PGM_RSRC2:TRAP_HANDLER: 0
; COMPUTE_PGM_RSRC2:TGID_X_EN: 1
; COMPUTE_PGM_RSRC2:TGID_Y_EN: 1
; COMPUTE_PGM_RSRC2:TGID_Z_EN: 1
; COMPUTE_PGM_RSRC2:TIDIG_COMP_CNT: 0
	.section	.text._ZN2at6native12_GLOBAL__N_121reflection_pad1d_flatIhEEvPKT_PS3_lllll,"axG",@progbits,_ZN2at6native12_GLOBAL__N_121reflection_pad1d_flatIhEEvPKT_PS3_lllll,comdat
	.globl	_ZN2at6native12_GLOBAL__N_121reflection_pad1d_flatIhEEvPKT_PS3_lllll ; -- Begin function _ZN2at6native12_GLOBAL__N_121reflection_pad1d_flatIhEEvPKT_PS3_lllll
	.p2align	8
	.type	_ZN2at6native12_GLOBAL__N_121reflection_pad1d_flatIhEEvPKT_PS3_lllll,@function
_ZN2at6native12_GLOBAL__N_121reflection_pad1d_flatIhEEvPKT_PS3_lllll: ; @_ZN2at6native12_GLOBAL__N_121reflection_pad1d_flatIhEEvPKT_PS3_lllll
; %bb.0:
	s_clause 0x1
	s_load_b32 s2, s[0:1], 0x44
	s_load_b128 s[12:15], s[0:1], 0x28
	s_bfe_u32 s3, ttmp6, 0x4000c
	s_and_b32 s4, ttmp6, 15
	s_add_co_i32 s3, s3, 1
	s_getreg_b32 s5, hwreg(HW_REG_IB_STS2, 6, 4)
	s_mul_i32 s3, ttmp9, s3
	s_mov_b32 s47, 0
	s_add_co_i32 s4, s4, s3
	v_mov_b32_e32 v1, 0
	s_mov_b32 s49, s47
	s_mov_b32 s51, s47
	s_wait_kmcnt 0x0
	s_and_b32 s48, s2, 0xffff
	s_cmp_eq_u32 s5, 0
	s_mul_u64 s[14:15], s[14:15], s[12:13]
	s_cselect_b32 s50, ttmp9, s4
	s_mov_b32 s2, exec_lo
	s_mul_u64 s[52:53], s[48:49], s[50:51]
	s_delay_alu instid0(SALU_CYCLE_1) | instskip(NEXT) | instid1(VALU_DEP_1)
	v_add_nc_u64_e32 v[2:3], s[52:53], v[0:1]
	v_cmpx_gt_i64_e64 s[14:15], v[2:3]
	s_cbranch_execz .LBB24_64
; %bb.1:
	s_add_nc_u64 s[2:3], s[0:1], 56
	s_load_b32 s46, s[2:3], 0x0
	s_wait_kmcnt 0x0
	s_add_nc_u64 s[2:3], s[50:51], s[46:47]
	s_mul_u64 s[16:17], s[48:49], s[46:47]
	s_mul_u64 s[58:59], s[2:3], s[48:49]
	v_mov_b32_e32 v5, s47
	v_add_nc_u64_e32 v[6:7], s[58:59], v[0:1]
	s_delay_alu instid0(VALU_DEP_1) | instskip(SKIP_2) | instid1(VALU_DEP_1)
	v_max_i64 v[8:9], s[14:15], v[6:7]
	v_cmp_gt_i64_e32 vcc_lo, s[14:15], v[6:7]
	v_cndmask_b32_e64 v4, 0, 1, vcc_lo
	v_add_nc_u64_e32 v[6:7], v[6:7], v[4:5]
	s_delay_alu instid0(VALU_DEP_1) | instskip(NEXT) | instid1(VALU_DEP_1)
	v_sub_nc_u64_e32 v[6:7], v[8:9], v[6:7]
	v_dual_mov_b32 v8, v1 :: v_dual_bitop2_b32 v9, s17, v7 bitop3:0x54
	s_delay_alu instid0(VALU_DEP_1) | instskip(SKIP_1) | instid1(SALU_CYCLE_1)
	v_cmp_ne_u64_e32 vcc_lo, 0, v[8:9]
                                        ; implicit-def: $vgpr8_vgpr9
	s_and_saveexec_b32 s2, vcc_lo
	s_xor_b32 s3, exec_lo, s2
	s_cbranch_execz .LBB24_3
; %bb.2:
	s_cvt_f32_u32 s2, s16
	s_cvt_f32_u32 s4, s17
	s_sub_nc_u64 s[6:7], 0, s[16:17]
	s_mov_b32 s11, 0
	v_dual_mov_b32 v9, 0 :: v_dual_mov_b32 v8, v6
	s_fmamk_f32 s2, s4, 0x4f800000, s2
	s_delay_alu instid0(SALU_CYCLE_3) | instskip(NEXT) | instid1(TRANS32_DEP_1)
	v_s_rcp_f32 s2, s2
	s_mul_f32 s2, s2, 0x5f7ffffc
	s_delay_alu instid0(SALU_CYCLE_3) | instskip(NEXT) | instid1(SALU_CYCLE_3)
	s_mul_f32 s4, s2, 0x2f800000
	s_trunc_f32 s4, s4
	s_delay_alu instid0(SALU_CYCLE_3) | instskip(SKIP_1) | instid1(SALU_CYCLE_2)
	s_fmamk_f32 s2, s4, 0xcf800000, s2
	s_cvt_u32_f32 s5, s4
	s_cvt_u32_f32 s4, s2
	s_delay_alu instid0(SALU_CYCLE_3) | instskip(NEXT) | instid1(SALU_CYCLE_1)
	s_mul_u64 s[8:9], s[6:7], s[4:5]
	s_mul_hi_u32 s19, s4, s9
	s_mul_i32 s18, s4, s9
	s_mul_hi_u32 s10, s4, s8
	s_mul_i32 s20, s5, s8
	s_add_nc_u64 s[18:19], s[10:11], s[18:19]
	s_mul_hi_u32 s2, s5, s8
	s_mul_hi_u32 s21, s5, s9
	s_mul_i32 s8, s5, s9
	s_add_co_u32 s9, s18, s20
	s_add_co_ci_u32 s10, s19, s2
	s_add_co_ci_u32 s9, s21, 0
	s_delay_alu instid0(SALU_CYCLE_1) | instskip(NEXT) | instid1(SALU_CYCLE_1)
	s_add_nc_u64 s[8:9], s[10:11], s[8:9]
	s_add_co_u32 s4, s4, s8
	s_cselect_b32 s2, -1, 0
	s_delay_alu instid0(SALU_CYCLE_1) | instskip(SKIP_1) | instid1(SALU_CYCLE_1)
	s_cmp_lg_u32 s2, 0
	s_add_co_ci_u32 s5, s5, s9
	s_mul_u64 s[6:7], s[6:7], s[4:5]
	s_delay_alu instid0(SALU_CYCLE_1)
	s_mul_hi_u32 s9, s4, s7
	s_mul_i32 s8, s4, s7
	s_mul_hi_u32 s10, s4, s6
	s_mul_i32 s18, s5, s6
	s_add_nc_u64 s[8:9], s[10:11], s[8:9]
	s_mul_hi_u32 s2, s5, s6
	s_mul_hi_u32 s19, s5, s7
	s_mul_i32 s6, s5, s7
	s_add_co_u32 s7, s8, s18
	s_add_co_ci_u32 s10, s9, s2
	s_add_co_ci_u32 s7, s19, 0
	s_delay_alu instid0(SALU_CYCLE_1) | instskip(NEXT) | instid1(SALU_CYCLE_1)
	s_add_nc_u64 s[6:7], s[10:11], s[6:7]
	s_add_co_u32 s2, s4, s6
	s_cselect_b32 s4, -1, 0
	s_delay_alu instid0(SALU_CYCLE_1)
	s_cmp_lg_u32 s4, 0
	s_add_co_ci_u32 s10, s5, s7
	s_mov_b64 s[4:5], 0xffffffff
	v_mul_u64_e32 v[10:11], s[10:11], v[8:9]
	v_mul_hi_u32 v8, v6, s2
	s_and_b64 s[4:5], s[2:3], s[4:5]
	s_delay_alu instid0(VALU_DEP_1) | instskip(SKIP_1) | instid1(VALU_DEP_1)
	v_add_nc_u64_e32 v[10:11], v[8:9], v[10:11]
	v_mov_b32_e32 v8, v7
	v_mul_u64_e32 v[12:13], s[4:5], v[8:9]
	v_mul_u64_e32 v[14:15], s[10:11], v[8:9]
	s_delay_alu instid0(VALU_DEP_2) | instskip(NEXT) | instid1(VALU_DEP_3)
	v_add_co_u32 v8, vcc_lo, v10, v12
	v_add_co_ci_u32_e32 v8, vcc_lo, v11, v13, vcc_lo
	s_delay_alu instid0(VALU_DEP_3) | instskip(NEXT) | instid1(VALU_DEP_1)
	v_add_co_ci_u32_e32 v15, vcc_lo, 0, v15, vcc_lo
	v_add_nc_u64_e32 v[8:9], v[8:9], v[14:15]
	s_delay_alu instid0(VALU_DEP_1) | instskip(NEXT) | instid1(VALU_DEP_1)
	v_mul_u64_e32 v[10:11], s[16:17], v[8:9]
	v_sub_nc_u32_e32 v12, v7, v11
	s_delay_alu instid0(VALU_DEP_2) | instskip(NEXT) | instid1(VALU_DEP_1)
	v_sub_co_u32 v6, vcc_lo, v6, v10
	v_sub_co_ci_u32_e64 v11, null, v7, v11, vcc_lo
	s_delay_alu instid0(VALU_DEP_3) | instskip(NEXT) | instid1(VALU_DEP_3)
	v_subrev_co_ci_u32_e64 v10, null, s17, v12, vcc_lo
	v_sub_co_u32 v14, s2, v6, s16
	v_cmp_le_u32_e32 vcc_lo, s16, v6
	s_delay_alu instid0(VALU_DEP_3) | instskip(NEXT) | instid1(VALU_DEP_3)
	v_subrev_co_ci_u32_e64 v10, null, 0, v10, s2
	v_cmp_le_u32_e64 s2, s16, v14
	v_add_nc_u64_e32 v[12:13], 2, v[8:9]
	v_cndmask_b32_e64 v16, 0, -1, vcc_lo
	s_delay_alu instid0(VALU_DEP_4) | instskip(SKIP_3) | instid1(VALU_DEP_1)
	v_cmp_eq_u32_e32 vcc_lo, s17, v10
	v_add_nc_u64_e32 v[6:7], 1, v[8:9]
	v_cndmask_b32_e64 v14, 0, -1, s2
	v_cmp_le_u32_e64 s2, s17, v10
	v_cndmask_b32_e64 v15, 0, -1, s2
	v_cmp_eq_u32_e64 s2, s17, v11
	s_delay_alu instid0(VALU_DEP_2) | instskip(SKIP_2) | instid1(VALU_DEP_3)
	v_cndmask_b32_e32 v10, v15, v14, vcc_lo
	v_cmp_le_u32_e32 vcc_lo, s17, v11
	v_cndmask_b32_e64 v14, 0, -1, vcc_lo
	v_cmp_ne_u32_e32 vcc_lo, 0, v10
	s_delay_alu instid0(VALU_DEP_2) | instskip(SKIP_1) | instid1(VALU_DEP_2)
	v_dual_cndmask_b32 v10, v14, v16, s2 :: v_dual_cndmask_b32 v7, v7, v13, vcc_lo
	v_cndmask_b32_e32 v6, v6, v12, vcc_lo
	v_cmp_ne_u32_e32 vcc_lo, 0, v10
	s_delay_alu instid0(VALU_DEP_2)
	v_dual_cndmask_b32 v9, v9, v7 :: v_dual_cndmask_b32 v8, v8, v6
                                        ; implicit-def: $vgpr6_vgpr7
.LBB24_3:
	s_and_not1_saveexec_b32 s2, s3
	s_cbranch_execz .LBB24_5
; %bb.4:
	v_cvt_f32_u32_e32 v7, s16
	s_sub_co_i32 s3, 0, s16
	s_delay_alu instid0(VALU_DEP_1) | instskip(SKIP_1) | instid1(TRANS32_DEP_1)
	v_rcp_iflag_f32_e32 v7, v7
	v_nop
	v_mul_f32_e32 v7, 0x4f7ffffe, v7
	s_delay_alu instid0(VALU_DEP_1) | instskip(NEXT) | instid1(VALU_DEP_1)
	v_cvt_u32_f32_e32 v7, v7
	v_mul_lo_u32 v8, s3, v7
	s_delay_alu instid0(VALU_DEP_1) | instskip(NEXT) | instid1(VALU_DEP_1)
	v_mul_hi_u32 v8, v7, v8
	v_add_nc_u32_e32 v7, v7, v8
	s_delay_alu instid0(VALU_DEP_1) | instskip(NEXT) | instid1(VALU_DEP_1)
	v_mul_hi_u32 v7, v6, v7
	v_mul_lo_u32 v8, v7, s16
	s_delay_alu instid0(VALU_DEP_1) | instskip(NEXT) | instid1(VALU_DEP_1)
	v_dual_sub_nc_u32 v6, v6, v8 :: v_dual_add_nc_u32 v8, 1, v7
	v_subrev_nc_u32_e32 v9, s16, v6
	v_cmp_le_u32_e32 vcc_lo, s16, v6
	s_delay_alu instid0(VALU_DEP_2) | instskip(NEXT) | instid1(VALU_DEP_4)
	v_dual_cndmask_b32 v6, v6, v9 :: v_dual_mov_b32 v9, 0
	v_cndmask_b32_e32 v7, v7, v8, vcc_lo
	s_delay_alu instid0(VALU_DEP_2) | instskip(NEXT) | instid1(VALU_DEP_2)
	v_cmp_le_u32_e32 vcc_lo, s16, v6
	v_add_nc_u32_e32 v8, 1, v7
	s_delay_alu instid0(VALU_DEP_1)
	v_cndmask_b32_e32 v8, v7, v8, vcc_lo
.LBB24_5:
	s_or_b32 exec_lo, exec_lo, s2
	s_load_b256 s[4:11], s[0:1], 0x0
	s_delay_alu instid0(VALU_DEP_1) | instskip(SKIP_1) | instid1(VALU_DEP_1)
	v_add_nc_u64_e32 v[4:5], v[8:9], v[4:5]
	s_sub_nc_u64 s[20:21], 0, s[12:13]
	v_add_nc_u64_e32 v[20:21], 1, v[4:5]
                                        ; implicit-def: $vgpr4_vgpr5
	s_wait_kmcnt 0x0
	s_lshl_b64 s[0:1], s[8:9], 1
	s_delay_alu instid0(SALU_CYCLE_1)
	s_add_nc_u64 s[18:19], s[0:1], -2
	s_mov_b32 s0, 0
	v_cmp_lt_i64_e64 s67, s[18:19], 1
	v_cmp_gt_i64_e64 s33, s[18:19], 0
	s_mov_b32 s1, exec_lo
	v_cmpx_lt_u64_e32 3, v[20:21]
	s_xor_b32 s66, exec_lo, s1
	s_cbranch_execnz .LBB24_8
; %bb.6:
	s_and_not1_saveexec_b32 s1, s66
	s_cbranch_execnz .LBB24_51
.LBB24_7:
	s_or_b32 exec_lo, exec_lo, s1
	s_delay_alu instid0(SALU_CYCLE_1)
	s_and_b32 exec_lo, exec_lo, s0
	s_cbranch_execnz .LBB24_52
	s_branch .LBB24_64
.LBB24_8:
	v_mad_nc_u64_u32 v[8:9], s16, 3, v[2:3]
	v_mad_nc_u64_u32 v[6:7], s16, 2, v[2:3]
	;; [unrolled: 1-line block ×3, first 2 shown]
	v_dual_mov_b32 v23, v21 :: v_dual_bitop2_b32 v22, -4, v20 bitop3:0x40
	s_mul_u64 s[0:1], s[46:47], 3
	s_lshl_b64 s[2:3], s[46:47], 1
	s_add_nc_u64 s[0:1], s[0:1], s[50:51]
	s_add_nc_u64 s[2:3], s[2:3], s[50:51]
	v_mov_b64_e32 v[26:27], v[22:23]
	s_lshl_b64 s[36:37], s[16:17], 2
	v_mad_u32 v9, s17, 3, v9
	v_lshl_add_u32 v7, s17, 1, v7
	v_dual_mov_b32 v24, 0 :: v_dual_add_nc_u32 v5, s17, v5
	s_mul_u64 s[0:1], s[0:1], s[48:49]
	s_mul_u64 s[2:3], s[2:3], s[48:49]
	s_xor_b32 s68, s67, -1
	s_mov_b32 s22, s18
	s_mov_b32 s23, s19
	;; [unrolled: 1-line block ×4, first 2 shown]
	s_delay_alu instid0(VALU_DEP_3)
	v_mov_b64_e32 v[10:11], v[8:9]
	v_mov_b64_e32 v[8:9], v[6:7]
	;; [unrolled: 1-line block ×4, first 2 shown]
	s_mov_b32 s26, s18
	s_mov_b32 s27, s19
	;; [unrolled: 1-line block ×14, first 2 shown]
	s_sub_nc_u64 s[44:45], s[52:53], s[10:11]
	s_add_nc_u64 s[46:47], s[6:7], s[0:1]
	s_add_nc_u64 s[48:49], s[6:7], s[2:3]
	;; [unrolled: 1-line block ×4, first 2 shown]
	s_sub_nc_u64 s[54:55], s[2:3], s[10:11]
	s_sub_nc_u64 s[56:57], s[0:1], s[10:11]
	;; [unrolled: 1-line block ×3, first 2 shown]
	s_mov_b64 s[60:61], 0xffffffff
	s_mov_b32 s3, 0
	s_ashr_i32 s62, s13, 31
	s_mov_b32 s69, 0
	s_branch .LBB24_11
.LBB24_9:                               ;   in Loop: Header=BB24_11 Depth=1
	s_or_b32 exec_lo, exec_lo, s0
.LBB24_10:                              ;   in Loop: Header=BB24_11 Depth=1
	s_delay_alu instid0(VALU_DEP_1) | instskip(SKIP_3) | instid1(VALU_DEP_4)
	v_dual_ashrrev_i32 v25, 31, v19 :: v_dual_ashrrev_i32 v38, 31, v17
	v_dual_ashrrev_i32 v42, 31, v15 :: v_dual_ashrrev_i32 v40, 31, v13
	v_mad_nc_u64_u32 v[44:45], v30, s28, s[4:5]
	v_mad_nc_u64_u32 v[46:47], v32, s30, s[4:5]
	v_and_b32_e32 v39, s25, v38
	v_and_b32_e32 v38, s24, v38
	;; [unrolled: 1-line block ×6, first 2 shown]
	v_add_nc_u64_e32 v[16:17], v[38:39], v[16:17]
	v_mad_nc_u64_u32 v[48:49], v34, s34, s[4:5]
	v_add_nc_u64_e32 v[12:13], v[40:41], v[12:13]
	v_add_nc_u64_e32 v[26:27], -4, v[26:27]
	v_add_nc_u64_e32 v[14:15], v[42:43], v[14:15]
	v_mad_nc_u64_u32 v[42:43], v28, s8, s[4:5]
	v_add_nc_u64_e32 v[10:11], s[42:43], v[10:11]
	v_sub_nc_u64_e32 v[38:39], s[24:25], v[16:17]
	v_cmp_gt_i64_e64 s2, s[30:31], v[16:17]
	v_sub_nc_u64_e32 v[40:41], s[18:19], v[12:13]
	v_cmp_gt_i64_e64 s1, s[8:9], v[12:13]
	v_and_b32_e32 v37, s27, v25
	v_and_b32_e32 v36, s26, v25
	v_sub_nc_u64_e32 v[50:51], s[22:23], v[14:15]
	v_cmp_gt_i64_e64 s0, s[28:29], v[14:15]
	v_cndmask_b32_e64 v25, v38, v16, s2
	v_mad_u32 v16, v29, s8, v43
	v_cndmask_b32_e64 v12, v40, v12, s1
	v_add_nc_u64_e32 v[18:19], v[36:37], v[18:19]
	v_mad_u32 v29, v33, s30, v47
	v_cndmask_b32_e64 v33, v41, v13, s1
	v_dual_cndmask_b32 v17, v39, v17, s2 :: v_dual_cndmask_b32 v14, v50, v14, s0
	v_add_nc_u64_e32 v[8:9], s[40:41], v[8:9]
	v_add_nc_u64_e32 v[6:7], s[38:39], v[6:7]
	v_sub_nc_u64_e32 v[36:37], s[26:27], v[18:19]
	v_cmp_gt_i64_e32 vcc_lo, s[34:35], v[18:19]
	v_mad_u32 v43, v28, s9, v16
	v_cndmask_b32_e64 v16, v14, 0, s67
	v_cndmask_b32_e64 v14, v25, 0, s67
	v_mad_u32 v47, v32, s31, v29
	v_add_nc_u64_e32 v[4:5], s[36:37], v[4:5]
	s_add_nc_u64 s[44:45], s[44:45], s[36:37]
	v_cndmask_b32_e32 v36, v36, v18, vcc_lo
	v_mad_u32 v18, v31, s28, v45
	v_mad_u32 v31, v35, s34, v49
	v_cndmask_b32_e32 v19, v37, v19, vcc_lo
	v_cndmask_b32_e64 v35, v51, v15, s0
	v_cndmask_b32_e64 v15, v17, 0, s67
	v_cmp_eq_u64_e32 vcc_lo, 0, v[26:27]
	s_add_nc_u64 s[54:55], s[54:55], s[36:37]
	v_cndmask_b32_e64 v13, v19, 0, s67
	v_cndmask_b32_e64 v19, v33, 0, s67
	;; [unrolled: 1-line block ×3, first 2 shown]
	v_add_nc_u64_e32 v[14:15], v[46:47], v[14:15]
	v_mad_u32 v45, v30, s29, v18
	v_mad_u32 v49, v34, s35, v31
	v_cndmask_b32_e64 v18, v12, 0, s67
	v_cndmask_b32_e64 v12, v36, 0, s67
	s_add_nc_u64 s[56:57], s[56:57], s[36:37]
	s_add_nc_u64 s[58:59], s[58:59], s[36:37]
	s_or_b32 s69, vcc_lo, s69
	v_add_nc_u64_e32 v[18:19], v[42:43], v[18:19]
	v_add_nc_u64_e32 v[16:17], v[44:45], v[16:17]
	;; [unrolled: 1-line block ×3, first 2 shown]
	s_clause 0x3
	global_load_u8 v25, v[18:19], off
	global_load_u8 v28, v[16:17], off
	;; [unrolled: 1-line block ×4, first 2 shown]
	s_wait_xcnt 0x0
	v_add_nc_u64_e32 v[12:13], s[52:53], v[0:1]
	v_add_nc_u64_e32 v[14:15], s[50:51], v[0:1]
	;; [unrolled: 1-line block ×4, first 2 shown]
	s_add_nc_u64 s[46:47], s[46:47], s[36:37]
	s_add_nc_u64 s[48:49], s[48:49], s[36:37]
	;; [unrolled: 1-line block ×4, first 2 shown]
	s_wait_loadcnt 0x3
	global_store_b8 v[12:13], v25, off
	s_wait_loadcnt 0x2
	global_store_b8 v[14:15], v28, off
	;; [unrolled: 2-line block ×4, first 2 shown]
	s_wait_xcnt 0x0
	s_and_not1_b32 exec_lo, exec_lo, s69
	s_cbranch_execz .LBB24_50
.LBB24_11:                              ; =>This Inner Loop Header: Depth=1
	v_or_b32_e32 v25, s13, v5
                                        ; implicit-def: $vgpr28_vgpr29
	s_mov_b32 s0, exec_lo
	s_delay_alu instid0(VALU_DEP_1)
	v_cmpx_ne_u64_e32 0, v[24:25]
	s_xor_b32 s1, exec_lo, s0
	s_cbranch_execz .LBB24_13
; %bb.12:                               ;   in Loop: Header=BB24_11 Depth=1
	s_mov_b32 s63, s62
	v_dual_mov_b32 v17, v24 :: v_dual_ashrrev_i32 v12, 31, v5
	s_add_nc_u64 s[64:65], s[12:13], s[62:63]
	v_mov_b32_e32 v33, v24
	s_xor_b64 s[64:65], s[64:65], s[62:63]
	s_delay_alu instid0(VALU_DEP_2) | instskip(SKIP_3) | instid1(VALU_DEP_1)
	v_mov_b32_e32 v13, v12
	s_cvt_f32_u32 s0, s64
	s_cvt_f32_u32 s2, s65
	s_sub_nc_u64 s[72:73], 0, s[64:65]
	v_add_nc_u64_e32 v[14:15], v[4:5], v[12:13]
	s_delay_alu instid0(SALU_CYCLE_1) | instskip(SKIP_1) | instid1(SALU_CYCLE_2)
	s_fmamk_f32 s0, s2, 0x4f800000, s0
	v_mov_b32_e32 v29, v24
	v_s_rcp_f32 s0, s0
	s_delay_alu instid0(VALU_DEP_2) | instskip(NEXT) | instid1(VALU_DEP_3)
	v_xor_b32_e32 v16, v14, v12
	v_xor_b32_e32 v28, v15, v12
	s_delay_alu instid0(TRANS32_DEP_1) | instskip(NEXT) | instid1(SALU_CYCLE_3)
	s_mul_f32 s0, s0, 0x5f7ffffc
	s_mul_f32 s2, s0, 0x2f800000
	s_delay_alu instid0(SALU_CYCLE_3) | instskip(NEXT) | instid1(SALU_CYCLE_3)
	s_trunc_f32 s2, s2
	s_fmamk_f32 s0, s2, 0xcf800000, s0
	s_cvt_u32_f32 s71, s2
	s_delay_alu instid0(SALU_CYCLE_2) | instskip(NEXT) | instid1(SALU_CYCLE_3)
	s_cvt_u32_f32 s70, s0
	s_mul_u64 s[74:75], s[72:73], s[70:71]
	s_delay_alu instid0(SALU_CYCLE_1)
	s_mul_hi_u32 s77, s70, s75
	s_mul_i32 s76, s70, s75
	s_mul_hi_u32 s2, s70, s74
	s_mul_i32 s63, s71, s74
	s_add_nc_u64 s[76:77], s[2:3], s[76:77]
	s_mul_hi_u32 s0, s71, s74
	s_mul_hi_u32 s78, s71, s75
	s_add_co_u32 s2, s76, s63
	s_add_co_ci_u32 s2, s77, s0
	s_mul_i32 s74, s71, s75
	s_add_co_ci_u32 s75, s78, 0
	s_delay_alu instid0(SALU_CYCLE_1) | instskip(NEXT) | instid1(SALU_CYCLE_1)
	s_add_nc_u64 s[74:75], s[2:3], s[74:75]
	s_add_co_u32 s70, s70, s74
	s_cselect_b32 s0, -1, 0
	s_delay_alu instid0(SALU_CYCLE_1) | instskip(SKIP_1) | instid1(SALU_CYCLE_1)
	s_cmp_lg_u32 s0, 0
	s_add_co_ci_u32 s71, s71, s75
	s_mul_u64 s[72:73], s[72:73], s[70:71]
	s_delay_alu instid0(SALU_CYCLE_1)
	s_mul_hi_u32 s75, s70, s73
	s_mul_i32 s74, s70, s73
	s_mul_hi_u32 s2, s70, s72
	s_mul_i32 s63, s71, s72
	s_add_nc_u64 s[74:75], s[2:3], s[74:75]
	s_mul_hi_u32 s0, s71, s72
	s_mul_hi_u32 s76, s71, s73
	s_add_co_u32 s2, s74, s63
	s_add_co_ci_u32 s2, s75, s0
	s_mul_i32 s72, s71, s73
	s_add_co_ci_u32 s73, s76, 0
	s_delay_alu instid0(SALU_CYCLE_1) | instskip(NEXT) | instid1(SALU_CYCLE_1)
	s_add_nc_u64 s[72:73], s[2:3], s[72:73]
	s_add_co_u32 s0, s70, s72
	s_cselect_b32 s2, -1, 0
	v_mul_hi_u32 v32, v16, s0
	s_cmp_lg_u32 s2, 0
	s_add_co_ci_u32 s2, s71, s73
	s_and_b64 s[70:71], s[0:1], s[60:61]
	v_mul_u64_e32 v[18:19], s[2:3], v[16:17]
	v_mul_u64_e32 v[14:15], s[70:71], v[28:29]
	;; [unrolled: 1-line block ×3, first 2 shown]
	s_delay_alu instid0(VALU_DEP_3) | instskip(NEXT) | instid1(VALU_DEP_1)
	v_add_nc_u64_e32 v[18:19], v[32:33], v[18:19]
	v_add_co_u32 v13, vcc_lo, v18, v14
	s_delay_alu instid0(VALU_DEP_2) | instskip(NEXT) | instid1(VALU_DEP_4)
	v_add_co_ci_u32_e32 v32, vcc_lo, v19, v15, vcc_lo
	v_add_co_ci_u32_e32 v31, vcc_lo, 0, v31, vcc_lo
	s_delay_alu instid0(VALU_DEP_1) | instskip(NEXT) | instid1(VALU_DEP_1)
	v_add_nc_u64_e32 v[14:15], v[32:33], v[30:31]
	v_mul_u64_e32 v[18:19], s[64:65], v[14:15]
	s_delay_alu instid0(VALU_DEP_1) | instskip(NEXT) | instid1(VALU_DEP_2)
	v_sub_nc_u32_e32 v13, v28, v19
	v_sub_co_u32 v16, vcc_lo, v16, v18
	s_delay_alu instid0(VALU_DEP_1) | instskip(NEXT) | instid1(VALU_DEP_3)
	v_sub_co_ci_u32_e64 v25, null, v28, v19, vcc_lo
	v_subrev_co_ci_u32_e64 v13, null, s65, v13, vcc_lo
	s_delay_alu instid0(VALU_DEP_3) | instskip(NEXT) | instid1(VALU_DEP_1)
	v_sub_co_u32 v17, s0, v16, s64
	v_subrev_co_ci_u32_e64 v13, null, 0, v13, s0
	s_delay_alu instid0(VALU_DEP_2) | instskip(SKIP_1) | instid1(VALU_DEP_3)
	v_cmp_le_u32_e32 vcc_lo, s64, v17
	v_cndmask_b32_e64 v17, 0, -1, vcc_lo
	v_cmp_le_u32_e32 vcc_lo, s65, v13
	v_cndmask_b32_e64 v18, 0, -1, vcc_lo
	;; [unrolled: 2-line block ×4, first 2 shown]
	v_cmp_eq_u32_e32 vcc_lo, s65, v13
	v_cndmask_b32_e32 v13, v18, v17, vcc_lo
	v_cmp_eq_u32_e32 vcc_lo, s65, v25
	v_add_nc_u64_e32 v[16:17], 2, v[14:15]
	v_add_nc_u64_e32 v[18:19], 1, v[14:15]
	v_cndmask_b32_e32 v25, v29, v28, vcc_lo
	v_cmp_ne_u32_e32 vcc_lo, 0, v13
	s_delay_alu instid0(VALU_DEP_2) | instskip(NEXT) | instid1(VALU_DEP_4)
	v_cmp_ne_u32_e64 s0, 0, v25
	v_dual_cndmask_b32 v13, v19, v17 :: v_dual_cndmask_b32 v16, v18, v16
	s_delay_alu instid0(VALU_DEP_1) | instskip(NEXT) | instid1(VALU_DEP_1)
	v_dual_cndmask_b32 v15, v15, v13, s0 :: v_dual_bitop2_b32 v12, s62, v12 bitop3:0x14
	v_dual_cndmask_b32 v14, v14, v16, s0 :: v_dual_mov_b32 v13, v12
	s_delay_alu instid0(VALU_DEP_2) | instskip(NEXT) | instid1(VALU_DEP_2)
	v_xor_b32_e32 v15, v15, v12
	v_xor_b32_e32 v14, v14, v12
	s_delay_alu instid0(VALU_DEP_1)
	v_sub_nc_u64_e32 v[28:29], v[14:15], v[12:13]
.LBB24_13:                              ;   in Loop: Header=BB24_11 Depth=1
	s_and_not1_saveexec_b32 s0, s1
	s_cbranch_execz .LBB24_15
; %bb.14:                               ;   in Loop: Header=BB24_11 Depth=1
	v_cvt_f32_u32_e32 v12, s12
	s_sub_co_i32 s1, 0, s12
	v_mov_b32_e32 v29, v24
	s_delay_alu instid0(VALU_DEP_2) | instskip(SKIP_1) | instid1(TRANS32_DEP_1)
	v_rcp_iflag_f32_e32 v12, v12
	v_nop
	v_mul_f32_e32 v12, 0x4f7ffffe, v12
	s_delay_alu instid0(VALU_DEP_1) | instskip(NEXT) | instid1(VALU_DEP_1)
	v_cvt_u32_f32_e32 v12, v12
	v_mul_lo_u32 v13, s1, v12
	s_delay_alu instid0(VALU_DEP_1) | instskip(NEXT) | instid1(VALU_DEP_1)
	v_mul_hi_u32 v13, v12, v13
	v_add_nc_u32_e32 v12, v12, v13
	s_delay_alu instid0(VALU_DEP_1) | instskip(NEXT) | instid1(VALU_DEP_1)
	v_mul_hi_u32 v12, v4, v12
	v_mul_lo_u32 v13, v12, s12
	s_delay_alu instid0(VALU_DEP_1) | instskip(NEXT) | instid1(VALU_DEP_1)
	v_dual_add_nc_u32 v14, 1, v12 :: v_dual_sub_nc_u32 v13, v4, v13
	v_subrev_nc_u32_e32 v15, s12, v13
	v_cmp_le_u32_e32 vcc_lo, s12, v13
	s_delay_alu instid0(VALU_DEP_2) | instskip(NEXT) | instid1(VALU_DEP_1)
	v_dual_cndmask_b32 v13, v13, v15 :: v_dual_cndmask_b32 v12, v12, v14
	v_cmp_le_u32_e32 vcc_lo, s12, v13
	s_delay_alu instid0(VALU_DEP_2) | instskip(NEXT) | instid1(VALU_DEP_1)
	v_add_nc_u32_e32 v14, 1, v12
	v_cndmask_b32_e32 v28, v12, v14, vcc_lo
.LBB24_15:                              ;   in Loop: Header=BB24_11 Depth=1
	s_or_b32 exec_lo, exec_lo, s0
	v_or_b32_e32 v25, s13, v7
                                        ; implicit-def: $vgpr30_vgpr31
	s_mov_b32 s0, exec_lo
	s_delay_alu instid0(VALU_DEP_1)
	v_cmpx_ne_u64_e32 0, v[24:25]
	s_xor_b32 s1, exec_lo, s0
	s_cbranch_execz .LBB24_17
; %bb.16:                               ;   in Loop: Header=BB24_11 Depth=1
	s_mov_b32 s63, s62
	v_dual_mov_b32 v17, v24 :: v_dual_ashrrev_i32 v12, 31, v7
	s_add_nc_u64 s[64:65], s[12:13], s[62:63]
	s_delay_alu instid0(SALU_CYCLE_1) | instskip(NEXT) | instid1(VALU_DEP_1)
	s_xor_b64 s[64:65], s[64:65], s[62:63]
	v_mov_b32_e32 v13, v12
	s_cvt_f32_u32 s0, s64
	s_cvt_f32_u32 s2, s65
	s_sub_nc_u64 s[72:73], 0, s[64:65]
	s_delay_alu instid0(VALU_DEP_1) | instskip(NEXT) | instid1(SALU_CYCLE_1)
	v_add_nc_u64_e32 v[14:15], v[6:7], v[12:13]
	s_fmamk_f32 s0, s2, 0x4f800000, s0
	v_mov_b32_e32 v31, v24
	s_delay_alu instid0(SALU_CYCLE_2) | instskip(NEXT) | instid1(VALU_DEP_2)
	v_s_rcp_f32 s0, s0
	v_xor_b32_e32 v16, v14, v12
	s_delay_alu instid0(VALU_DEP_3) | instskip(NEXT) | instid1(TRANS32_DEP_1)
	v_dual_mov_b32 v35, v24 :: v_dual_bitop2_b32 v30, v15, v12 bitop3:0x14
	s_mul_f32 s0, s0, 0x5f7ffffc
	s_delay_alu instid0(SALU_CYCLE_3) | instskip(NEXT) | instid1(SALU_CYCLE_3)
	s_mul_f32 s2, s0, 0x2f800000
	s_trunc_f32 s2, s2
	s_delay_alu instid0(SALU_CYCLE_3) | instskip(SKIP_1) | instid1(SALU_CYCLE_2)
	s_fmamk_f32 s0, s2, 0xcf800000, s0
	s_cvt_u32_f32 s71, s2
	s_cvt_u32_f32 s70, s0
	s_delay_alu instid0(SALU_CYCLE_3) | instskip(NEXT) | instid1(SALU_CYCLE_1)
	s_mul_u64 s[74:75], s[72:73], s[70:71]
	s_mul_hi_u32 s77, s70, s75
	s_mul_i32 s76, s70, s75
	s_mul_hi_u32 s2, s70, s74
	s_mul_i32 s63, s71, s74
	s_add_nc_u64 s[76:77], s[2:3], s[76:77]
	s_mul_hi_u32 s0, s71, s74
	s_mul_hi_u32 s78, s71, s75
	s_add_co_u32 s2, s76, s63
	s_add_co_ci_u32 s2, s77, s0
	s_mul_i32 s74, s71, s75
	s_add_co_ci_u32 s75, s78, 0
	s_delay_alu instid0(SALU_CYCLE_1) | instskip(NEXT) | instid1(SALU_CYCLE_1)
	s_add_nc_u64 s[74:75], s[2:3], s[74:75]
	s_add_co_u32 s70, s70, s74
	s_cselect_b32 s0, -1, 0
	s_delay_alu instid0(SALU_CYCLE_1) | instskip(SKIP_1) | instid1(SALU_CYCLE_1)
	s_cmp_lg_u32 s0, 0
	s_add_co_ci_u32 s71, s71, s75
	s_mul_u64 s[72:73], s[72:73], s[70:71]
	s_delay_alu instid0(SALU_CYCLE_1)
	s_mul_hi_u32 s75, s70, s73
	s_mul_i32 s74, s70, s73
	s_mul_hi_u32 s2, s70, s72
	s_mul_i32 s63, s71, s72
	s_add_nc_u64 s[74:75], s[2:3], s[74:75]
	s_mul_hi_u32 s0, s71, s72
	s_mul_hi_u32 s76, s71, s73
	s_add_co_u32 s2, s74, s63
	s_add_co_ci_u32 s2, s75, s0
	s_mul_i32 s72, s71, s73
	s_add_co_ci_u32 s73, s76, 0
	s_delay_alu instid0(SALU_CYCLE_1) | instskip(NEXT) | instid1(SALU_CYCLE_1)
	s_add_nc_u64 s[72:73], s[2:3], s[72:73]
	s_add_co_u32 s0, s70, s72
	s_cselect_b32 s2, -1, 0
	v_mul_hi_u32 v34, v16, s0
	s_cmp_lg_u32 s2, 0
	s_add_co_ci_u32 s2, s71, s73
	s_and_b64 s[70:71], s[0:1], s[60:61]
	v_mul_u64_e32 v[18:19], s[2:3], v[16:17]
	v_mul_u64_e32 v[14:15], s[70:71], v[30:31]
	;; [unrolled: 1-line block ×3, first 2 shown]
	s_delay_alu instid0(VALU_DEP_3) | instskip(NEXT) | instid1(VALU_DEP_1)
	v_add_nc_u64_e32 v[18:19], v[34:35], v[18:19]
	v_add_co_u32 v13, vcc_lo, v18, v14
	s_delay_alu instid0(VALU_DEP_2) | instskip(NEXT) | instid1(VALU_DEP_4)
	v_add_co_ci_u32_e32 v34, vcc_lo, v19, v15, vcc_lo
	v_add_co_ci_u32_e32 v33, vcc_lo, 0, v33, vcc_lo
	s_delay_alu instid0(VALU_DEP_1) | instskip(NEXT) | instid1(VALU_DEP_1)
	v_add_nc_u64_e32 v[14:15], v[34:35], v[32:33]
	v_mul_u64_e32 v[18:19], s[64:65], v[14:15]
	s_delay_alu instid0(VALU_DEP_1) | instskip(NEXT) | instid1(VALU_DEP_2)
	v_sub_nc_u32_e32 v13, v30, v19
	v_sub_co_u32 v16, vcc_lo, v16, v18
	s_delay_alu instid0(VALU_DEP_1) | instskip(NEXT) | instid1(VALU_DEP_3)
	v_sub_co_ci_u32_e64 v25, null, v30, v19, vcc_lo
	v_subrev_co_ci_u32_e64 v13, null, s65, v13, vcc_lo
	s_delay_alu instid0(VALU_DEP_3) | instskip(NEXT) | instid1(VALU_DEP_1)
	v_sub_co_u32 v17, s0, v16, s64
	v_subrev_co_ci_u32_e64 v13, null, 0, v13, s0
	s_delay_alu instid0(VALU_DEP_2) | instskip(SKIP_1) | instid1(VALU_DEP_3)
	v_cmp_le_u32_e32 vcc_lo, s64, v17
	v_cndmask_b32_e64 v17, 0, -1, vcc_lo
	v_cmp_le_u32_e32 vcc_lo, s65, v13
	v_cndmask_b32_e64 v18, 0, -1, vcc_lo
	;; [unrolled: 2-line block ×4, first 2 shown]
	v_cmp_eq_u32_e32 vcc_lo, s65, v13
	v_cndmask_b32_e32 v13, v18, v17, vcc_lo
	v_cmp_eq_u32_e32 vcc_lo, s65, v25
	v_add_nc_u64_e32 v[16:17], 2, v[14:15]
	v_add_nc_u64_e32 v[18:19], 1, v[14:15]
	v_cndmask_b32_e32 v25, v31, v30, vcc_lo
	v_cmp_ne_u32_e32 vcc_lo, 0, v13
	s_delay_alu instid0(VALU_DEP_2) | instskip(NEXT) | instid1(VALU_DEP_4)
	v_cmp_ne_u32_e64 s0, 0, v25
	v_dual_cndmask_b32 v13, v19, v17 :: v_dual_cndmask_b32 v16, v18, v16
	s_delay_alu instid0(VALU_DEP_1) | instskip(NEXT) | instid1(VALU_DEP_1)
	v_dual_cndmask_b32 v15, v15, v13, s0 :: v_dual_bitop2_b32 v12, s62, v12 bitop3:0x14
	v_dual_cndmask_b32 v14, v14, v16, s0 :: v_dual_mov_b32 v13, v12
	s_delay_alu instid0(VALU_DEP_2) | instskip(NEXT) | instid1(VALU_DEP_2)
	v_xor_b32_e32 v15, v15, v12
	v_xor_b32_e32 v14, v14, v12
	s_delay_alu instid0(VALU_DEP_1)
	v_sub_nc_u64_e32 v[30:31], v[14:15], v[12:13]
.LBB24_17:                              ;   in Loop: Header=BB24_11 Depth=1
	s_and_not1_saveexec_b32 s0, s1
	s_cbranch_execz .LBB24_19
; %bb.18:                               ;   in Loop: Header=BB24_11 Depth=1
	v_cvt_f32_u32_e32 v12, s12
	s_sub_co_i32 s1, 0, s12
	v_mov_b32_e32 v31, v24
	s_delay_alu instid0(VALU_DEP_2) | instskip(SKIP_1) | instid1(TRANS32_DEP_1)
	v_rcp_iflag_f32_e32 v12, v12
	v_nop
	v_mul_f32_e32 v12, 0x4f7ffffe, v12
	s_delay_alu instid0(VALU_DEP_1) | instskip(NEXT) | instid1(VALU_DEP_1)
	v_cvt_u32_f32_e32 v12, v12
	v_mul_lo_u32 v13, s1, v12
	s_delay_alu instid0(VALU_DEP_1) | instskip(NEXT) | instid1(VALU_DEP_1)
	v_mul_hi_u32 v13, v12, v13
	v_add_nc_u32_e32 v12, v12, v13
	s_delay_alu instid0(VALU_DEP_1) | instskip(NEXT) | instid1(VALU_DEP_1)
	v_mul_hi_u32 v12, v6, v12
	v_mul_lo_u32 v13, v12, s12
	s_delay_alu instid0(VALU_DEP_1) | instskip(NEXT) | instid1(VALU_DEP_1)
	v_dual_add_nc_u32 v14, 1, v12 :: v_dual_sub_nc_u32 v13, v6, v13
	v_subrev_nc_u32_e32 v15, s12, v13
	v_cmp_le_u32_e32 vcc_lo, s12, v13
	s_delay_alu instid0(VALU_DEP_2) | instskip(NEXT) | instid1(VALU_DEP_1)
	v_dual_cndmask_b32 v13, v13, v15 :: v_dual_cndmask_b32 v12, v12, v14
	v_cmp_le_u32_e32 vcc_lo, s12, v13
	s_delay_alu instid0(VALU_DEP_2) | instskip(NEXT) | instid1(VALU_DEP_1)
	v_add_nc_u32_e32 v14, 1, v12
	v_cndmask_b32_e32 v30, v12, v14, vcc_lo
.LBB24_19:                              ;   in Loop: Header=BB24_11 Depth=1
	s_or_b32 exec_lo, exec_lo, s0
	v_or_b32_e32 v25, s13, v9
                                        ; implicit-def: $vgpr32_vgpr33
	s_mov_b32 s0, exec_lo
	s_delay_alu instid0(VALU_DEP_1)
	v_cmpx_ne_u64_e32 0, v[24:25]
	s_xor_b32 s1, exec_lo, s0
	s_cbranch_execz .LBB24_21
; %bb.20:                               ;   in Loop: Header=BB24_11 Depth=1
	s_mov_b32 s63, s62
	v_dual_mov_b32 v17, v24 :: v_dual_ashrrev_i32 v12, 31, v9
	s_add_nc_u64 s[64:65], s[12:13], s[62:63]
	v_mov_b32_e32 v37, v24
	s_xor_b64 s[64:65], s[64:65], s[62:63]
	s_delay_alu instid0(VALU_DEP_2) | instskip(SKIP_3) | instid1(VALU_DEP_1)
	v_mov_b32_e32 v13, v12
	s_cvt_f32_u32 s0, s64
	s_cvt_f32_u32 s2, s65
	s_sub_nc_u64 s[72:73], 0, s[64:65]
	v_add_nc_u64_e32 v[14:15], v[8:9], v[12:13]
	s_delay_alu instid0(SALU_CYCLE_1) | instskip(SKIP_1) | instid1(SALU_CYCLE_2)
	s_fmamk_f32 s0, s2, 0x4f800000, s0
	v_mov_b32_e32 v33, v24
	v_s_rcp_f32 s0, s0
	s_delay_alu instid0(VALU_DEP_2) | instskip(NEXT) | instid1(VALU_DEP_3)
	v_xor_b32_e32 v16, v14, v12
	v_xor_b32_e32 v32, v15, v12
	s_delay_alu instid0(TRANS32_DEP_1) | instskip(NEXT) | instid1(SALU_CYCLE_3)
	s_mul_f32 s0, s0, 0x5f7ffffc
	s_mul_f32 s2, s0, 0x2f800000
	s_delay_alu instid0(SALU_CYCLE_3) | instskip(NEXT) | instid1(SALU_CYCLE_3)
	s_trunc_f32 s2, s2
	s_fmamk_f32 s0, s2, 0xcf800000, s0
	s_cvt_u32_f32 s71, s2
	s_delay_alu instid0(SALU_CYCLE_2) | instskip(NEXT) | instid1(SALU_CYCLE_3)
	s_cvt_u32_f32 s70, s0
	s_mul_u64 s[74:75], s[72:73], s[70:71]
	s_delay_alu instid0(SALU_CYCLE_1)
	s_mul_hi_u32 s77, s70, s75
	s_mul_i32 s76, s70, s75
	s_mul_hi_u32 s2, s70, s74
	s_mul_i32 s63, s71, s74
	s_add_nc_u64 s[76:77], s[2:3], s[76:77]
	s_mul_hi_u32 s0, s71, s74
	s_mul_hi_u32 s78, s71, s75
	s_add_co_u32 s2, s76, s63
	s_add_co_ci_u32 s2, s77, s0
	s_mul_i32 s74, s71, s75
	s_add_co_ci_u32 s75, s78, 0
	s_delay_alu instid0(SALU_CYCLE_1) | instskip(NEXT) | instid1(SALU_CYCLE_1)
	s_add_nc_u64 s[74:75], s[2:3], s[74:75]
	s_add_co_u32 s70, s70, s74
	s_cselect_b32 s0, -1, 0
	s_delay_alu instid0(SALU_CYCLE_1) | instskip(SKIP_1) | instid1(SALU_CYCLE_1)
	s_cmp_lg_u32 s0, 0
	s_add_co_ci_u32 s71, s71, s75
	s_mul_u64 s[72:73], s[72:73], s[70:71]
	s_delay_alu instid0(SALU_CYCLE_1)
	s_mul_hi_u32 s75, s70, s73
	s_mul_i32 s74, s70, s73
	s_mul_hi_u32 s2, s70, s72
	s_mul_i32 s63, s71, s72
	s_add_nc_u64 s[74:75], s[2:3], s[74:75]
	s_mul_hi_u32 s0, s71, s72
	s_mul_hi_u32 s76, s71, s73
	s_add_co_u32 s2, s74, s63
	s_add_co_ci_u32 s2, s75, s0
	s_mul_i32 s72, s71, s73
	s_add_co_ci_u32 s73, s76, 0
	s_delay_alu instid0(SALU_CYCLE_1) | instskip(NEXT) | instid1(SALU_CYCLE_1)
	s_add_nc_u64 s[72:73], s[2:3], s[72:73]
	s_add_co_u32 s0, s70, s72
	s_cselect_b32 s2, -1, 0
	v_mul_hi_u32 v36, v16, s0
	s_cmp_lg_u32 s2, 0
	s_add_co_ci_u32 s2, s71, s73
	s_and_b64 s[70:71], s[0:1], s[60:61]
	v_mul_u64_e32 v[18:19], s[2:3], v[16:17]
	v_mul_u64_e32 v[14:15], s[70:71], v[32:33]
	;; [unrolled: 1-line block ×3, first 2 shown]
	s_delay_alu instid0(VALU_DEP_3) | instskip(NEXT) | instid1(VALU_DEP_1)
	v_add_nc_u64_e32 v[18:19], v[36:37], v[18:19]
	v_add_co_u32 v13, vcc_lo, v18, v14
	s_delay_alu instid0(VALU_DEP_2) | instskip(NEXT) | instid1(VALU_DEP_4)
	v_add_co_ci_u32_e32 v36, vcc_lo, v19, v15, vcc_lo
	v_add_co_ci_u32_e32 v35, vcc_lo, 0, v35, vcc_lo
	s_delay_alu instid0(VALU_DEP_1) | instskip(NEXT) | instid1(VALU_DEP_1)
	v_add_nc_u64_e32 v[14:15], v[36:37], v[34:35]
	v_mul_u64_e32 v[18:19], s[64:65], v[14:15]
	s_delay_alu instid0(VALU_DEP_1) | instskip(NEXT) | instid1(VALU_DEP_2)
	v_sub_nc_u32_e32 v13, v32, v19
	v_sub_co_u32 v16, vcc_lo, v16, v18
	s_delay_alu instid0(VALU_DEP_1) | instskip(NEXT) | instid1(VALU_DEP_3)
	v_sub_co_ci_u32_e64 v25, null, v32, v19, vcc_lo
	v_subrev_co_ci_u32_e64 v13, null, s65, v13, vcc_lo
	s_delay_alu instid0(VALU_DEP_3) | instskip(NEXT) | instid1(VALU_DEP_1)
	v_sub_co_u32 v17, s0, v16, s64
	v_subrev_co_ci_u32_e64 v13, null, 0, v13, s0
	s_delay_alu instid0(VALU_DEP_2) | instskip(SKIP_1) | instid1(VALU_DEP_3)
	v_cmp_le_u32_e32 vcc_lo, s64, v17
	v_cndmask_b32_e64 v17, 0, -1, vcc_lo
	v_cmp_le_u32_e32 vcc_lo, s65, v13
	v_cndmask_b32_e64 v18, 0, -1, vcc_lo
	;; [unrolled: 2-line block ×4, first 2 shown]
	v_cmp_eq_u32_e32 vcc_lo, s65, v13
	v_cndmask_b32_e32 v13, v18, v17, vcc_lo
	v_cmp_eq_u32_e32 vcc_lo, s65, v25
	v_add_nc_u64_e32 v[16:17], 2, v[14:15]
	v_add_nc_u64_e32 v[18:19], 1, v[14:15]
	v_cndmask_b32_e32 v25, v33, v32, vcc_lo
	v_cmp_ne_u32_e32 vcc_lo, 0, v13
	s_delay_alu instid0(VALU_DEP_2) | instskip(NEXT) | instid1(VALU_DEP_4)
	v_cmp_ne_u32_e64 s0, 0, v25
	v_dual_cndmask_b32 v13, v19, v17 :: v_dual_cndmask_b32 v16, v18, v16
	s_delay_alu instid0(VALU_DEP_1) | instskip(NEXT) | instid1(VALU_DEP_1)
	v_dual_cndmask_b32 v15, v15, v13, s0 :: v_dual_bitop2_b32 v12, s62, v12 bitop3:0x14
	v_dual_cndmask_b32 v14, v14, v16, s0 :: v_dual_mov_b32 v13, v12
	s_delay_alu instid0(VALU_DEP_2) | instskip(NEXT) | instid1(VALU_DEP_2)
	v_xor_b32_e32 v15, v15, v12
	v_xor_b32_e32 v14, v14, v12
	s_delay_alu instid0(VALU_DEP_1)
	v_sub_nc_u64_e32 v[32:33], v[14:15], v[12:13]
.LBB24_21:                              ;   in Loop: Header=BB24_11 Depth=1
	s_and_not1_saveexec_b32 s0, s1
	s_cbranch_execz .LBB24_23
; %bb.22:                               ;   in Loop: Header=BB24_11 Depth=1
	v_cvt_f32_u32_e32 v12, s12
	s_sub_co_i32 s1, 0, s12
	v_mov_b32_e32 v33, v24
	s_delay_alu instid0(VALU_DEP_2) | instskip(SKIP_1) | instid1(TRANS32_DEP_1)
	v_rcp_iflag_f32_e32 v12, v12
	v_nop
	v_mul_f32_e32 v12, 0x4f7ffffe, v12
	s_delay_alu instid0(VALU_DEP_1) | instskip(NEXT) | instid1(VALU_DEP_1)
	v_cvt_u32_f32_e32 v12, v12
	v_mul_lo_u32 v13, s1, v12
	s_delay_alu instid0(VALU_DEP_1) | instskip(NEXT) | instid1(VALU_DEP_1)
	v_mul_hi_u32 v13, v12, v13
	v_add_nc_u32_e32 v12, v12, v13
	s_delay_alu instid0(VALU_DEP_1) | instskip(NEXT) | instid1(VALU_DEP_1)
	v_mul_hi_u32 v12, v8, v12
	v_mul_lo_u32 v13, v12, s12
	s_delay_alu instid0(VALU_DEP_1) | instskip(NEXT) | instid1(VALU_DEP_1)
	v_dual_add_nc_u32 v14, 1, v12 :: v_dual_sub_nc_u32 v13, v8, v13
	v_subrev_nc_u32_e32 v15, s12, v13
	v_cmp_le_u32_e32 vcc_lo, s12, v13
	s_delay_alu instid0(VALU_DEP_2) | instskip(NEXT) | instid1(VALU_DEP_1)
	v_dual_cndmask_b32 v13, v13, v15 :: v_dual_cndmask_b32 v12, v12, v14
	v_cmp_le_u32_e32 vcc_lo, s12, v13
	s_delay_alu instid0(VALU_DEP_2) | instskip(NEXT) | instid1(VALU_DEP_1)
	v_add_nc_u32_e32 v14, 1, v12
	v_cndmask_b32_e32 v32, v12, v14, vcc_lo
.LBB24_23:                              ;   in Loop: Header=BB24_11 Depth=1
	s_or_b32 exec_lo, exec_lo, s0
	v_or_b32_e32 v25, s13, v11
                                        ; implicit-def: $vgpr34_vgpr35
	s_mov_b32 s0, exec_lo
	s_delay_alu instid0(VALU_DEP_1)
	v_cmpx_ne_u64_e32 0, v[24:25]
	s_xor_b32 s1, exec_lo, s0
	s_cbranch_execnz .LBB24_29
; %bb.24:                               ;   in Loop: Header=BB24_11 Depth=1
	s_and_not1_saveexec_b32 s0, s1
	s_cbranch_execnz .LBB24_30
.LBB24_25:                              ;   in Loop: Header=BB24_11 Depth=1
	s_or_b32 exec_lo, exec_lo, s0
	s_delay_alu instid0(SALU_CYCLE_1)
	s_and_not1_b32 vcc_lo, exec_lo, s68
                                        ; implicit-def: $vgpr12_vgpr13_vgpr14_vgpr15_vgpr16_vgpr17_vgpr18_vgpr19
	s_cbranch_vccz .LBB24_31
.LBB24_26:                              ;   in Loop: Header=BB24_11 Depth=1
	s_and_not1_b32 vcc_lo, exec_lo, s68
	s_cbranch_vccz .LBB24_36
.LBB24_27:                              ;   in Loop: Header=BB24_11 Depth=1
	s_and_not1_b32 vcc_lo, exec_lo, s68
	s_cbranch_vccz .LBB24_41
.LBB24_28:                              ;   in Loop: Header=BB24_11 Depth=1
	s_and_not1_b32 vcc_lo, exec_lo, s68
	s_cbranch_vccnz .LBB24_10
	s_branch .LBB24_46
.LBB24_29:                              ;   in Loop: Header=BB24_11 Depth=1
	s_mov_b32 s63, s62
	v_dual_mov_b32 v17, v24 :: v_dual_ashrrev_i32 v12, 31, v11
	s_add_nc_u64 s[64:65], s[12:13], s[62:63]
	s_delay_alu instid0(SALU_CYCLE_1) | instskip(NEXT) | instid1(VALU_DEP_1)
	s_xor_b64 s[64:65], s[64:65], s[62:63]
	v_mov_b32_e32 v13, v12
	s_cvt_f32_u32 s0, s64
	s_cvt_f32_u32 s2, s65
	s_sub_nc_u64 s[72:73], 0, s[64:65]
	s_delay_alu instid0(VALU_DEP_1) | instskip(NEXT) | instid1(SALU_CYCLE_1)
	v_add_nc_u64_e32 v[14:15], v[10:11], v[12:13]
	s_fmamk_f32 s0, s2, 0x4f800000, s0
	v_mov_b32_e32 v35, v24
	s_delay_alu instid0(SALU_CYCLE_2) | instskip(NEXT) | instid1(VALU_DEP_2)
	v_s_rcp_f32 s0, s0
	v_xor_b32_e32 v16, v14, v12
	s_delay_alu instid0(VALU_DEP_3) | instskip(NEXT) | instid1(TRANS32_DEP_1)
	v_dual_mov_b32 v39, v24 :: v_dual_bitop2_b32 v34, v15, v12 bitop3:0x14
	s_mul_f32 s0, s0, 0x5f7ffffc
	s_delay_alu instid0(SALU_CYCLE_3) | instskip(NEXT) | instid1(SALU_CYCLE_3)
	s_mul_f32 s2, s0, 0x2f800000
	s_trunc_f32 s2, s2
	s_delay_alu instid0(SALU_CYCLE_3) | instskip(SKIP_1) | instid1(SALU_CYCLE_2)
	s_fmamk_f32 s0, s2, 0xcf800000, s0
	s_cvt_u32_f32 s71, s2
	s_cvt_u32_f32 s70, s0
	s_delay_alu instid0(SALU_CYCLE_3) | instskip(NEXT) | instid1(SALU_CYCLE_1)
	s_mul_u64 s[74:75], s[72:73], s[70:71]
	s_mul_hi_u32 s77, s70, s75
	s_mul_i32 s76, s70, s75
	s_mul_hi_u32 s2, s70, s74
	s_mul_i32 s63, s71, s74
	s_add_nc_u64 s[76:77], s[2:3], s[76:77]
	s_mul_hi_u32 s0, s71, s74
	s_mul_hi_u32 s78, s71, s75
	s_add_co_u32 s2, s76, s63
	s_add_co_ci_u32 s2, s77, s0
	s_mul_i32 s74, s71, s75
	s_add_co_ci_u32 s75, s78, 0
	s_delay_alu instid0(SALU_CYCLE_1) | instskip(NEXT) | instid1(SALU_CYCLE_1)
	s_add_nc_u64 s[74:75], s[2:3], s[74:75]
	s_add_co_u32 s70, s70, s74
	s_cselect_b32 s0, -1, 0
	s_delay_alu instid0(SALU_CYCLE_1) | instskip(SKIP_1) | instid1(SALU_CYCLE_1)
	s_cmp_lg_u32 s0, 0
	s_add_co_ci_u32 s71, s71, s75
	s_mul_u64 s[72:73], s[72:73], s[70:71]
	s_delay_alu instid0(SALU_CYCLE_1)
	s_mul_hi_u32 s75, s70, s73
	s_mul_i32 s74, s70, s73
	s_mul_hi_u32 s2, s70, s72
	s_mul_i32 s63, s71, s72
	s_add_nc_u64 s[74:75], s[2:3], s[74:75]
	s_mul_hi_u32 s0, s71, s72
	s_mul_hi_u32 s76, s71, s73
	s_add_co_u32 s2, s74, s63
	s_add_co_ci_u32 s2, s75, s0
	s_mul_i32 s72, s71, s73
	s_add_co_ci_u32 s73, s76, 0
	s_delay_alu instid0(SALU_CYCLE_1) | instskip(NEXT) | instid1(SALU_CYCLE_1)
	s_add_nc_u64 s[72:73], s[2:3], s[72:73]
	s_add_co_u32 s0, s70, s72
	s_cselect_b32 s2, -1, 0
	v_mul_hi_u32 v38, v16, s0
	s_cmp_lg_u32 s2, 0
	s_add_co_ci_u32 s2, s71, s73
	s_and_b64 s[70:71], s[0:1], s[60:61]
	v_mul_u64_e32 v[18:19], s[2:3], v[16:17]
	v_mul_u64_e32 v[14:15], s[70:71], v[34:35]
	;; [unrolled: 1-line block ×3, first 2 shown]
	s_delay_alu instid0(VALU_DEP_3) | instskip(NEXT) | instid1(VALU_DEP_1)
	v_add_nc_u64_e32 v[18:19], v[38:39], v[18:19]
	v_add_co_u32 v13, vcc_lo, v18, v14
	s_delay_alu instid0(VALU_DEP_2) | instskip(NEXT) | instid1(VALU_DEP_4)
	v_add_co_ci_u32_e32 v38, vcc_lo, v19, v15, vcc_lo
	v_add_co_ci_u32_e32 v37, vcc_lo, 0, v37, vcc_lo
	s_delay_alu instid0(VALU_DEP_1) | instskip(NEXT) | instid1(VALU_DEP_1)
	v_add_nc_u64_e32 v[14:15], v[38:39], v[36:37]
	v_mul_u64_e32 v[18:19], s[64:65], v[14:15]
	s_delay_alu instid0(VALU_DEP_1) | instskip(NEXT) | instid1(VALU_DEP_2)
	v_sub_nc_u32_e32 v13, v34, v19
	v_sub_co_u32 v16, vcc_lo, v16, v18
	s_delay_alu instid0(VALU_DEP_1) | instskip(NEXT) | instid1(VALU_DEP_3)
	v_sub_co_ci_u32_e64 v25, null, v34, v19, vcc_lo
	v_subrev_co_ci_u32_e64 v13, null, s65, v13, vcc_lo
	s_delay_alu instid0(VALU_DEP_3) | instskip(NEXT) | instid1(VALU_DEP_1)
	v_sub_co_u32 v17, s0, v16, s64
	v_subrev_co_ci_u32_e64 v13, null, 0, v13, s0
	s_delay_alu instid0(VALU_DEP_2) | instskip(SKIP_1) | instid1(VALU_DEP_3)
	v_cmp_le_u32_e32 vcc_lo, s64, v17
	v_cndmask_b32_e64 v17, 0, -1, vcc_lo
	v_cmp_le_u32_e32 vcc_lo, s65, v13
	v_cndmask_b32_e64 v18, 0, -1, vcc_lo
	;; [unrolled: 2-line block ×4, first 2 shown]
	v_cmp_eq_u32_e32 vcc_lo, s65, v13
	v_cndmask_b32_e32 v13, v18, v17, vcc_lo
	v_cmp_eq_u32_e32 vcc_lo, s65, v25
	v_add_nc_u64_e32 v[16:17], 2, v[14:15]
	v_add_nc_u64_e32 v[18:19], 1, v[14:15]
	v_cndmask_b32_e32 v25, v35, v34, vcc_lo
	v_cmp_ne_u32_e32 vcc_lo, 0, v13
	s_delay_alu instid0(VALU_DEP_2) | instskip(NEXT) | instid1(VALU_DEP_4)
	v_cmp_ne_u32_e64 s0, 0, v25
	v_dual_cndmask_b32 v13, v19, v17 :: v_dual_cndmask_b32 v16, v18, v16
	s_delay_alu instid0(VALU_DEP_1) | instskip(NEXT) | instid1(VALU_DEP_1)
	v_dual_cndmask_b32 v15, v15, v13, s0 :: v_dual_bitop2_b32 v12, s62, v12 bitop3:0x14
	v_dual_cndmask_b32 v14, v14, v16, s0 :: v_dual_mov_b32 v13, v12
	s_delay_alu instid0(VALU_DEP_2) | instskip(NEXT) | instid1(VALU_DEP_2)
	v_xor_b32_e32 v15, v15, v12
	v_xor_b32_e32 v14, v14, v12
	s_delay_alu instid0(VALU_DEP_1)
	v_sub_nc_u64_e32 v[34:35], v[14:15], v[12:13]
	s_and_not1_saveexec_b32 s0, s1
	s_cbranch_execz .LBB24_25
.LBB24_30:                              ;   in Loop: Header=BB24_11 Depth=1
	v_cvt_f32_u32_e32 v12, s12
	s_sub_co_i32 s1, 0, s12
	v_mov_b32_e32 v35, v24
	s_delay_alu instid0(VALU_DEP_2) | instskip(SKIP_1) | instid1(TRANS32_DEP_1)
	v_rcp_iflag_f32_e32 v12, v12
	v_nop
	v_mul_f32_e32 v12, 0x4f7ffffe, v12
	s_delay_alu instid0(VALU_DEP_1) | instskip(NEXT) | instid1(VALU_DEP_1)
	v_cvt_u32_f32_e32 v12, v12
	v_mul_lo_u32 v13, s1, v12
	s_delay_alu instid0(VALU_DEP_1) | instskip(NEXT) | instid1(VALU_DEP_1)
	v_mul_hi_u32 v13, v12, v13
	v_add_nc_u32_e32 v12, v12, v13
	s_delay_alu instid0(VALU_DEP_1) | instskip(NEXT) | instid1(VALU_DEP_1)
	v_mul_hi_u32 v12, v10, v12
	v_mul_lo_u32 v13, v12, s12
	s_delay_alu instid0(VALU_DEP_1) | instskip(NEXT) | instid1(VALU_DEP_1)
	v_dual_add_nc_u32 v14, 1, v12 :: v_dual_sub_nc_u32 v13, v10, v13
	v_subrev_nc_u32_e32 v15, s12, v13
	v_cmp_le_u32_e32 vcc_lo, s12, v13
	s_delay_alu instid0(VALU_DEP_2) | instskip(NEXT) | instid1(VALU_DEP_1)
	v_dual_cndmask_b32 v13, v13, v15 :: v_dual_cndmask_b32 v12, v12, v14
	v_cmp_le_u32_e32 vcc_lo, s12, v13
	s_delay_alu instid0(VALU_DEP_2) | instskip(NEXT) | instid1(VALU_DEP_1)
	v_add_nc_u32_e32 v14, 1, v12
	v_cndmask_b32_e32 v34, v12, v14, vcc_lo
	s_or_b32 exec_lo, exec_lo, s0
	s_delay_alu instid0(SALU_CYCLE_1)
	s_and_not1_b32 vcc_lo, exec_lo, s68
                                        ; implicit-def: $vgpr12_vgpr13_vgpr14_vgpr15_vgpr16_vgpr17_vgpr18_vgpr19
	s_cbranch_vccnz .LBB24_26
.LBB24_31:                              ;   in Loop: Header=BB24_11 Depth=1
	v_add_nc_u64_e32 v[12:13], s[44:45], v[0:1]
	s_mov_b32 s0, exec_lo
	s_delay_alu instid0(VALU_DEP_1) | instskip(NEXT) | instid1(VALU_DEP_1)
	v_mad_nc_u64_u32 v[14:15], s20, v28, v[12:13]
	v_mad_u32 v12, s21, v28, v15
	s_delay_alu instid0(VALU_DEP_1) | instskip(NEXT) | instid1(VALU_DEP_1)
	v_mad_u32 v15, s20, v29, v12
                                        ; implicit-def: $vgpr12_vgpr13
	v_or_b32_e32 v25, s19, v15
	s_delay_alu instid0(VALU_DEP_1)
	v_cmpx_ne_u64_e32 0, v[24:25]
	s_xor_b32 s1, exec_lo, s0
	s_cbranch_execz .LBB24_33
; %bb.32:                               ;   in Loop: Header=BB24_11 Depth=1
	s_ashr_i32 s64, s19, 31
	v_dual_mov_b32 v17, v24 :: v_dual_ashrrev_i32 v12, 31, v15
	s_mov_b32 s65, s64
	v_mov_b32_e32 v41, v24
	s_add_nc_u64 s[70:71], s[18:19], s[64:65]
	s_delay_alu instid0(VALU_DEP_2) | instskip(SKIP_1) | instid1(SALU_CYCLE_1)
	v_mov_b32_e32 v13, v12
	s_xor_b64 s[64:65], s[70:71], s[64:65]
	s_cvt_f32_u32 s0, s64
	s_cvt_f32_u32 s2, s65
	s_sub_nc_u64 s[72:73], 0, s[64:65]
	v_add_nc_u64_e32 v[14:15], v[14:15], v[12:13]
	v_mov_b32_e32 v37, v24
	s_fmamk_f32 s0, s2, 0x4f800000, s0
	s_delay_alu instid0(SALU_CYCLE_3) | instskip(NEXT) | instid1(VALU_DEP_2)
	v_s_rcp_f32 s0, s0
	v_xor_b32_e32 v16, v14, v12
	s_delay_alu instid0(VALU_DEP_3) | instskip(NEXT) | instid1(TRANS32_DEP_1)
	v_xor_b32_e32 v36, v15, v12
	s_mul_f32 s0, s0, 0x5f7ffffc
	s_delay_alu instid0(SALU_CYCLE_3) | instskip(NEXT) | instid1(SALU_CYCLE_3)
	s_mul_f32 s2, s0, 0x2f800000
	s_trunc_f32 s2, s2
	s_delay_alu instid0(SALU_CYCLE_3) | instskip(SKIP_1) | instid1(SALU_CYCLE_2)
	s_fmamk_f32 s0, s2, 0xcf800000, s0
	s_cvt_u32_f32 s71, s2
	s_cvt_u32_f32 s70, s0
	s_delay_alu instid0(SALU_CYCLE_3) | instskip(NEXT) | instid1(SALU_CYCLE_1)
	s_mul_u64 s[74:75], s[72:73], s[70:71]
	s_mul_hi_u32 s77, s70, s75
	s_mul_i32 s76, s70, s75
	s_mul_hi_u32 s2, s70, s74
	s_mul_i32 s63, s71, s74
	s_add_nc_u64 s[76:77], s[2:3], s[76:77]
	s_mul_hi_u32 s0, s71, s74
	s_mul_hi_u32 s78, s71, s75
	s_add_co_u32 s2, s76, s63
	s_add_co_ci_u32 s2, s77, s0
	s_mul_i32 s74, s71, s75
	s_add_co_ci_u32 s75, s78, 0
	s_delay_alu instid0(SALU_CYCLE_1) | instskip(NEXT) | instid1(SALU_CYCLE_1)
	s_add_nc_u64 s[74:75], s[2:3], s[74:75]
	s_add_co_u32 s70, s70, s74
	s_cselect_b32 s0, -1, 0
	s_delay_alu instid0(SALU_CYCLE_1) | instskip(SKIP_1) | instid1(SALU_CYCLE_1)
	s_cmp_lg_u32 s0, 0
	s_add_co_ci_u32 s71, s71, s75
	s_mul_u64 s[72:73], s[72:73], s[70:71]
	s_delay_alu instid0(SALU_CYCLE_1)
	s_mul_hi_u32 s75, s70, s73
	s_mul_i32 s74, s70, s73
	s_mul_hi_u32 s2, s70, s72
	s_mul_i32 s63, s71, s72
	s_add_nc_u64 s[74:75], s[2:3], s[74:75]
	s_mul_hi_u32 s0, s71, s72
	s_mul_hi_u32 s76, s71, s73
	s_add_co_u32 s2, s74, s63
	s_add_co_ci_u32 s2, s75, s0
	s_mul_i32 s72, s71, s73
	s_add_co_ci_u32 s73, s76, 0
	s_delay_alu instid0(SALU_CYCLE_1) | instskip(NEXT) | instid1(SALU_CYCLE_1)
	s_add_nc_u64 s[72:73], s[2:3], s[72:73]
	s_add_co_u32 s0, s70, s72
	s_cselect_b32 s2, -1, 0
	v_mul_hi_u32 v40, v16, s0
	s_cmp_lg_u32 s2, 0
	s_add_co_ci_u32 s2, s71, s73
	s_and_b64 s[70:71], s[0:1], s[60:61]
	v_mul_u64_e32 v[18:19], s[2:3], v[16:17]
	v_mul_u64_e32 v[14:15], s[70:71], v[36:37]
	;; [unrolled: 1-line block ×3, first 2 shown]
	s_delay_alu instid0(VALU_DEP_3) | instskip(NEXT) | instid1(VALU_DEP_1)
	v_add_nc_u64_e32 v[18:19], v[40:41], v[18:19]
	v_add_co_u32 v14, vcc_lo, v18, v14
	s_delay_alu instid0(VALU_DEP_2) | instskip(NEXT) | instid1(VALU_DEP_4)
	v_add_co_ci_u32_e32 v40, vcc_lo, v19, v15, vcc_lo
	v_add_co_ci_u32_e32 v39, vcc_lo, 0, v39, vcc_lo
	s_delay_alu instid0(VALU_DEP_1) | instskip(NEXT) | instid1(VALU_DEP_1)
	v_add_nc_u64_e32 v[14:15], v[40:41], v[38:39]
	v_mul_u64_e32 v[14:15], s[64:65], v[14:15]
	s_delay_alu instid0(VALU_DEP_1) | instskip(NEXT) | instid1(VALU_DEP_2)
	v_sub_nc_u32_e32 v17, v36, v15
	v_sub_co_u32 v14, vcc_lo, v16, v14
	s_delay_alu instid0(VALU_DEP_1) | instskip(NEXT) | instid1(VALU_DEP_3)
	v_sub_co_ci_u32_e64 v15, null, v36, v15, vcc_lo
	v_subrev_co_ci_u32_e64 v16, null, s65, v17, vcc_lo
	s_delay_alu instid0(VALU_DEP_3) | instskip(SKIP_1) | instid1(VALU_DEP_3)
	v_sub_co_u32 v17, vcc_lo, v14, s64
	v_cmp_le_u32_e64 s0, s64, v14
	v_subrev_co_ci_u32_e64 v18, null, 0, v16, vcc_lo
	v_subrev_co_ci_u32_e64 v16, null, s65, v16, vcc_lo
	s_delay_alu instid0(VALU_DEP_3) | instskip(SKIP_2) | instid1(VALU_DEP_2)
	v_cndmask_b32_e64 v19, 0, -1, s0
	v_cmp_le_u32_e64 s0, s64, v17
	v_cmp_le_u32_e32 vcc_lo, s65, v15
	v_cndmask_b32_e64 v25, 0, -1, s0
	v_cmp_le_u32_e64 s0, s65, v18
	v_cndmask_b32_e64 v37, 0, -1, vcc_lo
	v_cmp_eq_u32_e32 vcc_lo, s65, v18
	s_delay_alu instid0(VALU_DEP_3) | instskip(SKIP_1) | instid1(VALU_DEP_2)
	v_cndmask_b32_e64 v36, 0, -1, s0
	v_cmp_eq_u32_e64 s0, s65, v15
	v_cndmask_b32_e32 v25, v36, v25, vcc_lo
	v_sub_co_u32 v36, vcc_lo, v17, s64
	s_delay_alu instid0(VALU_DEP_1) | instskip(NEXT) | instid1(VALU_DEP_3)
	v_subrev_co_ci_u32_e64 v16, null, 0, v16, vcc_lo
	v_cmp_ne_u32_e32 vcc_lo, 0, v25
	s_delay_alu instid0(VALU_DEP_2) | instskip(NEXT) | instid1(VALU_DEP_4)
	v_dual_cndmask_b32 v19, v37, v19, s0 :: v_dual_cndmask_b32 v16, v18, v16, vcc_lo
	v_cndmask_b32_e32 v17, v17, v36, vcc_lo
	s_delay_alu instid0(VALU_DEP_2) | instskip(NEXT) | instid1(VALU_DEP_2)
	v_cmp_ne_u32_e32 vcc_lo, 0, v19
	v_dual_cndmask_b32 v15, v15, v16 :: v_dual_cndmask_b32 v14, v14, v17
	s_delay_alu instid0(VALU_DEP_1) | instskip(NEXT) | instid1(VALU_DEP_2)
	v_xor_b32_e32 v15, v15, v12
	v_xor_b32_e32 v14, v14, v12
	s_delay_alu instid0(VALU_DEP_1)
	v_sub_nc_u64_e32 v[12:13], v[14:15], v[12:13]
                                        ; implicit-def: $vgpr14_vgpr15
.LBB24_33:                              ;   in Loop: Header=BB24_11 Depth=1
	s_and_not1_saveexec_b32 s0, s1
	s_cbranch_execz .LBB24_35
; %bb.34:                               ;   in Loop: Header=BB24_11 Depth=1
	v_cvt_f32_u32_e32 v12, s18
	s_sub_co_i32 s1, 0, s18
	s_delay_alu instid0(VALU_DEP_1) | instskip(SKIP_1) | instid1(TRANS32_DEP_1)
	v_rcp_iflag_f32_e32 v12, v12
	v_nop
	v_mul_f32_e32 v12, 0x4f7ffffe, v12
	s_delay_alu instid0(VALU_DEP_1) | instskip(NEXT) | instid1(VALU_DEP_1)
	v_cvt_u32_f32_e32 v12, v12
	v_mul_lo_u32 v13, s1, v12
	s_delay_alu instid0(VALU_DEP_1) | instskip(NEXT) | instid1(VALU_DEP_1)
	v_mul_hi_u32 v13, v12, v13
	v_add_nc_u32_e32 v12, v12, v13
	s_delay_alu instid0(VALU_DEP_1) | instskip(NEXT) | instid1(VALU_DEP_1)
	v_mul_hi_u32 v12, v14, v12
	v_mul_lo_u32 v12, v12, s18
	s_delay_alu instid0(VALU_DEP_1) | instskip(NEXT) | instid1(VALU_DEP_1)
	v_sub_nc_u32_e32 v12, v14, v12
	v_subrev_nc_u32_e32 v13, s18, v12
	v_cmp_le_u32_e32 vcc_lo, s18, v12
	s_delay_alu instid0(VALU_DEP_2) | instskip(NEXT) | instid1(VALU_DEP_1)
	v_cndmask_b32_e32 v12, v12, v13, vcc_lo
	v_subrev_nc_u32_e32 v13, s18, v12
	v_cmp_le_u32_e32 vcc_lo, s18, v12
	s_delay_alu instid0(VALU_DEP_2)
	v_cndmask_b32_e32 v12, v12, v13, vcc_lo
	v_mov_b32_e32 v13, v24
.LBB24_35:                              ;   in Loop: Header=BB24_11 Depth=1
	s_or_b32 exec_lo, exec_lo, s0
	s_delay_alu instid0(SALU_CYCLE_1)
	s_and_not1_b32 vcc_lo, exec_lo, s68
	s_cbranch_vccnz .LBB24_27
.LBB24_36:                              ;   in Loop: Header=BB24_11 Depth=1
	v_add_nc_u64_e32 v[14:15], s[58:59], v[0:1]
	s_mov_b32 s0, exec_lo
	s_delay_alu instid0(VALU_DEP_1) | instskip(NEXT) | instid1(VALU_DEP_1)
	v_mad_nc_u64_u32 v[36:37], s20, v30, v[14:15]
	v_mad_u32 v14, s21, v30, v37
	s_delay_alu instid0(VALU_DEP_1) | instskip(NEXT) | instid1(VALU_DEP_1)
	v_mad_u32 v37, s20, v31, v14
	v_or_b32_e32 v25, s19, v37
	s_delay_alu instid0(VALU_DEP_1)
	v_cmpx_ne_u64_e32 0, v[24:25]
	s_xor_b32 s1, exec_lo, s0
	s_cbranch_execz .LBB24_38
; %bb.37:                               ;   in Loop: Header=BB24_11 Depth=1
	s_ashr_i32 s64, s19, 31
	v_dual_mov_b32 v39, v24 :: v_dual_ashrrev_i32 v14, 31, v37
	s_mov_b32 s65, s64
	s_delay_alu instid0(SALU_CYCLE_1) | instskip(NEXT) | instid1(VALU_DEP_1)
	s_add_nc_u64 s[70:71], s[18:19], s[64:65]
	v_mov_b32_e32 v15, v14
	s_xor_b64 s[64:65], s[70:71], s[64:65]
	s_delay_alu instid0(SALU_CYCLE_1)
	s_cvt_f32_u32 s0, s64
	s_cvt_f32_u32 s2, s65
	s_sub_nc_u64 s[72:73], 0, s[64:65]
	v_add_nc_u64_e32 v[36:37], v[36:37], v[14:15]
	v_mov_b32_e32 v43, v24
	s_fmamk_f32 s0, s2, 0x4f800000, s0
	s_delay_alu instid0(SALU_CYCLE_3) | instskip(NEXT) | instid1(VALU_DEP_2)
	v_s_rcp_f32 s0, s0
	v_xor_b32_e32 v38, v36, v14
	s_delay_alu instid0(VALU_DEP_3) | instskip(NEXT) | instid1(TRANS32_DEP_1)
	v_dual_mov_b32 v47, v24 :: v_dual_bitop2_b32 v42, v37, v14 bitop3:0x14
	s_mul_f32 s0, s0, 0x5f7ffffc
	s_delay_alu instid0(SALU_CYCLE_3) | instskip(NEXT) | instid1(SALU_CYCLE_3)
	s_mul_f32 s2, s0, 0x2f800000
	s_trunc_f32 s2, s2
	s_delay_alu instid0(SALU_CYCLE_3) | instskip(SKIP_1) | instid1(SALU_CYCLE_2)
	s_fmamk_f32 s0, s2, 0xcf800000, s0
	s_cvt_u32_f32 s71, s2
	s_cvt_u32_f32 s70, s0
	s_delay_alu instid0(SALU_CYCLE_3) | instskip(NEXT) | instid1(SALU_CYCLE_1)
	s_mul_u64 s[74:75], s[72:73], s[70:71]
	s_mul_hi_u32 s77, s70, s75
	s_mul_i32 s76, s70, s75
	s_mul_hi_u32 s2, s70, s74
	s_mul_i32 s63, s71, s74
	s_add_nc_u64 s[76:77], s[2:3], s[76:77]
	s_mul_hi_u32 s0, s71, s74
	s_mul_hi_u32 s78, s71, s75
	s_add_co_u32 s2, s76, s63
	s_add_co_ci_u32 s2, s77, s0
	s_mul_i32 s74, s71, s75
	s_add_co_ci_u32 s75, s78, 0
	s_delay_alu instid0(SALU_CYCLE_1) | instskip(NEXT) | instid1(SALU_CYCLE_1)
	s_add_nc_u64 s[74:75], s[2:3], s[74:75]
	s_add_co_u32 s70, s70, s74
	s_cselect_b32 s0, -1, 0
	s_delay_alu instid0(SALU_CYCLE_1) | instskip(SKIP_1) | instid1(SALU_CYCLE_1)
	s_cmp_lg_u32 s0, 0
	s_add_co_ci_u32 s71, s71, s75
	s_mul_u64 s[72:73], s[72:73], s[70:71]
	s_delay_alu instid0(SALU_CYCLE_1)
	s_mul_hi_u32 s75, s70, s73
	s_mul_i32 s74, s70, s73
	s_mul_hi_u32 s2, s70, s72
	s_mul_i32 s63, s71, s72
	s_add_nc_u64 s[74:75], s[2:3], s[74:75]
	s_mul_hi_u32 s0, s71, s72
	s_mul_hi_u32 s76, s71, s73
	s_add_co_u32 s2, s74, s63
	s_add_co_ci_u32 s2, s75, s0
	s_mul_i32 s72, s71, s73
	s_add_co_ci_u32 s73, s76, 0
	s_delay_alu instid0(SALU_CYCLE_1) | instskip(NEXT) | instid1(SALU_CYCLE_1)
	s_add_nc_u64 s[72:73], s[2:3], s[72:73]
	s_add_co_u32 s0, s70, s72
	s_cselect_b32 s2, -1, 0
	v_mul_hi_u32 v46, v38, s0
	s_cmp_lg_u32 s2, 0
	s_add_co_ci_u32 s2, s71, s73
	s_and_b64 s[70:71], s[0:1], s[60:61]
	v_mul_u64_e32 v[40:41], s[2:3], v[38:39]
	v_mul_u64_e32 v[36:37], s[70:71], v[42:43]
	;; [unrolled: 1-line block ×3, first 2 shown]
	s_delay_alu instid0(VALU_DEP_3) | instskip(NEXT) | instid1(VALU_DEP_1)
	v_add_nc_u64_e32 v[40:41], v[46:47], v[40:41]
	v_add_co_u32 v25, vcc_lo, v40, v36
	s_delay_alu instid0(VALU_DEP_2) | instskip(NEXT) | instid1(VALU_DEP_4)
	v_add_co_ci_u32_e32 v46, vcc_lo, v41, v37, vcc_lo
	v_add_co_ci_u32_e32 v45, vcc_lo, 0, v45, vcc_lo
	s_delay_alu instid0(VALU_DEP_1) | instskip(NEXT) | instid1(VALU_DEP_1)
	v_add_nc_u64_e32 v[36:37], v[46:47], v[44:45]
	v_mul_u64_e32 v[36:37], s[64:65], v[36:37]
	s_delay_alu instid0(VALU_DEP_1) | instskip(NEXT) | instid1(VALU_DEP_2)
	v_sub_nc_u32_e32 v25, v42, v37
	v_sub_co_u32 v36, vcc_lo, v38, v36
	s_delay_alu instid0(VALU_DEP_1) | instskip(NEXT) | instid1(VALU_DEP_3)
	v_sub_co_ci_u32_e64 v37, null, v42, v37, vcc_lo
	v_subrev_co_ci_u32_e64 v25, null, s65, v25, vcc_lo
	s_delay_alu instid0(VALU_DEP_3) | instskip(SKIP_1) | instid1(VALU_DEP_3)
	v_sub_co_u32 v38, vcc_lo, v36, s64
	v_cmp_le_u32_e64 s0, s64, v36
	v_subrev_co_ci_u32_e64 v39, null, 0, v25, vcc_lo
	v_subrev_co_ci_u32_e64 v25, null, s65, v25, vcc_lo
	s_delay_alu instid0(VALU_DEP_3) | instskip(SKIP_2) | instid1(VALU_DEP_2)
	v_cndmask_b32_e64 v40, 0, -1, s0
	v_cmp_le_u32_e64 s0, s64, v38
	v_cmp_le_u32_e32 vcc_lo, s65, v37
	v_cndmask_b32_e64 v41, 0, -1, s0
	v_cmp_le_u32_e64 s0, s65, v39
	v_cndmask_b32_e64 v43, 0, -1, vcc_lo
	v_cmp_eq_u32_e32 vcc_lo, s65, v39
	s_delay_alu instid0(VALU_DEP_3) | instskip(SKIP_1) | instid1(VALU_DEP_1)
	v_cndmask_b32_e64 v42, 0, -1, s0
	v_cmp_eq_u32_e64 s0, s65, v37
	v_dual_cndmask_b32 v41, v42, v41, vcc_lo :: v_dual_cndmask_b32 v40, v43, v40, s0
	v_sub_co_u32 v42, vcc_lo, v38, s64
	s_delay_alu instid0(VALU_DEP_1) | instskip(NEXT) | instid1(VALU_DEP_3)
	v_subrev_co_ci_u32_e64 v25, null, 0, v25, vcc_lo
	v_cmp_ne_u32_e32 vcc_lo, 0, v41
	s_delay_alu instid0(VALU_DEP_2) | instskip(SKIP_1) | instid1(VALU_DEP_2)
	v_dual_cndmask_b32 v25, v39, v25 :: v_dual_cndmask_b32 v38, v38, v42
	v_cmp_ne_u32_e32 vcc_lo, 0, v40
	v_dual_cndmask_b32 v25, v37, v25 :: v_dual_cndmask_b32 v36, v36, v38
	s_delay_alu instid0(VALU_DEP_1) | instskip(NEXT) | instid1(VALU_DEP_2)
	v_xor_b32_e32 v37, v25, v14
	v_xor_b32_e32 v36, v36, v14
	s_delay_alu instid0(VALU_DEP_1)
	v_sub_nc_u64_e32 v[14:15], v[36:37], v[14:15]
                                        ; implicit-def: $vgpr36_vgpr37
.LBB24_38:                              ;   in Loop: Header=BB24_11 Depth=1
	s_and_not1_saveexec_b32 s0, s1
	s_cbranch_execz .LBB24_40
; %bb.39:                               ;   in Loop: Header=BB24_11 Depth=1
	v_cvt_f32_u32_e32 v14, s18
	s_sub_co_i32 s1, 0, s18
	s_delay_alu instid0(VALU_DEP_1) | instskip(SKIP_1) | instid1(TRANS32_DEP_1)
	v_rcp_iflag_f32_e32 v14, v14
	v_nop
	v_mul_f32_e32 v14, 0x4f7ffffe, v14
	s_delay_alu instid0(VALU_DEP_1) | instskip(NEXT) | instid1(VALU_DEP_1)
	v_cvt_u32_f32_e32 v14, v14
	v_mul_lo_u32 v15, s1, v14
	s_delay_alu instid0(VALU_DEP_1) | instskip(NEXT) | instid1(VALU_DEP_1)
	v_mul_hi_u32 v15, v14, v15
	v_add_nc_u32_e32 v14, v14, v15
	s_delay_alu instid0(VALU_DEP_1) | instskip(NEXT) | instid1(VALU_DEP_1)
	v_mul_hi_u32 v14, v36, v14
	v_mul_lo_u32 v14, v14, s18
	s_delay_alu instid0(VALU_DEP_1) | instskip(NEXT) | instid1(VALU_DEP_1)
	v_sub_nc_u32_e32 v14, v36, v14
	v_subrev_nc_u32_e32 v15, s18, v14
	v_cmp_le_u32_e32 vcc_lo, s18, v14
	s_delay_alu instid0(VALU_DEP_2) | instskip(NEXT) | instid1(VALU_DEP_1)
	v_cndmask_b32_e32 v14, v14, v15, vcc_lo
	v_subrev_nc_u32_e32 v15, s18, v14
	v_cmp_le_u32_e32 vcc_lo, s18, v14
	s_delay_alu instid0(VALU_DEP_2)
	v_dual_cndmask_b32 v14, v14, v15 :: v_dual_mov_b32 v15, v24
.LBB24_40:                              ;   in Loop: Header=BB24_11 Depth=1
	s_or_b32 exec_lo, exec_lo, s0
	s_delay_alu instid0(SALU_CYCLE_1)
	s_and_not1_b32 vcc_lo, exec_lo, s68
	s_cbranch_vccnz .LBB24_28
.LBB24_41:                              ;   in Loop: Header=BB24_11 Depth=1
	v_add_nc_u64_e32 v[16:17], s[54:55], v[0:1]
	s_mov_b32 s0, exec_lo
	s_delay_alu instid0(VALU_DEP_1) | instskip(NEXT) | instid1(VALU_DEP_1)
	v_mad_nc_u64_u32 v[36:37], s20, v32, v[16:17]
	v_mad_u32 v16, s21, v32, v37
	s_delay_alu instid0(VALU_DEP_1) | instskip(NEXT) | instid1(VALU_DEP_1)
	v_mad_u32 v37, s20, v33, v16
	v_or_b32_e32 v25, s19, v37
	s_delay_alu instid0(VALU_DEP_1)
	v_cmpx_ne_u64_e32 0, v[24:25]
	s_xor_b32 s1, exec_lo, s0
	s_cbranch_execz .LBB24_43
; %bb.42:                               ;   in Loop: Header=BB24_11 Depth=1
	s_ashr_i32 s64, s19, 31
	v_dual_mov_b32 v39, v24 :: v_dual_ashrrev_i32 v16, 31, v37
	s_mov_b32 s65, s64
	v_mov_b32_e32 v43, v24
	s_add_nc_u64 s[70:71], s[18:19], s[64:65]
	s_delay_alu instid0(VALU_DEP_2)
	v_mov_b32_e32 v17, v16
	s_xor_b64 s[64:65], s[70:71], s[64:65]
	v_mov_b32_e32 v47, v24
	s_cvt_f32_u32 s0, s64
	s_cvt_f32_u32 s2, s65
	s_sub_nc_u64 s[72:73], 0, s[64:65]
	v_add_nc_u64_e32 v[36:37], v[36:37], v[16:17]
	s_delay_alu instid0(SALU_CYCLE_1) | instskip(NEXT) | instid1(SALU_CYCLE_3)
	s_fmamk_f32 s0, s2, 0x4f800000, s0
	v_s_rcp_f32 s0, s0
	s_delay_alu instid0(VALU_DEP_1) | instskip(NEXT) | instid1(VALU_DEP_2)
	v_xor_b32_e32 v42, v37, v16
	v_xor_b32_e32 v38, v36, v16
	s_delay_alu instid0(TRANS32_DEP_1) | instskip(NEXT) | instid1(SALU_CYCLE_3)
	s_mul_f32 s0, s0, 0x5f7ffffc
	s_mul_f32 s2, s0, 0x2f800000
	s_delay_alu instid0(SALU_CYCLE_3) | instskip(NEXT) | instid1(SALU_CYCLE_3)
	s_trunc_f32 s2, s2
	s_fmamk_f32 s0, s2, 0xcf800000, s0
	s_cvt_u32_f32 s71, s2
	s_delay_alu instid0(SALU_CYCLE_2) | instskip(NEXT) | instid1(SALU_CYCLE_3)
	s_cvt_u32_f32 s70, s0
	s_mul_u64 s[74:75], s[72:73], s[70:71]
	s_delay_alu instid0(SALU_CYCLE_1)
	s_mul_hi_u32 s77, s70, s75
	s_mul_i32 s76, s70, s75
	s_mul_hi_u32 s2, s70, s74
	s_mul_i32 s63, s71, s74
	s_add_nc_u64 s[76:77], s[2:3], s[76:77]
	s_mul_hi_u32 s0, s71, s74
	s_mul_hi_u32 s78, s71, s75
	s_add_co_u32 s2, s76, s63
	s_add_co_ci_u32 s2, s77, s0
	s_mul_i32 s74, s71, s75
	s_add_co_ci_u32 s75, s78, 0
	s_delay_alu instid0(SALU_CYCLE_1) | instskip(NEXT) | instid1(SALU_CYCLE_1)
	s_add_nc_u64 s[74:75], s[2:3], s[74:75]
	s_add_co_u32 s70, s70, s74
	s_cselect_b32 s0, -1, 0
	s_delay_alu instid0(SALU_CYCLE_1) | instskip(SKIP_1) | instid1(SALU_CYCLE_1)
	s_cmp_lg_u32 s0, 0
	s_add_co_ci_u32 s71, s71, s75
	s_mul_u64 s[72:73], s[72:73], s[70:71]
	s_delay_alu instid0(SALU_CYCLE_1)
	s_mul_hi_u32 s75, s70, s73
	s_mul_i32 s74, s70, s73
	s_mul_hi_u32 s2, s70, s72
	s_mul_i32 s63, s71, s72
	s_add_nc_u64 s[74:75], s[2:3], s[74:75]
	s_mul_hi_u32 s0, s71, s72
	s_mul_hi_u32 s76, s71, s73
	s_add_co_u32 s2, s74, s63
	s_add_co_ci_u32 s2, s75, s0
	s_mul_i32 s72, s71, s73
	s_add_co_ci_u32 s73, s76, 0
	s_delay_alu instid0(SALU_CYCLE_1) | instskip(NEXT) | instid1(SALU_CYCLE_1)
	s_add_nc_u64 s[72:73], s[2:3], s[72:73]
	s_add_co_u32 s0, s70, s72
	s_cselect_b32 s2, -1, 0
	v_mul_hi_u32 v46, v38, s0
	s_cmp_lg_u32 s2, 0
	s_add_co_ci_u32 s2, s71, s73
	s_and_b64 s[70:71], s[0:1], s[60:61]
	v_mul_u64_e32 v[40:41], s[2:3], v[38:39]
	v_mul_u64_e32 v[36:37], s[70:71], v[42:43]
	;; [unrolled: 1-line block ×3, first 2 shown]
	s_delay_alu instid0(VALU_DEP_3) | instskip(NEXT) | instid1(VALU_DEP_1)
	v_add_nc_u64_e32 v[40:41], v[46:47], v[40:41]
	v_add_co_u32 v25, vcc_lo, v40, v36
	s_delay_alu instid0(VALU_DEP_2) | instskip(NEXT) | instid1(VALU_DEP_4)
	v_add_co_ci_u32_e32 v46, vcc_lo, v41, v37, vcc_lo
	v_add_co_ci_u32_e32 v45, vcc_lo, 0, v45, vcc_lo
	s_delay_alu instid0(VALU_DEP_1) | instskip(NEXT) | instid1(VALU_DEP_1)
	v_add_nc_u64_e32 v[36:37], v[46:47], v[44:45]
	v_mul_u64_e32 v[36:37], s[64:65], v[36:37]
	s_delay_alu instid0(VALU_DEP_1) | instskip(NEXT) | instid1(VALU_DEP_2)
	v_sub_nc_u32_e32 v25, v42, v37
	v_sub_co_u32 v36, vcc_lo, v38, v36
	s_delay_alu instid0(VALU_DEP_1) | instskip(NEXT) | instid1(VALU_DEP_3)
	v_sub_co_ci_u32_e64 v37, null, v42, v37, vcc_lo
	v_subrev_co_ci_u32_e64 v25, null, s65, v25, vcc_lo
	s_delay_alu instid0(VALU_DEP_3) | instskip(SKIP_1) | instid1(VALU_DEP_3)
	v_sub_co_u32 v38, vcc_lo, v36, s64
	v_cmp_le_u32_e64 s0, s64, v36
	v_subrev_co_ci_u32_e64 v39, null, 0, v25, vcc_lo
	v_subrev_co_ci_u32_e64 v25, null, s65, v25, vcc_lo
	s_delay_alu instid0(VALU_DEP_3) | instskip(SKIP_2) | instid1(VALU_DEP_2)
	v_cndmask_b32_e64 v40, 0, -1, s0
	v_cmp_le_u32_e64 s0, s64, v38
	v_cmp_le_u32_e32 vcc_lo, s65, v37
	v_cndmask_b32_e64 v41, 0, -1, s0
	v_cmp_le_u32_e64 s0, s65, v39
	v_cndmask_b32_e64 v43, 0, -1, vcc_lo
	v_cmp_eq_u32_e32 vcc_lo, s65, v39
	s_delay_alu instid0(VALU_DEP_3) | instskip(SKIP_1) | instid1(VALU_DEP_1)
	v_cndmask_b32_e64 v42, 0, -1, s0
	v_cmp_eq_u32_e64 s0, s65, v37
	v_dual_cndmask_b32 v41, v42, v41, vcc_lo :: v_dual_cndmask_b32 v40, v43, v40, s0
	v_sub_co_u32 v42, vcc_lo, v38, s64
	s_delay_alu instid0(VALU_DEP_1) | instskip(NEXT) | instid1(VALU_DEP_3)
	v_subrev_co_ci_u32_e64 v25, null, 0, v25, vcc_lo
	v_cmp_ne_u32_e32 vcc_lo, 0, v41
	s_delay_alu instid0(VALU_DEP_2) | instskip(SKIP_1) | instid1(VALU_DEP_2)
	v_dual_cndmask_b32 v25, v39, v25 :: v_dual_cndmask_b32 v38, v38, v42
	v_cmp_ne_u32_e32 vcc_lo, 0, v40
	v_dual_cndmask_b32 v25, v37, v25 :: v_dual_cndmask_b32 v36, v36, v38
	s_delay_alu instid0(VALU_DEP_1) | instskip(NEXT) | instid1(VALU_DEP_2)
	v_xor_b32_e32 v37, v25, v16
	v_xor_b32_e32 v36, v36, v16
	s_delay_alu instid0(VALU_DEP_1)
	v_sub_nc_u64_e32 v[16:17], v[36:37], v[16:17]
                                        ; implicit-def: $vgpr36_vgpr37
.LBB24_43:                              ;   in Loop: Header=BB24_11 Depth=1
	s_and_not1_saveexec_b32 s0, s1
	s_cbranch_execz .LBB24_45
; %bb.44:                               ;   in Loop: Header=BB24_11 Depth=1
	v_cvt_f32_u32_e32 v16, s18
	s_sub_co_i32 s1, 0, s18
	s_delay_alu instid0(VALU_DEP_1) | instskip(SKIP_1) | instid1(TRANS32_DEP_1)
	v_rcp_iflag_f32_e32 v16, v16
	v_nop
	v_mul_f32_e32 v16, 0x4f7ffffe, v16
	s_delay_alu instid0(VALU_DEP_1) | instskip(NEXT) | instid1(VALU_DEP_1)
	v_cvt_u32_f32_e32 v16, v16
	v_mul_lo_u32 v17, s1, v16
	s_delay_alu instid0(VALU_DEP_1) | instskip(NEXT) | instid1(VALU_DEP_1)
	v_mul_hi_u32 v17, v16, v17
	v_add_nc_u32_e32 v16, v16, v17
	s_delay_alu instid0(VALU_DEP_1) | instskip(NEXT) | instid1(VALU_DEP_1)
	v_mul_hi_u32 v16, v36, v16
	v_mul_lo_u32 v16, v16, s18
	s_delay_alu instid0(VALU_DEP_1) | instskip(NEXT) | instid1(VALU_DEP_1)
	v_sub_nc_u32_e32 v16, v36, v16
	v_subrev_nc_u32_e32 v17, s18, v16
	v_cmp_le_u32_e32 vcc_lo, s18, v16
	s_delay_alu instid0(VALU_DEP_2) | instskip(NEXT) | instid1(VALU_DEP_1)
	v_cndmask_b32_e32 v16, v16, v17, vcc_lo
	v_subrev_nc_u32_e32 v17, s18, v16
	v_cmp_le_u32_e32 vcc_lo, s18, v16
	s_delay_alu instid0(VALU_DEP_2)
	v_cndmask_b32_e32 v16, v16, v17, vcc_lo
	v_mov_b32_e32 v17, v24
.LBB24_45:                              ;   in Loop: Header=BB24_11 Depth=1
	s_or_b32 exec_lo, exec_lo, s0
	s_delay_alu instid0(SALU_CYCLE_1)
	s_and_not1_b32 vcc_lo, exec_lo, s68
	s_cbranch_vccnz .LBB24_10
.LBB24_46:                              ;   in Loop: Header=BB24_11 Depth=1
	v_add_nc_u64_e32 v[18:19], s[56:57], v[0:1]
	s_mov_b32 s0, exec_lo
	s_delay_alu instid0(VALU_DEP_1) | instskip(NEXT) | instid1(VALU_DEP_1)
	v_mad_nc_u64_u32 v[36:37], s20, v34, v[18:19]
	v_mad_u32 v18, s21, v34, v37
	s_delay_alu instid0(VALU_DEP_1) | instskip(NEXT) | instid1(VALU_DEP_1)
	v_mad_u32 v37, s20, v35, v18
	v_or_b32_e32 v25, s19, v37
	s_delay_alu instid0(VALU_DEP_1)
	v_cmpx_ne_u64_e32 0, v[24:25]
	s_xor_b32 s1, exec_lo, s0
	s_cbranch_execz .LBB24_48
; %bb.47:                               ;   in Loop: Header=BB24_11 Depth=1
	s_ashr_i32 s64, s19, 31
	v_dual_mov_b32 v39, v24 :: v_dual_ashrrev_i32 v18, 31, v37
	s_mov_b32 s65, s64
	s_delay_alu instid0(SALU_CYCLE_1) | instskip(NEXT) | instid1(VALU_DEP_1)
	s_add_nc_u64 s[70:71], s[18:19], s[64:65]
	v_mov_b32_e32 v19, v18
	s_xor_b64 s[64:65], s[70:71], s[64:65]
	s_delay_alu instid0(SALU_CYCLE_1)
	s_cvt_f32_u32 s0, s64
	s_cvt_f32_u32 s2, s65
	s_sub_nc_u64 s[72:73], 0, s[64:65]
	v_add_nc_u64_e32 v[36:37], v[36:37], v[18:19]
	v_mov_b32_e32 v43, v24
	s_fmamk_f32 s0, s2, 0x4f800000, s0
	s_delay_alu instid0(SALU_CYCLE_3) | instskip(NEXT) | instid1(VALU_DEP_2)
	v_s_rcp_f32 s0, s0
	v_xor_b32_e32 v38, v36, v18
	s_delay_alu instid0(VALU_DEP_3) | instskip(NEXT) | instid1(TRANS32_DEP_1)
	v_dual_mov_b32 v47, v24 :: v_dual_bitop2_b32 v42, v37, v18 bitop3:0x14
	s_mul_f32 s0, s0, 0x5f7ffffc
	s_delay_alu instid0(SALU_CYCLE_3) | instskip(NEXT) | instid1(SALU_CYCLE_3)
	s_mul_f32 s2, s0, 0x2f800000
	s_trunc_f32 s2, s2
	s_delay_alu instid0(SALU_CYCLE_3) | instskip(SKIP_1) | instid1(SALU_CYCLE_2)
	s_fmamk_f32 s0, s2, 0xcf800000, s0
	s_cvt_u32_f32 s71, s2
	s_cvt_u32_f32 s70, s0
	s_delay_alu instid0(SALU_CYCLE_3) | instskip(NEXT) | instid1(SALU_CYCLE_1)
	s_mul_u64 s[74:75], s[72:73], s[70:71]
	s_mul_hi_u32 s77, s70, s75
	s_mul_i32 s76, s70, s75
	s_mul_hi_u32 s2, s70, s74
	s_mul_i32 s63, s71, s74
	s_add_nc_u64 s[76:77], s[2:3], s[76:77]
	s_mul_hi_u32 s0, s71, s74
	s_mul_hi_u32 s78, s71, s75
	s_add_co_u32 s2, s76, s63
	s_add_co_ci_u32 s2, s77, s0
	s_mul_i32 s74, s71, s75
	s_add_co_ci_u32 s75, s78, 0
	s_delay_alu instid0(SALU_CYCLE_1) | instskip(NEXT) | instid1(SALU_CYCLE_1)
	s_add_nc_u64 s[74:75], s[2:3], s[74:75]
	s_add_co_u32 s70, s70, s74
	s_cselect_b32 s0, -1, 0
	s_delay_alu instid0(SALU_CYCLE_1) | instskip(SKIP_1) | instid1(SALU_CYCLE_1)
	s_cmp_lg_u32 s0, 0
	s_add_co_ci_u32 s71, s71, s75
	s_mul_u64 s[72:73], s[72:73], s[70:71]
	s_delay_alu instid0(SALU_CYCLE_1)
	s_mul_hi_u32 s75, s70, s73
	s_mul_i32 s74, s70, s73
	s_mul_hi_u32 s2, s70, s72
	s_mul_i32 s63, s71, s72
	s_add_nc_u64 s[74:75], s[2:3], s[74:75]
	s_mul_hi_u32 s0, s71, s72
	s_mul_hi_u32 s76, s71, s73
	s_add_co_u32 s2, s74, s63
	s_add_co_ci_u32 s2, s75, s0
	s_mul_i32 s72, s71, s73
	s_add_co_ci_u32 s73, s76, 0
	s_delay_alu instid0(SALU_CYCLE_1) | instskip(NEXT) | instid1(SALU_CYCLE_1)
	s_add_nc_u64 s[72:73], s[2:3], s[72:73]
	s_add_co_u32 s0, s70, s72
	s_cselect_b32 s2, -1, 0
	v_mul_hi_u32 v46, v38, s0
	s_cmp_lg_u32 s2, 0
	s_add_co_ci_u32 s2, s71, s73
	s_and_b64 s[70:71], s[0:1], s[60:61]
	v_mul_u64_e32 v[40:41], s[2:3], v[38:39]
	v_mul_u64_e32 v[36:37], s[70:71], v[42:43]
	;; [unrolled: 1-line block ×3, first 2 shown]
	s_delay_alu instid0(VALU_DEP_3) | instskip(NEXT) | instid1(VALU_DEP_1)
	v_add_nc_u64_e32 v[40:41], v[46:47], v[40:41]
	v_add_co_u32 v25, vcc_lo, v40, v36
	s_delay_alu instid0(VALU_DEP_2) | instskip(NEXT) | instid1(VALU_DEP_4)
	v_add_co_ci_u32_e32 v46, vcc_lo, v41, v37, vcc_lo
	v_add_co_ci_u32_e32 v45, vcc_lo, 0, v45, vcc_lo
	s_delay_alu instid0(VALU_DEP_1) | instskip(NEXT) | instid1(VALU_DEP_1)
	v_add_nc_u64_e32 v[36:37], v[46:47], v[44:45]
	v_mul_u64_e32 v[36:37], s[64:65], v[36:37]
	s_delay_alu instid0(VALU_DEP_1) | instskip(NEXT) | instid1(VALU_DEP_2)
	v_sub_nc_u32_e32 v25, v42, v37
	v_sub_co_u32 v36, vcc_lo, v38, v36
	s_delay_alu instid0(VALU_DEP_1) | instskip(NEXT) | instid1(VALU_DEP_3)
	v_sub_co_ci_u32_e64 v37, null, v42, v37, vcc_lo
	v_subrev_co_ci_u32_e64 v25, null, s65, v25, vcc_lo
	s_delay_alu instid0(VALU_DEP_3) | instskip(SKIP_1) | instid1(VALU_DEP_3)
	v_sub_co_u32 v38, vcc_lo, v36, s64
	v_cmp_le_u32_e64 s0, s64, v36
	v_subrev_co_ci_u32_e64 v39, null, 0, v25, vcc_lo
	v_subrev_co_ci_u32_e64 v25, null, s65, v25, vcc_lo
	s_delay_alu instid0(VALU_DEP_3) | instskip(SKIP_2) | instid1(VALU_DEP_2)
	v_cndmask_b32_e64 v40, 0, -1, s0
	v_cmp_le_u32_e64 s0, s64, v38
	v_cmp_le_u32_e32 vcc_lo, s65, v37
	v_cndmask_b32_e64 v41, 0, -1, s0
	v_cmp_le_u32_e64 s0, s65, v39
	v_cndmask_b32_e64 v43, 0, -1, vcc_lo
	v_cmp_eq_u32_e32 vcc_lo, s65, v39
	s_delay_alu instid0(VALU_DEP_3) | instskip(SKIP_1) | instid1(VALU_DEP_1)
	v_cndmask_b32_e64 v42, 0, -1, s0
	v_cmp_eq_u32_e64 s0, s65, v37
	v_dual_cndmask_b32 v41, v42, v41, vcc_lo :: v_dual_cndmask_b32 v40, v43, v40, s0
	v_sub_co_u32 v42, vcc_lo, v38, s64
	s_delay_alu instid0(VALU_DEP_1) | instskip(NEXT) | instid1(VALU_DEP_3)
	v_subrev_co_ci_u32_e64 v25, null, 0, v25, vcc_lo
	v_cmp_ne_u32_e32 vcc_lo, 0, v41
	s_delay_alu instid0(VALU_DEP_2) | instskip(SKIP_1) | instid1(VALU_DEP_2)
	v_dual_cndmask_b32 v25, v39, v25 :: v_dual_cndmask_b32 v38, v38, v42
	v_cmp_ne_u32_e32 vcc_lo, 0, v40
	v_dual_cndmask_b32 v25, v37, v25 :: v_dual_cndmask_b32 v36, v36, v38
	s_delay_alu instid0(VALU_DEP_1) | instskip(NEXT) | instid1(VALU_DEP_2)
	v_xor_b32_e32 v37, v25, v18
	v_xor_b32_e32 v36, v36, v18
	s_delay_alu instid0(VALU_DEP_1)
	v_sub_nc_u64_e32 v[18:19], v[36:37], v[18:19]
                                        ; implicit-def: $vgpr36_vgpr37
.LBB24_48:                              ;   in Loop: Header=BB24_11 Depth=1
	s_and_not1_saveexec_b32 s0, s1
	s_cbranch_execz .LBB24_9
; %bb.49:                               ;   in Loop: Header=BB24_11 Depth=1
	v_cvt_f32_u32_e32 v18, s18
	s_sub_co_i32 s1, 0, s18
	s_delay_alu instid0(VALU_DEP_1) | instskip(SKIP_1) | instid1(TRANS32_DEP_1)
	v_rcp_iflag_f32_e32 v18, v18
	v_nop
	v_mul_f32_e32 v18, 0x4f7ffffe, v18
	s_delay_alu instid0(VALU_DEP_1) | instskip(NEXT) | instid1(VALU_DEP_1)
	v_cvt_u32_f32_e32 v18, v18
	v_mul_lo_u32 v19, s1, v18
	s_delay_alu instid0(VALU_DEP_1) | instskip(NEXT) | instid1(VALU_DEP_1)
	v_mul_hi_u32 v19, v18, v19
	v_add_nc_u32_e32 v18, v18, v19
	s_delay_alu instid0(VALU_DEP_1) | instskip(NEXT) | instid1(VALU_DEP_1)
	v_mul_hi_u32 v18, v36, v18
	v_mul_lo_u32 v18, v18, s18
	s_delay_alu instid0(VALU_DEP_1) | instskip(NEXT) | instid1(VALU_DEP_1)
	v_sub_nc_u32_e32 v18, v36, v18
	v_subrev_nc_u32_e32 v19, s18, v18
	v_cmp_le_u32_e32 vcc_lo, s18, v18
	s_delay_alu instid0(VALU_DEP_2) | instskip(NEXT) | instid1(VALU_DEP_1)
	v_cndmask_b32_e32 v18, v18, v19, vcc_lo
	v_subrev_nc_u32_e32 v19, s18, v18
	v_cmp_le_u32_e32 vcc_lo, s18, v18
	s_delay_alu instid0(VALU_DEP_2)
	v_dual_cndmask_b32 v18, v18, v19 :: v_dual_mov_b32 v19, v24
	s_branch .LBB24_9
.LBB24_50:
	s_or_b32 exec_lo, exec_lo, s69
	v_mad_nc_u64_u32 v[2:3], v22, s16, v[2:3]
	v_cmp_ne_u64_e32 vcc_lo, v[20:21], v[22:23]
	v_mov_b64_e32 v[4:5], s[20:21]
	s_and_b32 s0, vcc_lo, exec_lo
	s_delay_alu instid0(VALU_DEP_3) | instskip(NEXT) | instid1(VALU_DEP_1)
	v_mad_u32 v0, v23, s16, v3
	v_mad_u32 v3, v22, s17, v0
	s_and_not1_saveexec_b32 s1, s66
	s_cbranch_execz .LBB24_7
.LBB24_51:
	v_mov_b64_e32 v[4:5], s[20:21]
	s_or_b32 s0, s0, exec_lo
	s_or_b32 exec_lo, exec_lo, s1
	s_delay_alu instid0(SALU_CYCLE_1)
	s_and_b32 exec_lo, exec_lo, s0
	s_cbranch_execz .LBB24_64
.LBB24_52:
	v_cvt_f32_u32_e32 v0, s12
	s_sub_co_i32 s0, 0, s12
	s_sub_nc_u64 s[2:3], 0, s[10:11]
	s_mov_b32 s1, 0
	s_ashr_i32 s10, s13, 31
	v_rcp_iflag_f32_e32 v0, v0
	s_mov_b64 s[20:21], 0xffffffff
	s_ashr_i32 s22, s19, 31
	s_sub_co_i32 s26, 0, s18
	s_mov_b32 s27, 0
	v_nop
	s_delay_alu instid0(TRANS32_DEP_1) | instskip(NEXT) | instid1(VALU_DEP_1)
	v_mul_f32_e32 v0, 0x4f7ffffe, v0
	v_cvt_u32_f32_e32 v1, v0
	s_delay_alu instid0(VALU_DEP_1) | instskip(NEXT) | instid1(VALU_DEP_1)
	v_mul_lo_u32 v0, s0, v1
	v_mul_hi_u32 v6, v1, v0
	s_delay_alu instid0(VALU_DEP_1)
	v_dual_mov_b32 v0, 0 :: v_dual_add_nc_u32 v12, v1, v6
	s_branch .LBB24_55
.LBB24_53:                              ;   in Loop: Header=BB24_55 Depth=1
	s_or_b32 exec_lo, exec_lo, s0
	s_delay_alu instid0(VALU_DEP_1) | instskip(NEXT) | instid1(VALU_DEP_1)
	v_ashrrev_i32_e32 v1, 31, v11
	v_and_b32_e32 v9, s19, v1
	v_and_b32_e32 v8, s18, v1
	s_delay_alu instid0(VALU_DEP_1) | instskip(NEXT) | instid1(VALU_DEP_1)
	v_add_nc_u64_e32 v[8:9], v[8:9], v[10:11]
	v_sub_nc_u64_e32 v[10:11], s[18:19], v[8:9]
	v_cmp_gt_i64_e32 vcc_lo, s[8:9], v[8:9]
	s_delay_alu instid0(VALU_DEP_2)
	v_dual_cndmask_b32 v9, v11, v9 :: v_dual_cndmask_b32 v8, v10, v8
.LBB24_54:                              ;   in Loop: Header=BB24_55 Depth=1
	v_mad_nc_u64_u32 v[10:11], v6, s8, s[4:5]
	s_delay_alu instid0(VALU_DEP_1) | instskip(NEXT) | instid1(VALU_DEP_1)
	v_mad_u32 v1, v7, s8, v11
	v_mad_u32 v11, v6, s9, v1
	s_delay_alu instid0(VALU_DEP_1) | instskip(SKIP_4) | instid1(VALU_DEP_1)
	v_add_nc_u64_e32 v[6:7], v[10:11], v[8:9]
	global_load_u8 v1, v[6:7], off
	s_wait_xcnt 0x0
	v_add_nc_u64_e32 v[6:7], s[6:7], v[2:3]
	v_add_nc_u64_e32 v[2:3], s[16:17], v[2:3]
	v_cmp_le_i64_e32 vcc_lo, s[14:15], v[2:3]
	s_or_b32 s27, vcc_lo, s27
	s_wait_loadcnt 0x0
	global_store_b8 v[6:7], v1, off
	s_wait_xcnt 0x0
	s_and_not1_b32 exec_lo, exec_lo, s27
	s_cbranch_execz .LBB24_64
.LBB24_55:                              ; =>This Inner Loop Header: Depth=1
	v_or_b32_e32 v1, s13, v3
                                        ; implicit-def: $vgpr6_vgpr7
	s_mov_b32 s0, exec_lo
	s_delay_alu instid0(VALU_DEP_1)
	v_cmpx_ne_u64_e32 0, v[0:1]
	s_xor_b32 s23, exec_lo, s0
	s_cbranch_execnz .LBB24_58
; %bb.56:                               ;   in Loop: Header=BB24_55 Depth=1
	s_and_not1_saveexec_b32 s0, s23
	s_cbranch_execnz .LBB24_59
.LBB24_57:                              ;   in Loop: Header=BB24_55 Depth=1
	s_or_b32 exec_lo, exec_lo, s0
	v_mov_b64_e32 v[8:9], 0
	s_and_not1_b32 vcc_lo, exec_lo, s33
	s_cbranch_vccnz .LBB24_54
	s_branch .LBB24_60
.LBB24_58:                              ;   in Loop: Header=BB24_55 Depth=1
	s_mov_b32 s11, s10
	v_dual_mov_b32 v11, v0 :: v_dual_ashrrev_i32 v6, 31, v3
	s_add_nc_u64 s[24:25], s[12:13], s[10:11]
	v_mov_b32_e32 v21, v0
	s_xor_b64 s[24:25], s[24:25], s[10:11]
	s_delay_alu instid0(VALU_DEP_2) | instskip(SKIP_3) | instid1(VALU_DEP_1)
	v_mov_b32_e32 v7, v6
	s_cvt_f32_u32 s0, s24
	s_cvt_f32_u32 s11, s25
	s_sub_nc_u64 s[30:31], 0, s[24:25]
	v_add_nc_u64_e32 v[8:9], v[2:3], v[6:7]
	s_delay_alu instid0(SALU_CYCLE_1) | instskip(SKIP_1) | instid1(SALU_CYCLE_2)
	s_fmamk_f32 s0, s11, 0x4f800000, s0
	v_mov_b32_e32 v17, v0
	v_s_rcp_f32 s0, s0
	s_delay_alu instid0(VALU_DEP_2) | instskip(NEXT) | instid1(VALU_DEP_3)
	v_xor_b32_e32 v10, v8, v6
	v_xor_b32_e32 v16, v9, v6
	;; [unrolled: 1-line block ×3, first 2 shown]
	s_delay_alu instid0(TRANS32_DEP_1) | instskip(NEXT) | instid1(SALU_CYCLE_3)
	s_mul_f32 s0, s0, 0x5f7ffffc
	s_mul_f32 s11, s0, 0x2f800000
	s_delay_alu instid0(SALU_CYCLE_3) | instskip(NEXT) | instid1(SALU_CYCLE_3)
	s_trunc_f32 s11, s11
	s_fmamk_f32 s0, s11, 0xcf800000, s0
	s_cvt_u32_f32 s29, s11
	s_delay_alu instid0(SALU_CYCLE_2) | instskip(NEXT) | instid1(SALU_CYCLE_3)
	s_cvt_u32_f32 s28, s0
	s_mul_u64 s[34:35], s[30:31], s[28:29]
	s_delay_alu instid0(SALU_CYCLE_1)
	s_mul_hi_u32 s37, s28, s35
	s_mul_i32 s36, s28, s35
	s_mul_hi_u32 s0, s28, s34
	s_mul_i32 s38, s29, s34
	s_add_nc_u64 s[36:37], s[0:1], s[36:37]
	s_mul_hi_u32 s11, s29, s34
	s_mul_hi_u32 s39, s29, s35
	s_add_co_u32 s0, s36, s38
	s_add_co_ci_u32 s0, s37, s11
	s_mul_i32 s34, s29, s35
	s_add_co_ci_u32 s35, s39, 0
	s_delay_alu instid0(SALU_CYCLE_1) | instskip(NEXT) | instid1(SALU_CYCLE_1)
	s_add_nc_u64 s[34:35], s[0:1], s[34:35]
	s_add_co_u32 s28, s28, s34
	s_cselect_b32 s0, -1, 0
	s_delay_alu instid0(SALU_CYCLE_1) | instskip(SKIP_1) | instid1(SALU_CYCLE_1)
	s_cmp_lg_u32 s0, 0
	s_add_co_ci_u32 s29, s29, s35
	s_mul_u64 s[30:31], s[30:31], s[28:29]
	s_delay_alu instid0(SALU_CYCLE_1)
	s_mul_hi_u32 s35, s28, s31
	s_mul_i32 s34, s28, s31
	s_mul_hi_u32 s0, s28, s30
	s_mul_i32 s36, s29, s30
	s_add_nc_u64 s[34:35], s[0:1], s[34:35]
	s_mul_hi_u32 s11, s29, s30
	s_mul_hi_u32 s37, s29, s31
	s_add_co_u32 s0, s34, s36
	s_add_co_ci_u32 s0, s35, s11
	s_mul_i32 s30, s29, s31
	s_add_co_ci_u32 s31, s37, 0
	s_delay_alu instid0(SALU_CYCLE_1) | instskip(NEXT) | instid1(SALU_CYCLE_1)
	s_add_nc_u64 s[30:31], s[0:1], s[30:31]
	s_add_co_u32 s28, s28, s30
	s_cselect_b32 s0, -1, 0
	v_mul_hi_u32 v20, v10, s28
	s_cmp_lg_u32 s0, 0
	s_add_co_ci_u32 s0, s29, s31
	s_and_b64 s[30:31], s[28:29], s[20:21]
	v_mul_u64_e32 v[14:15], s[0:1], v[10:11]
	v_mul_u64_e32 v[8:9], s[30:31], v[16:17]
	;; [unrolled: 1-line block ×3, first 2 shown]
	s_delay_alu instid0(VALU_DEP_3) | instskip(NEXT) | instid1(VALU_DEP_1)
	v_add_nc_u64_e32 v[14:15], v[20:21], v[14:15]
	v_add_co_u32 v1, vcc_lo, v14, v8
	s_delay_alu instid0(VALU_DEP_2) | instskip(NEXT) | instid1(VALU_DEP_4)
	v_add_co_ci_u32_e32 v20, vcc_lo, v15, v9, vcc_lo
	v_add_co_ci_u32_e32 v19, vcc_lo, 0, v19, vcc_lo
	s_delay_alu instid0(VALU_DEP_1) | instskip(NEXT) | instid1(VALU_DEP_1)
	v_add_nc_u64_e32 v[8:9], v[20:21], v[18:19]
	v_mul_u64_e32 v[14:15], s[24:25], v[8:9]
	s_delay_alu instid0(VALU_DEP_1) | instskip(NEXT) | instid1(VALU_DEP_2)
	v_sub_nc_u32_e32 v1, v16, v15
	v_sub_co_u32 v7, vcc_lo, v10, v14
	s_delay_alu instid0(VALU_DEP_1) | instskip(NEXT) | instid1(VALU_DEP_3)
	v_sub_co_ci_u32_e64 v13, null, v16, v15, vcc_lo
	v_subrev_co_ci_u32_e64 v1, null, s25, v1, vcc_lo
	s_delay_alu instid0(VALU_DEP_3) | instskip(SKIP_1) | instid1(VALU_DEP_3)
	v_sub_co_u32 v10, s0, v7, s24
	v_add_nc_u64_e32 v[14:15], 1, v[8:9]
	v_subrev_co_ci_u32_e64 v1, null, 0, v1, s0
	s_delay_alu instid0(VALU_DEP_3) | instskip(SKIP_1) | instid1(VALU_DEP_3)
	v_cmp_le_u32_e32 vcc_lo, s24, v10
	v_cndmask_b32_e64 v10, 0, -1, vcc_lo
	v_cmp_le_u32_e32 vcc_lo, s25, v1
	v_cndmask_b32_e64 v11, 0, -1, vcc_lo
	;; [unrolled: 2-line block ×4, first 2 shown]
	v_cmp_eq_u32_e32 vcc_lo, s25, v1
	v_cndmask_b32_e32 v1, v11, v10, vcc_lo
	v_cmp_eq_u32_e32 vcc_lo, s25, v13
	v_add_nc_u64_e32 v[10:11], 2, v[8:9]
	v_cndmask_b32_e32 v7, v16, v7, vcc_lo
	s_delay_alu instid0(VALU_DEP_4) | instskip(NEXT) | instid1(VALU_DEP_2)
	v_cmp_ne_u32_e32 vcc_lo, 0, v1
	v_cmp_ne_u32_e64 s0, 0, v7
	s_delay_alu instid0(VALU_DEP_4) | instskip(NEXT) | instid1(VALU_DEP_1)
	v_dual_cndmask_b32 v1, v15, v11, vcc_lo :: v_dual_cndmask_b32 v7, v14, v10, vcc_lo
	v_dual_cndmask_b32 v8, v8, v7, s0 :: v_dual_mov_b32 v7, v6
	s_delay_alu instid0(VALU_DEP_1) | instskip(NEXT) | instid1(VALU_DEP_1)
	v_dual_cndmask_b32 v1, v9, v1, s0 :: v_dual_bitop2_b32 v8, v8, v6 bitop3:0x14
	v_xor_b32_e32 v9, v1, v6
	s_delay_alu instid0(VALU_DEP_1)
	v_sub_nc_u64_e32 v[6:7], v[8:9], v[6:7]
	s_and_not1_saveexec_b32 s0, s23
	s_cbranch_execz .LBB24_57
.LBB24_59:                              ;   in Loop: Header=BB24_55 Depth=1
	v_mul_hi_u32 v1, v2, v12
	s_delay_alu instid0(VALU_DEP_1) | instskip(NEXT) | instid1(VALU_DEP_1)
	v_mul_lo_u32 v6, v1, s12
	v_dual_add_nc_u32 v7, 1, v1 :: v_dual_sub_nc_u32 v6, v2, v6
	s_delay_alu instid0(VALU_DEP_1) | instskip(SKIP_1) | instid1(VALU_DEP_2)
	v_subrev_nc_u32_e32 v8, s12, v6
	v_cmp_le_u32_e32 vcc_lo, s12, v6
	v_dual_cndmask_b32 v6, v6, v8 :: v_dual_cndmask_b32 v1, v1, v7
	s_delay_alu instid0(VALU_DEP_1) | instskip(NEXT) | instid1(VALU_DEP_2)
	v_cmp_le_u32_e32 vcc_lo, s12, v6
	v_add_nc_u32_e32 v7, 1, v1
	s_delay_alu instid0(VALU_DEP_1)
	v_dual_cndmask_b32 v6, v1, v7 :: v_dual_mov_b32 v7, v0
	s_or_b32 exec_lo, exec_lo, s0
	v_mov_b64_e32 v[8:9], 0
	s_and_not1_b32 vcc_lo, exec_lo, s33
	s_cbranch_vccnz .LBB24_54
.LBB24_60:                              ;   in Loop: Header=BB24_55 Depth=1
	v_add_nc_u64_e32 v[8:9], s[2:3], v[2:3]
                                        ; implicit-def: $vgpr10_vgpr11
	s_mov_b32 s0, exec_lo
	s_delay_alu instid0(VALU_DEP_1) | instskip(NEXT) | instid1(VALU_DEP_1)
	v_mad_nc_u64_u32 v[8:9], v4, v6, v[8:9]
	v_mad_u32 v1, v5, v6, v9
	s_delay_alu instid0(VALU_DEP_1) | instskip(NEXT) | instid1(VALU_DEP_1)
	v_mad_u32 v9, v4, v7, v1
	v_or_b32_e32 v1, s19, v9
	s_delay_alu instid0(VALU_DEP_1)
	v_cmpx_ne_u64_e32 0, v[0:1]
	s_xor_b32 s11, exec_lo, s0
	s_cbranch_execz .LBB24_62
; %bb.61:                               ;   in Loop: Header=BB24_55 Depth=1
	s_mov_b32 s23, s22
	v_dual_mov_b32 v15, v0 :: v_dual_ashrrev_i32 v10, 31, v9
	s_add_nc_u64 s[24:25], s[18:19], s[22:23]
	s_delay_alu instid0(SALU_CYCLE_1) | instskip(NEXT) | instid1(VALU_DEP_1)
	s_xor_b64 s[24:25], s[24:25], s[22:23]
	v_mov_b32_e32 v11, v10
	s_cvt_f32_u32 s0, s24
	s_cvt_f32_u32 s23, s25
	s_sub_nc_u64 s[30:31], 0, s[24:25]
	s_delay_alu instid0(VALU_DEP_1) | instskip(NEXT) | instid1(SALU_CYCLE_1)
	v_add_nc_u64_e32 v[8:9], v[8:9], v[10:11]
	s_fmamk_f32 s0, s23, 0x4f800000, s0
	v_mov_b32_e32 v19, v0
	s_delay_alu instid0(SALU_CYCLE_2) | instskip(NEXT) | instid1(VALU_DEP_2)
	v_s_rcp_f32 s0, s0
	v_xor_b32_e32 v14, v8, v10
	s_delay_alu instid0(VALU_DEP_3) | instskip(NEXT) | instid1(TRANS32_DEP_1)
	v_dual_mov_b32 v23, v0 :: v_dual_bitop2_b32 v18, v9, v10 bitop3:0x14
	s_mul_f32 s0, s0, 0x5f7ffffc
	s_delay_alu instid0(SALU_CYCLE_3) | instskip(NEXT) | instid1(SALU_CYCLE_3)
	s_mul_f32 s23, s0, 0x2f800000
	s_trunc_f32 s23, s23
	s_delay_alu instid0(SALU_CYCLE_3) | instskip(SKIP_1) | instid1(SALU_CYCLE_2)
	s_fmamk_f32 s0, s23, 0xcf800000, s0
	s_cvt_u32_f32 s29, s23
	s_cvt_u32_f32 s28, s0
	s_delay_alu instid0(SALU_CYCLE_3) | instskip(NEXT) | instid1(SALU_CYCLE_1)
	s_mul_u64 s[34:35], s[30:31], s[28:29]
	s_mul_hi_u32 s37, s28, s35
	s_mul_i32 s36, s28, s35
	s_mul_hi_u32 s0, s28, s34
	s_mul_i32 s38, s29, s34
	s_add_nc_u64 s[36:37], s[0:1], s[36:37]
	s_mul_hi_u32 s23, s29, s34
	s_mul_hi_u32 s39, s29, s35
	s_add_co_u32 s0, s36, s38
	s_add_co_ci_u32 s0, s37, s23
	s_mul_i32 s34, s29, s35
	s_add_co_ci_u32 s35, s39, 0
	s_delay_alu instid0(SALU_CYCLE_1) | instskip(NEXT) | instid1(SALU_CYCLE_1)
	s_add_nc_u64 s[34:35], s[0:1], s[34:35]
	s_add_co_u32 s28, s28, s34
	s_cselect_b32 s0, -1, 0
	s_delay_alu instid0(SALU_CYCLE_1) | instskip(SKIP_1) | instid1(SALU_CYCLE_1)
	s_cmp_lg_u32 s0, 0
	s_add_co_ci_u32 s29, s29, s35
	s_mul_u64 s[30:31], s[30:31], s[28:29]
	s_delay_alu instid0(SALU_CYCLE_1)
	s_mul_hi_u32 s35, s28, s31
	s_mul_i32 s34, s28, s31
	s_mul_hi_u32 s0, s28, s30
	s_mul_i32 s36, s29, s30
	s_add_nc_u64 s[34:35], s[0:1], s[34:35]
	s_mul_hi_u32 s23, s29, s30
	s_mul_hi_u32 s37, s29, s31
	s_add_co_u32 s0, s34, s36
	s_add_co_ci_u32 s0, s35, s23
	s_mul_i32 s30, s29, s31
	s_add_co_ci_u32 s31, s37, 0
	s_delay_alu instid0(SALU_CYCLE_1) | instskip(NEXT) | instid1(SALU_CYCLE_1)
	s_add_nc_u64 s[30:31], s[0:1], s[30:31]
	s_add_co_u32 s28, s28, s30
	s_cselect_b32 s0, -1, 0
	v_mul_hi_u32 v22, v14, s28
	s_cmp_lg_u32 s0, 0
	s_add_co_ci_u32 s0, s29, s31
	s_and_b64 s[30:31], s[28:29], s[20:21]
	v_mul_u64_e32 v[16:17], s[0:1], v[14:15]
	v_mul_u64_e32 v[8:9], s[30:31], v[18:19]
	;; [unrolled: 1-line block ×3, first 2 shown]
	s_delay_alu instid0(VALU_DEP_3) | instskip(NEXT) | instid1(VALU_DEP_1)
	v_add_nc_u64_e32 v[16:17], v[22:23], v[16:17]
	v_add_co_u32 v1, vcc_lo, v16, v8
	s_delay_alu instid0(VALU_DEP_2) | instskip(NEXT) | instid1(VALU_DEP_4)
	v_add_co_ci_u32_e32 v22, vcc_lo, v17, v9, vcc_lo
	v_add_co_ci_u32_e32 v21, vcc_lo, 0, v21, vcc_lo
	s_delay_alu instid0(VALU_DEP_1) | instskip(NEXT) | instid1(VALU_DEP_1)
	v_add_nc_u64_e32 v[8:9], v[22:23], v[20:21]
	v_mul_u64_e32 v[8:9], s[24:25], v[8:9]
	s_delay_alu instid0(VALU_DEP_1) | instskip(NEXT) | instid1(VALU_DEP_2)
	v_sub_nc_u32_e32 v1, v18, v9
	v_sub_co_u32 v8, vcc_lo, v14, v8
	s_delay_alu instid0(VALU_DEP_1) | instskip(NEXT) | instid1(VALU_DEP_3)
	v_sub_co_ci_u32_e64 v9, null, v18, v9, vcc_lo
	v_subrev_co_ci_u32_e64 v1, null, s25, v1, vcc_lo
	s_delay_alu instid0(VALU_DEP_3) | instskip(SKIP_1) | instid1(VALU_DEP_3)
	v_sub_co_u32 v13, vcc_lo, v8, s24
	v_cmp_le_u32_e64 s0, s24, v8
	v_subrev_co_ci_u32_e64 v14, null, 0, v1, vcc_lo
	v_subrev_co_ci_u32_e64 v1, null, s25, v1, vcc_lo
	s_delay_alu instid0(VALU_DEP_3) | instskip(SKIP_2) | instid1(VALU_DEP_2)
	v_cndmask_b32_e64 v15, 0, -1, s0
	v_cmp_le_u32_e64 s0, s24, v13
	v_cmp_le_u32_e32 vcc_lo, s25, v9
	v_cndmask_b32_e64 v16, 0, -1, s0
	v_cmp_le_u32_e64 s0, s25, v14
	v_cndmask_b32_e64 v18, 0, -1, vcc_lo
	v_cmp_eq_u32_e32 vcc_lo, s25, v14
	s_delay_alu instid0(VALU_DEP_3) | instskip(SKIP_1) | instid1(VALU_DEP_1)
	v_cndmask_b32_e64 v17, 0, -1, s0
	v_cmp_eq_u32_e64 s0, s25, v9
	v_dual_cndmask_b32 v16, v17, v16, vcc_lo :: v_dual_cndmask_b32 v15, v18, v15, s0
	v_sub_co_u32 v17, vcc_lo, v13, s24
	s_delay_alu instid0(VALU_DEP_1) | instskip(NEXT) | instid1(VALU_DEP_3)
	v_subrev_co_ci_u32_e64 v1, null, 0, v1, vcc_lo
	v_cmp_ne_u32_e32 vcc_lo, 0, v16
	s_delay_alu instid0(VALU_DEP_2) | instskip(NEXT) | instid1(VALU_DEP_4)
	v_cndmask_b32_e32 v1, v14, v1, vcc_lo
	v_cndmask_b32_e32 v13, v13, v17, vcc_lo
	v_cmp_ne_u32_e32 vcc_lo, 0, v15
	s_delay_alu instid0(VALU_DEP_2) | instskip(NEXT) | instid1(VALU_DEP_1)
	v_cndmask_b32_e32 v8, v8, v13, vcc_lo
	v_dual_cndmask_b32 v1, v9, v1, vcc_lo :: v_dual_bitop2_b32 v8, v8, v10 bitop3:0x14
	s_delay_alu instid0(VALU_DEP_1) | instskip(NEXT) | instid1(VALU_DEP_1)
	v_xor_b32_e32 v9, v1, v10
	v_sub_nc_u64_e32 v[10:11], v[8:9], v[10:11]
                                        ; implicit-def: $vgpr8_vgpr9
.LBB24_62:                              ;   in Loop: Header=BB24_55 Depth=1
	s_and_not1_saveexec_b32 s0, s11
	s_cbranch_execz .LBB24_53
; %bb.63:                               ;   in Loop: Header=BB24_55 Depth=1
	v_cvt_f32_u32_e32 v1, s18
	v_mov_b32_e32 v11, v0
	s_delay_alu instid0(VALU_DEP_2) | instskip(SKIP_1) | instid1(TRANS32_DEP_1)
	v_rcp_iflag_f32_e32 v1, v1
	v_nop
	v_mul_f32_e32 v1, 0x4f7ffffe, v1
	s_delay_alu instid0(VALU_DEP_1) | instskip(NEXT) | instid1(VALU_DEP_1)
	v_cvt_u32_f32_e32 v1, v1
	v_mul_lo_u32 v9, s26, v1
	s_delay_alu instid0(VALU_DEP_1) | instskip(NEXT) | instid1(VALU_DEP_1)
	v_mul_hi_u32 v9, v1, v9
	v_add_nc_u32_e32 v1, v1, v9
	s_delay_alu instid0(VALU_DEP_1) | instskip(NEXT) | instid1(VALU_DEP_1)
	v_mul_hi_u32 v1, v8, v1
	v_mul_lo_u32 v1, v1, s18
	s_delay_alu instid0(VALU_DEP_1) | instskip(NEXT) | instid1(VALU_DEP_1)
	v_sub_nc_u32_e32 v1, v8, v1
	v_subrev_nc_u32_e32 v8, s18, v1
	v_cmp_le_u32_e32 vcc_lo, s18, v1
	s_delay_alu instid0(VALU_DEP_2) | instskip(NEXT) | instid1(VALU_DEP_1)
	v_cndmask_b32_e32 v1, v1, v8, vcc_lo
	v_subrev_nc_u32_e32 v8, s18, v1
	v_cmp_le_u32_e32 vcc_lo, s18, v1
	s_delay_alu instid0(VALU_DEP_2)
	v_cndmask_b32_e32 v10, v1, v8, vcc_lo
	s_branch .LBB24_53
.LBB24_64:
	s_endpgm
	.section	.rodata,"a",@progbits
	.p2align	6, 0x0
	.amdhsa_kernel _ZN2at6native12_GLOBAL__N_121reflection_pad1d_flatIhEEvPKT_PS3_lllll
		.amdhsa_group_segment_fixed_size 0
		.amdhsa_private_segment_fixed_size 0
		.amdhsa_kernarg_size 312
		.amdhsa_user_sgpr_count 2
		.amdhsa_user_sgpr_dispatch_ptr 0
		.amdhsa_user_sgpr_queue_ptr 0
		.amdhsa_user_sgpr_kernarg_segment_ptr 1
		.amdhsa_user_sgpr_dispatch_id 0
		.amdhsa_user_sgpr_kernarg_preload_length 0
		.amdhsa_user_sgpr_kernarg_preload_offset 0
		.amdhsa_user_sgpr_private_segment_size 0
		.amdhsa_wavefront_size32 1
		.amdhsa_uses_dynamic_stack 0
		.amdhsa_enable_private_segment 0
		.amdhsa_system_sgpr_workgroup_id_x 1
		.amdhsa_system_sgpr_workgroup_id_y 0
		.amdhsa_system_sgpr_workgroup_id_z 0
		.amdhsa_system_sgpr_workgroup_info 0
		.amdhsa_system_vgpr_workitem_id 0
		.amdhsa_next_free_vgpr 52
		.amdhsa_next_free_sgpr 79
		.amdhsa_named_barrier_count 0
		.amdhsa_reserve_vcc 1
		.amdhsa_float_round_mode_32 0
		.amdhsa_float_round_mode_16_64 0
		.amdhsa_float_denorm_mode_32 3
		.amdhsa_float_denorm_mode_16_64 3
		.amdhsa_fp16_overflow 0
		.amdhsa_memory_ordered 1
		.amdhsa_forward_progress 1
		.amdhsa_inst_pref_size 77
		.amdhsa_round_robin_scheduling 0
		.amdhsa_exception_fp_ieee_invalid_op 0
		.amdhsa_exception_fp_denorm_src 0
		.amdhsa_exception_fp_ieee_div_zero 0
		.amdhsa_exception_fp_ieee_overflow 0
		.amdhsa_exception_fp_ieee_underflow 0
		.amdhsa_exception_fp_ieee_inexact 0
		.amdhsa_exception_int_div_zero 0
	.end_amdhsa_kernel
	.section	.text._ZN2at6native12_GLOBAL__N_121reflection_pad1d_flatIhEEvPKT_PS3_lllll,"axG",@progbits,_ZN2at6native12_GLOBAL__N_121reflection_pad1d_flatIhEEvPKT_PS3_lllll,comdat
.Lfunc_end24:
	.size	_ZN2at6native12_GLOBAL__N_121reflection_pad1d_flatIhEEvPKT_PS3_lllll, .Lfunc_end24-_ZN2at6native12_GLOBAL__N_121reflection_pad1d_flatIhEEvPKT_PS3_lllll
                                        ; -- End function
	.set _ZN2at6native12_GLOBAL__N_121reflection_pad1d_flatIhEEvPKT_PS3_lllll.num_vgpr, 52
	.set _ZN2at6native12_GLOBAL__N_121reflection_pad1d_flatIhEEvPKT_PS3_lllll.num_agpr, 0
	.set _ZN2at6native12_GLOBAL__N_121reflection_pad1d_flatIhEEvPKT_PS3_lllll.numbered_sgpr, 79
	.set _ZN2at6native12_GLOBAL__N_121reflection_pad1d_flatIhEEvPKT_PS3_lllll.num_named_barrier, 0
	.set _ZN2at6native12_GLOBAL__N_121reflection_pad1d_flatIhEEvPKT_PS3_lllll.private_seg_size, 0
	.set _ZN2at6native12_GLOBAL__N_121reflection_pad1d_flatIhEEvPKT_PS3_lllll.uses_vcc, 1
	.set _ZN2at6native12_GLOBAL__N_121reflection_pad1d_flatIhEEvPKT_PS3_lllll.uses_flat_scratch, 0
	.set _ZN2at6native12_GLOBAL__N_121reflection_pad1d_flatIhEEvPKT_PS3_lllll.has_dyn_sized_stack, 0
	.set _ZN2at6native12_GLOBAL__N_121reflection_pad1d_flatIhEEvPKT_PS3_lllll.has_recursion, 0
	.set _ZN2at6native12_GLOBAL__N_121reflection_pad1d_flatIhEEvPKT_PS3_lllll.has_indirect_call, 0
	.section	.AMDGPU.csdata,"",@progbits
; Kernel info:
; codeLenInByte = 9740
; TotalNumSgprs: 81
; NumVgprs: 52
; ScratchSize: 0
; MemoryBound: 0
; FloatMode: 240
; IeeeMode: 1
; LDSByteSize: 0 bytes/workgroup (compile time only)
; SGPRBlocks: 0
; VGPRBlocks: 3
; NumSGPRsForWavesPerEU: 81
; NumVGPRsForWavesPerEU: 52
; NamedBarCnt: 0
; Occupancy: 16
; WaveLimiterHint : 0
; COMPUTE_PGM_RSRC2:SCRATCH_EN: 0
; COMPUTE_PGM_RSRC2:USER_SGPR: 2
; COMPUTE_PGM_RSRC2:TRAP_HANDLER: 0
; COMPUTE_PGM_RSRC2:TGID_X_EN: 1
; COMPUTE_PGM_RSRC2:TGID_Y_EN: 0
; COMPUTE_PGM_RSRC2:TGID_Z_EN: 0
; COMPUTE_PGM_RSRC2:TIDIG_COMP_CNT: 0
	.section	.text._ZN2at6native12_GLOBAL__N_127reflection_pad1d_out_kernelIaEEvPKT_PS3_lll,"axG",@progbits,_ZN2at6native12_GLOBAL__N_127reflection_pad1d_out_kernelIaEEvPKT_PS3_lll,comdat
	.globl	_ZN2at6native12_GLOBAL__N_127reflection_pad1d_out_kernelIaEEvPKT_PS3_lll ; -- Begin function _ZN2at6native12_GLOBAL__N_127reflection_pad1d_out_kernelIaEEvPKT_PS3_lll
	.p2align	8
	.type	_ZN2at6native12_GLOBAL__N_127reflection_pad1d_out_kernelIaEEvPKT_PS3_lll,@function
_ZN2at6native12_GLOBAL__N_127reflection_pad1d_out_kernelIaEEvPKT_PS3_lll: ; @_ZN2at6native12_GLOBAL__N_127reflection_pad1d_out_kernelIaEEvPKT_PS3_lll
; %bb.0:
	s_clause 0x2
	s_load_b32 s13, s[0:1], 0x34
	s_load_b64 s[2:3], s[0:1], 0x20
	s_load_b256 s[4:11], s[0:1], 0x0
	s_bfe_u32 s12, ttmp6, 0x4000c
	s_and_b32 s14, ttmp6, 15
	s_add_co_i32 s15, s12, 1
	s_getreg_b32 s12, hwreg(HW_REG_IB_STS2, 6, 4)
	s_mul_i32 s15, ttmp9, s15
	v_mov_b32_e32 v1, 0
	s_add_co_i32 s14, s14, s15
	s_mov_b32 s16, exec_lo
	s_wait_kmcnt 0x0
	s_and_b32 s13, s13, 0xffff
	s_cmp_eq_u32 s12, 0
	s_cselect_b32 s14, ttmp9, s14
	s_delay_alu instid0(SALU_CYCLE_1)
	v_mad_nc_u64_u32 v[0:1], s13, s14, v[0:1]
	s_add_nc_u64 s[14:15], s[10:11], s[8:9]
	s_mov_b32 s13, 0
	s_add_nc_u64 s[2:3], s[14:15], s[2:3]
	s_delay_alu instid0(VALU_DEP_1) | instid1(SALU_CYCLE_1)
	v_cmpx_gt_i64_e64 s[2:3], v[0:1]
	s_cbranch_execz .LBB25_2
; %bb.1:
	v_sub_nc_u64_e64 v[4:5], v[0:1], s[14:15]
	v_max_i64 v[2:3], s[10:11], 0
	s_sub_nc_u64 s[16:17], 0, s[10:11]
	s_add_nc_u64 s[0:1], s[0:1], 40
	v_max_i64 v[8:9], s[16:17], 0
	s_load_b32 s0, s[0:1], 0x4
	s_wait_xcnt 0x0
	s_bfe_u32 s1, ttmp6, 0x40010
	v_add_nc_u64_e32 v[6:7], 1, v[4:5]
	v_not_b32_e32 v5, v5
	v_not_b32_e32 v4, v4
	s_add_co_i32 s1, s1, 1
	s_delay_alu instid0(VALU_DEP_1) | instskip(SKIP_4) | instid1(VALU_DEP_1)
	v_max_i64 v[4:5], v[6:7], v[4:5]
	v_sub_nc_u64_e64 v[6:7], v[0:1], s[10:11]
	s_add_nc_u64 s[10:11], s[14:15], s[10:11]
	s_lshr_b32 s14, ttmp7, 16
	s_bfe_u32 s15, ttmp6, 0x40004
	v_sub_nc_u64_e32 v[10:11], 0, v[6:7]
	s_delay_alu instid0(VALU_DEP_1) | instskip(SKIP_2) | instid1(VALU_DEP_1)
	v_max_i64 v[6:7], v[6:7], v[10:11]
	v_not_b32_e32 v2, v2
	v_not_b32_e32 v3, v3
	v_add_nc_u64_e32 v[2:3], s[10:11], v[2:3]
	s_bfe_u32 s11, ttmp6, 0x40014
	s_and_b32 s10, ttmp7, 0xffff
	s_add_co_i32 s11, s11, 1
	s_mul_i32 s1, s10, s1
	s_mul_i32 s11, s14, s11
	s_add_co_i32 s15, s15, s1
	v_add_nc_u64_e32 v[2:3], v[2:3], v[8:9]
	v_add_nc_u64_e32 v[4:5], v[0:1], v[4:5]
	s_delay_alu instid0(VALU_DEP_1) | instskip(NEXT) | instid1(VALU_DEP_1)
	v_sub_nc_u64_e32 v[2:3], v[2:3], v[4:5]
	v_add_nc_u64_e32 v[2:3], s[4:5], v[2:3]
	s_bfe_u32 s4, ttmp6, 0x40008
	s_delay_alu instid0(SALU_CYCLE_1) | instskip(SKIP_2) | instid1(VALU_DEP_1)
	s_add_co_i32 s4, s4, s11
	s_cmp_eq_u32 s12, 0
	s_cselect_b32 s1, s14, s4
	v_add_nc_u64_e32 v[2:3], v[2:3], v[6:7]
	s_wait_kmcnt 0x0
	s_mul_i32 s0, s0, s1
	s_cselect_b32 s1, s10, s15
	s_delay_alu instid0(SALU_CYCLE_1) | instskip(NEXT) | instid1(SALU_CYCLE_1)
	s_add_co_i32 s12, s0, s1
	s_mul_u64 s[0:1], s[2:3], s[12:13]
	s_delay_alu instid0(VALU_DEP_1) | instskip(SKIP_1) | instid1(SALU_CYCLE_1)
	v_mad_nc_u64_u32 v[2:3], s8, s12, v[2:3]
	s_add_nc_u64 s[0:1], s[6:7], s[0:1]
	v_add_nc_u64_e32 v[0:1], s[0:1], v[0:1]
	s_delay_alu instid0(VALU_DEP_2)
	v_mad_u32 v3, s9, s12, v3
	global_load_u8 v2, v[2:3], off
	s_wait_loadcnt 0x0
	global_store_b8 v[0:1], v2, off
.LBB25_2:
	s_endpgm
	.section	.rodata,"a",@progbits
	.p2align	6, 0x0
	.amdhsa_kernel _ZN2at6native12_GLOBAL__N_127reflection_pad1d_out_kernelIaEEvPKT_PS3_lll
		.amdhsa_group_segment_fixed_size 0
		.amdhsa_private_segment_fixed_size 0
		.amdhsa_kernarg_size 296
		.amdhsa_user_sgpr_count 2
		.amdhsa_user_sgpr_dispatch_ptr 0
		.amdhsa_user_sgpr_queue_ptr 0
		.amdhsa_user_sgpr_kernarg_segment_ptr 1
		.amdhsa_user_sgpr_dispatch_id 0
		.amdhsa_user_sgpr_kernarg_preload_length 0
		.amdhsa_user_sgpr_kernarg_preload_offset 0
		.amdhsa_user_sgpr_private_segment_size 0
		.amdhsa_wavefront_size32 1
		.amdhsa_uses_dynamic_stack 0
		.amdhsa_enable_private_segment 0
		.amdhsa_system_sgpr_workgroup_id_x 1
		.amdhsa_system_sgpr_workgroup_id_y 1
		.amdhsa_system_sgpr_workgroup_id_z 1
		.amdhsa_system_sgpr_workgroup_info 0
		.amdhsa_system_vgpr_workitem_id 0
		.amdhsa_next_free_vgpr 12
		.amdhsa_next_free_sgpr 18
		.amdhsa_named_barrier_count 0
		.amdhsa_reserve_vcc 0
		.amdhsa_float_round_mode_32 0
		.amdhsa_float_round_mode_16_64 0
		.amdhsa_float_denorm_mode_32 3
		.amdhsa_float_denorm_mode_16_64 3
		.amdhsa_fp16_overflow 0
		.amdhsa_memory_ordered 1
		.amdhsa_forward_progress 1
		.amdhsa_inst_pref_size 4
		.amdhsa_round_robin_scheduling 0
		.amdhsa_exception_fp_ieee_invalid_op 0
		.amdhsa_exception_fp_denorm_src 0
		.amdhsa_exception_fp_ieee_div_zero 0
		.amdhsa_exception_fp_ieee_overflow 0
		.amdhsa_exception_fp_ieee_underflow 0
		.amdhsa_exception_fp_ieee_inexact 0
		.amdhsa_exception_int_div_zero 0
	.end_amdhsa_kernel
	.section	.text._ZN2at6native12_GLOBAL__N_127reflection_pad1d_out_kernelIaEEvPKT_PS3_lll,"axG",@progbits,_ZN2at6native12_GLOBAL__N_127reflection_pad1d_out_kernelIaEEvPKT_PS3_lll,comdat
.Lfunc_end25:
	.size	_ZN2at6native12_GLOBAL__N_127reflection_pad1d_out_kernelIaEEvPKT_PS3_lll, .Lfunc_end25-_ZN2at6native12_GLOBAL__N_127reflection_pad1d_out_kernelIaEEvPKT_PS3_lll
                                        ; -- End function
	.set _ZN2at6native12_GLOBAL__N_127reflection_pad1d_out_kernelIaEEvPKT_PS3_lll.num_vgpr, 12
	.set _ZN2at6native12_GLOBAL__N_127reflection_pad1d_out_kernelIaEEvPKT_PS3_lll.num_agpr, 0
	.set _ZN2at6native12_GLOBAL__N_127reflection_pad1d_out_kernelIaEEvPKT_PS3_lll.numbered_sgpr, 18
	.set _ZN2at6native12_GLOBAL__N_127reflection_pad1d_out_kernelIaEEvPKT_PS3_lll.num_named_barrier, 0
	.set _ZN2at6native12_GLOBAL__N_127reflection_pad1d_out_kernelIaEEvPKT_PS3_lll.private_seg_size, 0
	.set _ZN2at6native12_GLOBAL__N_127reflection_pad1d_out_kernelIaEEvPKT_PS3_lll.uses_vcc, 0
	.set _ZN2at6native12_GLOBAL__N_127reflection_pad1d_out_kernelIaEEvPKT_PS3_lll.uses_flat_scratch, 0
	.set _ZN2at6native12_GLOBAL__N_127reflection_pad1d_out_kernelIaEEvPKT_PS3_lll.has_dyn_sized_stack, 0
	.set _ZN2at6native12_GLOBAL__N_127reflection_pad1d_out_kernelIaEEvPKT_PS3_lll.has_recursion, 0
	.set _ZN2at6native12_GLOBAL__N_127reflection_pad1d_out_kernelIaEEvPKT_PS3_lll.has_indirect_call, 0
	.section	.AMDGPU.csdata,"",@progbits
; Kernel info:
; codeLenInByte = 424
; TotalNumSgprs: 18
; NumVgprs: 12
; ScratchSize: 0
; MemoryBound: 0
; FloatMode: 240
; IeeeMode: 1
; LDSByteSize: 0 bytes/workgroup (compile time only)
; SGPRBlocks: 0
; VGPRBlocks: 0
; NumSGPRsForWavesPerEU: 18
; NumVGPRsForWavesPerEU: 12
; NamedBarCnt: 0
; Occupancy: 16
; WaveLimiterHint : 0
; COMPUTE_PGM_RSRC2:SCRATCH_EN: 0
; COMPUTE_PGM_RSRC2:USER_SGPR: 2
; COMPUTE_PGM_RSRC2:TRAP_HANDLER: 0
; COMPUTE_PGM_RSRC2:TGID_X_EN: 1
; COMPUTE_PGM_RSRC2:TGID_Y_EN: 1
; COMPUTE_PGM_RSRC2:TGID_Z_EN: 1
; COMPUTE_PGM_RSRC2:TIDIG_COMP_CNT: 0
	.section	.text._ZN2at6native12_GLOBAL__N_121reflection_pad1d_flatIaEEvPKT_PS3_lllll,"axG",@progbits,_ZN2at6native12_GLOBAL__N_121reflection_pad1d_flatIaEEvPKT_PS3_lllll,comdat
	.globl	_ZN2at6native12_GLOBAL__N_121reflection_pad1d_flatIaEEvPKT_PS3_lllll ; -- Begin function _ZN2at6native12_GLOBAL__N_121reflection_pad1d_flatIaEEvPKT_PS3_lllll
	.p2align	8
	.type	_ZN2at6native12_GLOBAL__N_121reflection_pad1d_flatIaEEvPKT_PS3_lllll,@function
_ZN2at6native12_GLOBAL__N_121reflection_pad1d_flatIaEEvPKT_PS3_lllll: ; @_ZN2at6native12_GLOBAL__N_121reflection_pad1d_flatIaEEvPKT_PS3_lllll
; %bb.0:
	s_clause 0x1
	s_load_b32 s2, s[0:1], 0x44
	s_load_b128 s[12:15], s[0:1], 0x28
	s_bfe_u32 s3, ttmp6, 0x4000c
	s_and_b32 s4, ttmp6, 15
	s_add_co_i32 s3, s3, 1
	s_getreg_b32 s5, hwreg(HW_REG_IB_STS2, 6, 4)
	s_mul_i32 s3, ttmp9, s3
	s_mov_b32 s47, 0
	s_add_co_i32 s4, s4, s3
	v_mov_b32_e32 v1, 0
	s_mov_b32 s49, s47
	s_mov_b32 s51, s47
	s_wait_kmcnt 0x0
	s_and_b32 s48, s2, 0xffff
	s_cmp_eq_u32 s5, 0
	s_mul_u64 s[14:15], s[14:15], s[12:13]
	s_cselect_b32 s50, ttmp9, s4
	s_mov_b32 s2, exec_lo
	s_mul_u64 s[52:53], s[48:49], s[50:51]
	s_delay_alu instid0(SALU_CYCLE_1) | instskip(NEXT) | instid1(VALU_DEP_1)
	v_add_nc_u64_e32 v[2:3], s[52:53], v[0:1]
	v_cmpx_gt_i64_e64 s[14:15], v[2:3]
	s_cbranch_execz .LBB26_64
; %bb.1:
	s_add_nc_u64 s[2:3], s[0:1], 56
	s_load_b32 s46, s[2:3], 0x0
	s_wait_kmcnt 0x0
	s_add_nc_u64 s[2:3], s[50:51], s[46:47]
	s_mul_u64 s[16:17], s[48:49], s[46:47]
	s_mul_u64 s[58:59], s[2:3], s[48:49]
	v_mov_b32_e32 v5, s47
	v_add_nc_u64_e32 v[6:7], s[58:59], v[0:1]
	s_delay_alu instid0(VALU_DEP_1) | instskip(SKIP_2) | instid1(VALU_DEP_1)
	v_max_i64 v[8:9], s[14:15], v[6:7]
	v_cmp_gt_i64_e32 vcc_lo, s[14:15], v[6:7]
	v_cndmask_b32_e64 v4, 0, 1, vcc_lo
	v_add_nc_u64_e32 v[6:7], v[6:7], v[4:5]
	s_delay_alu instid0(VALU_DEP_1) | instskip(NEXT) | instid1(VALU_DEP_1)
	v_sub_nc_u64_e32 v[6:7], v[8:9], v[6:7]
	v_dual_mov_b32 v8, v1 :: v_dual_bitop2_b32 v9, s17, v7 bitop3:0x54
	s_delay_alu instid0(VALU_DEP_1) | instskip(SKIP_1) | instid1(SALU_CYCLE_1)
	v_cmp_ne_u64_e32 vcc_lo, 0, v[8:9]
                                        ; implicit-def: $vgpr8_vgpr9
	s_and_saveexec_b32 s2, vcc_lo
	s_xor_b32 s3, exec_lo, s2
	s_cbranch_execz .LBB26_3
; %bb.2:
	s_cvt_f32_u32 s2, s16
	s_cvt_f32_u32 s4, s17
	s_sub_nc_u64 s[6:7], 0, s[16:17]
	s_mov_b32 s11, 0
	v_dual_mov_b32 v9, 0 :: v_dual_mov_b32 v8, v6
	s_fmamk_f32 s2, s4, 0x4f800000, s2
	s_delay_alu instid0(SALU_CYCLE_3) | instskip(NEXT) | instid1(TRANS32_DEP_1)
	v_s_rcp_f32 s2, s2
	s_mul_f32 s2, s2, 0x5f7ffffc
	s_delay_alu instid0(SALU_CYCLE_3) | instskip(NEXT) | instid1(SALU_CYCLE_3)
	s_mul_f32 s4, s2, 0x2f800000
	s_trunc_f32 s4, s4
	s_delay_alu instid0(SALU_CYCLE_3) | instskip(SKIP_1) | instid1(SALU_CYCLE_2)
	s_fmamk_f32 s2, s4, 0xcf800000, s2
	s_cvt_u32_f32 s5, s4
	s_cvt_u32_f32 s4, s2
	s_delay_alu instid0(SALU_CYCLE_3) | instskip(NEXT) | instid1(SALU_CYCLE_1)
	s_mul_u64 s[8:9], s[6:7], s[4:5]
	s_mul_hi_u32 s19, s4, s9
	s_mul_i32 s18, s4, s9
	s_mul_hi_u32 s10, s4, s8
	s_mul_i32 s20, s5, s8
	s_add_nc_u64 s[18:19], s[10:11], s[18:19]
	s_mul_hi_u32 s2, s5, s8
	s_mul_hi_u32 s21, s5, s9
	s_mul_i32 s8, s5, s9
	s_add_co_u32 s9, s18, s20
	s_add_co_ci_u32 s10, s19, s2
	s_add_co_ci_u32 s9, s21, 0
	s_delay_alu instid0(SALU_CYCLE_1) | instskip(NEXT) | instid1(SALU_CYCLE_1)
	s_add_nc_u64 s[8:9], s[10:11], s[8:9]
	s_add_co_u32 s4, s4, s8
	s_cselect_b32 s2, -1, 0
	s_delay_alu instid0(SALU_CYCLE_1) | instskip(SKIP_1) | instid1(SALU_CYCLE_1)
	s_cmp_lg_u32 s2, 0
	s_add_co_ci_u32 s5, s5, s9
	s_mul_u64 s[6:7], s[6:7], s[4:5]
	s_delay_alu instid0(SALU_CYCLE_1)
	s_mul_hi_u32 s9, s4, s7
	s_mul_i32 s8, s4, s7
	s_mul_hi_u32 s10, s4, s6
	s_mul_i32 s18, s5, s6
	s_add_nc_u64 s[8:9], s[10:11], s[8:9]
	s_mul_hi_u32 s2, s5, s6
	s_mul_hi_u32 s19, s5, s7
	s_mul_i32 s6, s5, s7
	s_add_co_u32 s7, s8, s18
	s_add_co_ci_u32 s10, s9, s2
	s_add_co_ci_u32 s7, s19, 0
	s_delay_alu instid0(SALU_CYCLE_1) | instskip(NEXT) | instid1(SALU_CYCLE_1)
	s_add_nc_u64 s[6:7], s[10:11], s[6:7]
	s_add_co_u32 s2, s4, s6
	s_cselect_b32 s4, -1, 0
	s_delay_alu instid0(SALU_CYCLE_1)
	s_cmp_lg_u32 s4, 0
	s_add_co_ci_u32 s10, s5, s7
	s_mov_b64 s[4:5], 0xffffffff
	v_mul_u64_e32 v[10:11], s[10:11], v[8:9]
	v_mul_hi_u32 v8, v6, s2
	s_and_b64 s[4:5], s[2:3], s[4:5]
	s_delay_alu instid0(VALU_DEP_1) | instskip(SKIP_1) | instid1(VALU_DEP_1)
	v_add_nc_u64_e32 v[10:11], v[8:9], v[10:11]
	v_mov_b32_e32 v8, v7
	v_mul_u64_e32 v[12:13], s[4:5], v[8:9]
	v_mul_u64_e32 v[14:15], s[10:11], v[8:9]
	s_delay_alu instid0(VALU_DEP_2) | instskip(NEXT) | instid1(VALU_DEP_3)
	v_add_co_u32 v8, vcc_lo, v10, v12
	v_add_co_ci_u32_e32 v8, vcc_lo, v11, v13, vcc_lo
	s_delay_alu instid0(VALU_DEP_3) | instskip(NEXT) | instid1(VALU_DEP_1)
	v_add_co_ci_u32_e32 v15, vcc_lo, 0, v15, vcc_lo
	v_add_nc_u64_e32 v[8:9], v[8:9], v[14:15]
	s_delay_alu instid0(VALU_DEP_1) | instskip(NEXT) | instid1(VALU_DEP_1)
	v_mul_u64_e32 v[10:11], s[16:17], v[8:9]
	v_sub_nc_u32_e32 v12, v7, v11
	s_delay_alu instid0(VALU_DEP_2) | instskip(NEXT) | instid1(VALU_DEP_1)
	v_sub_co_u32 v6, vcc_lo, v6, v10
	v_sub_co_ci_u32_e64 v11, null, v7, v11, vcc_lo
	s_delay_alu instid0(VALU_DEP_3) | instskip(NEXT) | instid1(VALU_DEP_3)
	v_subrev_co_ci_u32_e64 v10, null, s17, v12, vcc_lo
	v_sub_co_u32 v14, s2, v6, s16
	v_cmp_le_u32_e32 vcc_lo, s16, v6
	s_delay_alu instid0(VALU_DEP_3) | instskip(NEXT) | instid1(VALU_DEP_3)
	v_subrev_co_ci_u32_e64 v10, null, 0, v10, s2
	v_cmp_le_u32_e64 s2, s16, v14
	v_add_nc_u64_e32 v[12:13], 2, v[8:9]
	v_cndmask_b32_e64 v16, 0, -1, vcc_lo
	s_delay_alu instid0(VALU_DEP_4) | instskip(SKIP_3) | instid1(VALU_DEP_1)
	v_cmp_eq_u32_e32 vcc_lo, s17, v10
	v_add_nc_u64_e32 v[6:7], 1, v[8:9]
	v_cndmask_b32_e64 v14, 0, -1, s2
	v_cmp_le_u32_e64 s2, s17, v10
	v_cndmask_b32_e64 v15, 0, -1, s2
	v_cmp_eq_u32_e64 s2, s17, v11
	s_delay_alu instid0(VALU_DEP_2) | instskip(SKIP_2) | instid1(VALU_DEP_3)
	v_cndmask_b32_e32 v10, v15, v14, vcc_lo
	v_cmp_le_u32_e32 vcc_lo, s17, v11
	v_cndmask_b32_e64 v14, 0, -1, vcc_lo
	v_cmp_ne_u32_e32 vcc_lo, 0, v10
	s_delay_alu instid0(VALU_DEP_2) | instskip(SKIP_1) | instid1(VALU_DEP_2)
	v_dual_cndmask_b32 v10, v14, v16, s2 :: v_dual_cndmask_b32 v7, v7, v13, vcc_lo
	v_cndmask_b32_e32 v6, v6, v12, vcc_lo
	v_cmp_ne_u32_e32 vcc_lo, 0, v10
	s_delay_alu instid0(VALU_DEP_2)
	v_dual_cndmask_b32 v9, v9, v7 :: v_dual_cndmask_b32 v8, v8, v6
                                        ; implicit-def: $vgpr6_vgpr7
.LBB26_3:
	s_and_not1_saveexec_b32 s2, s3
	s_cbranch_execz .LBB26_5
; %bb.4:
	v_cvt_f32_u32_e32 v7, s16
	s_sub_co_i32 s3, 0, s16
	s_delay_alu instid0(VALU_DEP_1) | instskip(SKIP_1) | instid1(TRANS32_DEP_1)
	v_rcp_iflag_f32_e32 v7, v7
	v_nop
	v_mul_f32_e32 v7, 0x4f7ffffe, v7
	s_delay_alu instid0(VALU_DEP_1) | instskip(NEXT) | instid1(VALU_DEP_1)
	v_cvt_u32_f32_e32 v7, v7
	v_mul_lo_u32 v8, s3, v7
	s_delay_alu instid0(VALU_DEP_1) | instskip(NEXT) | instid1(VALU_DEP_1)
	v_mul_hi_u32 v8, v7, v8
	v_add_nc_u32_e32 v7, v7, v8
	s_delay_alu instid0(VALU_DEP_1) | instskip(NEXT) | instid1(VALU_DEP_1)
	v_mul_hi_u32 v7, v6, v7
	v_mul_lo_u32 v8, v7, s16
	s_delay_alu instid0(VALU_DEP_1) | instskip(NEXT) | instid1(VALU_DEP_1)
	v_dual_sub_nc_u32 v6, v6, v8 :: v_dual_add_nc_u32 v8, 1, v7
	v_subrev_nc_u32_e32 v9, s16, v6
	v_cmp_le_u32_e32 vcc_lo, s16, v6
	s_delay_alu instid0(VALU_DEP_2) | instskip(NEXT) | instid1(VALU_DEP_4)
	v_dual_cndmask_b32 v6, v6, v9 :: v_dual_mov_b32 v9, 0
	v_cndmask_b32_e32 v7, v7, v8, vcc_lo
	s_delay_alu instid0(VALU_DEP_2) | instskip(NEXT) | instid1(VALU_DEP_2)
	v_cmp_le_u32_e32 vcc_lo, s16, v6
	v_add_nc_u32_e32 v8, 1, v7
	s_delay_alu instid0(VALU_DEP_1)
	v_cndmask_b32_e32 v8, v7, v8, vcc_lo
.LBB26_5:
	s_or_b32 exec_lo, exec_lo, s2
	s_load_b256 s[4:11], s[0:1], 0x0
	s_delay_alu instid0(VALU_DEP_1) | instskip(SKIP_1) | instid1(VALU_DEP_1)
	v_add_nc_u64_e32 v[4:5], v[8:9], v[4:5]
	s_sub_nc_u64 s[20:21], 0, s[12:13]
	v_add_nc_u64_e32 v[20:21], 1, v[4:5]
                                        ; implicit-def: $vgpr4_vgpr5
	s_wait_kmcnt 0x0
	s_lshl_b64 s[0:1], s[8:9], 1
	s_delay_alu instid0(SALU_CYCLE_1)
	s_add_nc_u64 s[18:19], s[0:1], -2
	s_mov_b32 s0, 0
	v_cmp_lt_i64_e64 s67, s[18:19], 1
	v_cmp_gt_i64_e64 s33, s[18:19], 0
	s_mov_b32 s1, exec_lo
	v_cmpx_lt_u64_e32 3, v[20:21]
	s_xor_b32 s66, exec_lo, s1
	s_cbranch_execnz .LBB26_8
; %bb.6:
	s_and_not1_saveexec_b32 s1, s66
	s_cbranch_execnz .LBB26_51
.LBB26_7:
	s_or_b32 exec_lo, exec_lo, s1
	s_delay_alu instid0(SALU_CYCLE_1)
	s_and_b32 exec_lo, exec_lo, s0
	s_cbranch_execnz .LBB26_52
	s_branch .LBB26_64
.LBB26_8:
	v_mad_nc_u64_u32 v[8:9], s16, 3, v[2:3]
	v_mad_nc_u64_u32 v[6:7], s16, 2, v[2:3]
	;; [unrolled: 1-line block ×3, first 2 shown]
	v_dual_mov_b32 v23, v21 :: v_dual_bitop2_b32 v22, -4, v20 bitop3:0x40
	s_mul_u64 s[0:1], s[46:47], 3
	s_lshl_b64 s[2:3], s[46:47], 1
	s_add_nc_u64 s[0:1], s[0:1], s[50:51]
	s_add_nc_u64 s[2:3], s[2:3], s[50:51]
	v_mov_b64_e32 v[26:27], v[22:23]
	s_lshl_b64 s[36:37], s[16:17], 2
	v_mad_u32 v9, s17, 3, v9
	v_lshl_add_u32 v7, s17, 1, v7
	v_dual_mov_b32 v24, 0 :: v_dual_add_nc_u32 v5, s17, v5
	s_mul_u64 s[0:1], s[0:1], s[48:49]
	s_mul_u64 s[2:3], s[2:3], s[48:49]
	s_xor_b32 s68, s67, -1
	s_mov_b32 s22, s18
	s_mov_b32 s23, s19
	;; [unrolled: 1-line block ×4, first 2 shown]
	s_delay_alu instid0(VALU_DEP_3)
	v_mov_b64_e32 v[10:11], v[8:9]
	v_mov_b64_e32 v[8:9], v[6:7]
	;; [unrolled: 1-line block ×4, first 2 shown]
	s_mov_b32 s26, s18
	s_mov_b32 s27, s19
	;; [unrolled: 1-line block ×14, first 2 shown]
	s_sub_nc_u64 s[44:45], s[52:53], s[10:11]
	s_add_nc_u64 s[46:47], s[6:7], s[0:1]
	s_add_nc_u64 s[48:49], s[6:7], s[2:3]
	;; [unrolled: 1-line block ×4, first 2 shown]
	s_sub_nc_u64 s[54:55], s[2:3], s[10:11]
	s_sub_nc_u64 s[56:57], s[0:1], s[10:11]
	;; [unrolled: 1-line block ×3, first 2 shown]
	s_mov_b64 s[60:61], 0xffffffff
	s_mov_b32 s3, 0
	s_ashr_i32 s62, s13, 31
	s_mov_b32 s69, 0
	s_branch .LBB26_11
.LBB26_9:                               ;   in Loop: Header=BB26_11 Depth=1
	s_or_b32 exec_lo, exec_lo, s0
.LBB26_10:                              ;   in Loop: Header=BB26_11 Depth=1
	s_delay_alu instid0(VALU_DEP_1) | instskip(SKIP_3) | instid1(VALU_DEP_4)
	v_dual_ashrrev_i32 v25, 31, v19 :: v_dual_ashrrev_i32 v38, 31, v17
	v_dual_ashrrev_i32 v42, 31, v15 :: v_dual_ashrrev_i32 v40, 31, v13
	v_mad_nc_u64_u32 v[44:45], v30, s28, s[4:5]
	v_mad_nc_u64_u32 v[46:47], v32, s30, s[4:5]
	v_and_b32_e32 v39, s25, v38
	v_and_b32_e32 v38, s24, v38
	;; [unrolled: 1-line block ×6, first 2 shown]
	v_add_nc_u64_e32 v[16:17], v[38:39], v[16:17]
	v_mad_nc_u64_u32 v[48:49], v34, s34, s[4:5]
	v_add_nc_u64_e32 v[12:13], v[40:41], v[12:13]
	v_add_nc_u64_e32 v[26:27], -4, v[26:27]
	v_add_nc_u64_e32 v[14:15], v[42:43], v[14:15]
	v_mad_nc_u64_u32 v[42:43], v28, s8, s[4:5]
	v_add_nc_u64_e32 v[10:11], s[42:43], v[10:11]
	v_sub_nc_u64_e32 v[38:39], s[24:25], v[16:17]
	v_cmp_gt_i64_e64 s2, s[30:31], v[16:17]
	v_sub_nc_u64_e32 v[40:41], s[18:19], v[12:13]
	v_cmp_gt_i64_e64 s1, s[8:9], v[12:13]
	v_and_b32_e32 v37, s27, v25
	v_and_b32_e32 v36, s26, v25
	v_sub_nc_u64_e32 v[50:51], s[22:23], v[14:15]
	v_cmp_gt_i64_e64 s0, s[28:29], v[14:15]
	v_cndmask_b32_e64 v25, v38, v16, s2
	v_mad_u32 v16, v29, s8, v43
	v_cndmask_b32_e64 v12, v40, v12, s1
	v_add_nc_u64_e32 v[18:19], v[36:37], v[18:19]
	v_mad_u32 v29, v33, s30, v47
	v_cndmask_b32_e64 v33, v41, v13, s1
	v_dual_cndmask_b32 v17, v39, v17, s2 :: v_dual_cndmask_b32 v14, v50, v14, s0
	v_add_nc_u64_e32 v[8:9], s[40:41], v[8:9]
	v_add_nc_u64_e32 v[6:7], s[38:39], v[6:7]
	v_sub_nc_u64_e32 v[36:37], s[26:27], v[18:19]
	v_cmp_gt_i64_e32 vcc_lo, s[34:35], v[18:19]
	v_mad_u32 v43, v28, s9, v16
	v_cndmask_b32_e64 v16, v14, 0, s67
	v_cndmask_b32_e64 v14, v25, 0, s67
	v_mad_u32 v47, v32, s31, v29
	v_add_nc_u64_e32 v[4:5], s[36:37], v[4:5]
	s_add_nc_u64 s[44:45], s[44:45], s[36:37]
	v_cndmask_b32_e32 v36, v36, v18, vcc_lo
	v_mad_u32 v18, v31, s28, v45
	v_mad_u32 v31, v35, s34, v49
	v_cndmask_b32_e32 v19, v37, v19, vcc_lo
	v_cndmask_b32_e64 v35, v51, v15, s0
	v_cndmask_b32_e64 v15, v17, 0, s67
	v_cmp_eq_u64_e32 vcc_lo, 0, v[26:27]
	s_add_nc_u64 s[54:55], s[54:55], s[36:37]
	v_cndmask_b32_e64 v13, v19, 0, s67
	v_cndmask_b32_e64 v19, v33, 0, s67
	;; [unrolled: 1-line block ×3, first 2 shown]
	v_add_nc_u64_e32 v[14:15], v[46:47], v[14:15]
	v_mad_u32 v45, v30, s29, v18
	v_mad_u32 v49, v34, s35, v31
	v_cndmask_b32_e64 v18, v12, 0, s67
	v_cndmask_b32_e64 v12, v36, 0, s67
	s_add_nc_u64 s[56:57], s[56:57], s[36:37]
	s_add_nc_u64 s[58:59], s[58:59], s[36:37]
	s_or_b32 s69, vcc_lo, s69
	v_add_nc_u64_e32 v[18:19], v[42:43], v[18:19]
	v_add_nc_u64_e32 v[16:17], v[44:45], v[16:17]
	;; [unrolled: 1-line block ×3, first 2 shown]
	s_clause 0x3
	global_load_u8 v25, v[18:19], off
	global_load_u8 v28, v[16:17], off
	;; [unrolled: 1-line block ×4, first 2 shown]
	s_wait_xcnt 0x0
	v_add_nc_u64_e32 v[12:13], s[52:53], v[0:1]
	v_add_nc_u64_e32 v[14:15], s[50:51], v[0:1]
	;; [unrolled: 1-line block ×4, first 2 shown]
	s_add_nc_u64 s[46:47], s[46:47], s[36:37]
	s_add_nc_u64 s[48:49], s[48:49], s[36:37]
	;; [unrolled: 1-line block ×4, first 2 shown]
	s_wait_loadcnt 0x3
	global_store_b8 v[12:13], v25, off
	s_wait_loadcnt 0x2
	global_store_b8 v[14:15], v28, off
	;; [unrolled: 2-line block ×4, first 2 shown]
	s_wait_xcnt 0x0
	s_and_not1_b32 exec_lo, exec_lo, s69
	s_cbranch_execz .LBB26_50
.LBB26_11:                              ; =>This Inner Loop Header: Depth=1
	v_or_b32_e32 v25, s13, v5
                                        ; implicit-def: $vgpr28_vgpr29
	s_mov_b32 s0, exec_lo
	s_delay_alu instid0(VALU_DEP_1)
	v_cmpx_ne_u64_e32 0, v[24:25]
	s_xor_b32 s1, exec_lo, s0
	s_cbranch_execz .LBB26_13
; %bb.12:                               ;   in Loop: Header=BB26_11 Depth=1
	s_mov_b32 s63, s62
	v_dual_mov_b32 v17, v24 :: v_dual_ashrrev_i32 v12, 31, v5
	s_add_nc_u64 s[64:65], s[12:13], s[62:63]
	v_mov_b32_e32 v33, v24
	s_xor_b64 s[64:65], s[64:65], s[62:63]
	s_delay_alu instid0(VALU_DEP_2) | instskip(SKIP_3) | instid1(VALU_DEP_1)
	v_mov_b32_e32 v13, v12
	s_cvt_f32_u32 s0, s64
	s_cvt_f32_u32 s2, s65
	s_sub_nc_u64 s[72:73], 0, s[64:65]
	v_add_nc_u64_e32 v[14:15], v[4:5], v[12:13]
	s_delay_alu instid0(SALU_CYCLE_1) | instskip(SKIP_1) | instid1(SALU_CYCLE_2)
	s_fmamk_f32 s0, s2, 0x4f800000, s0
	v_mov_b32_e32 v29, v24
	v_s_rcp_f32 s0, s0
	s_delay_alu instid0(VALU_DEP_2) | instskip(NEXT) | instid1(VALU_DEP_3)
	v_xor_b32_e32 v16, v14, v12
	v_xor_b32_e32 v28, v15, v12
	s_delay_alu instid0(TRANS32_DEP_1) | instskip(NEXT) | instid1(SALU_CYCLE_3)
	s_mul_f32 s0, s0, 0x5f7ffffc
	s_mul_f32 s2, s0, 0x2f800000
	s_delay_alu instid0(SALU_CYCLE_3) | instskip(NEXT) | instid1(SALU_CYCLE_3)
	s_trunc_f32 s2, s2
	s_fmamk_f32 s0, s2, 0xcf800000, s0
	s_cvt_u32_f32 s71, s2
	s_delay_alu instid0(SALU_CYCLE_2) | instskip(NEXT) | instid1(SALU_CYCLE_3)
	s_cvt_u32_f32 s70, s0
	s_mul_u64 s[74:75], s[72:73], s[70:71]
	s_delay_alu instid0(SALU_CYCLE_1)
	s_mul_hi_u32 s77, s70, s75
	s_mul_i32 s76, s70, s75
	s_mul_hi_u32 s2, s70, s74
	s_mul_i32 s63, s71, s74
	s_add_nc_u64 s[76:77], s[2:3], s[76:77]
	s_mul_hi_u32 s0, s71, s74
	s_mul_hi_u32 s78, s71, s75
	s_add_co_u32 s2, s76, s63
	s_add_co_ci_u32 s2, s77, s0
	s_mul_i32 s74, s71, s75
	s_add_co_ci_u32 s75, s78, 0
	s_delay_alu instid0(SALU_CYCLE_1) | instskip(NEXT) | instid1(SALU_CYCLE_1)
	s_add_nc_u64 s[74:75], s[2:3], s[74:75]
	s_add_co_u32 s70, s70, s74
	s_cselect_b32 s0, -1, 0
	s_delay_alu instid0(SALU_CYCLE_1) | instskip(SKIP_1) | instid1(SALU_CYCLE_1)
	s_cmp_lg_u32 s0, 0
	s_add_co_ci_u32 s71, s71, s75
	s_mul_u64 s[72:73], s[72:73], s[70:71]
	s_delay_alu instid0(SALU_CYCLE_1)
	s_mul_hi_u32 s75, s70, s73
	s_mul_i32 s74, s70, s73
	s_mul_hi_u32 s2, s70, s72
	s_mul_i32 s63, s71, s72
	s_add_nc_u64 s[74:75], s[2:3], s[74:75]
	s_mul_hi_u32 s0, s71, s72
	s_mul_hi_u32 s76, s71, s73
	s_add_co_u32 s2, s74, s63
	s_add_co_ci_u32 s2, s75, s0
	s_mul_i32 s72, s71, s73
	s_add_co_ci_u32 s73, s76, 0
	s_delay_alu instid0(SALU_CYCLE_1) | instskip(NEXT) | instid1(SALU_CYCLE_1)
	s_add_nc_u64 s[72:73], s[2:3], s[72:73]
	s_add_co_u32 s0, s70, s72
	s_cselect_b32 s2, -1, 0
	v_mul_hi_u32 v32, v16, s0
	s_cmp_lg_u32 s2, 0
	s_add_co_ci_u32 s2, s71, s73
	s_and_b64 s[70:71], s[0:1], s[60:61]
	v_mul_u64_e32 v[18:19], s[2:3], v[16:17]
	v_mul_u64_e32 v[14:15], s[70:71], v[28:29]
	;; [unrolled: 1-line block ×3, first 2 shown]
	s_delay_alu instid0(VALU_DEP_3) | instskip(NEXT) | instid1(VALU_DEP_1)
	v_add_nc_u64_e32 v[18:19], v[32:33], v[18:19]
	v_add_co_u32 v13, vcc_lo, v18, v14
	s_delay_alu instid0(VALU_DEP_2) | instskip(NEXT) | instid1(VALU_DEP_4)
	v_add_co_ci_u32_e32 v32, vcc_lo, v19, v15, vcc_lo
	v_add_co_ci_u32_e32 v31, vcc_lo, 0, v31, vcc_lo
	s_delay_alu instid0(VALU_DEP_1) | instskip(NEXT) | instid1(VALU_DEP_1)
	v_add_nc_u64_e32 v[14:15], v[32:33], v[30:31]
	v_mul_u64_e32 v[18:19], s[64:65], v[14:15]
	s_delay_alu instid0(VALU_DEP_1) | instskip(NEXT) | instid1(VALU_DEP_2)
	v_sub_nc_u32_e32 v13, v28, v19
	v_sub_co_u32 v16, vcc_lo, v16, v18
	s_delay_alu instid0(VALU_DEP_1) | instskip(NEXT) | instid1(VALU_DEP_3)
	v_sub_co_ci_u32_e64 v25, null, v28, v19, vcc_lo
	v_subrev_co_ci_u32_e64 v13, null, s65, v13, vcc_lo
	s_delay_alu instid0(VALU_DEP_3) | instskip(NEXT) | instid1(VALU_DEP_1)
	v_sub_co_u32 v17, s0, v16, s64
	v_subrev_co_ci_u32_e64 v13, null, 0, v13, s0
	s_delay_alu instid0(VALU_DEP_2) | instskip(SKIP_1) | instid1(VALU_DEP_3)
	v_cmp_le_u32_e32 vcc_lo, s64, v17
	v_cndmask_b32_e64 v17, 0, -1, vcc_lo
	v_cmp_le_u32_e32 vcc_lo, s65, v13
	v_cndmask_b32_e64 v18, 0, -1, vcc_lo
	;; [unrolled: 2-line block ×4, first 2 shown]
	v_cmp_eq_u32_e32 vcc_lo, s65, v13
	v_cndmask_b32_e32 v13, v18, v17, vcc_lo
	v_cmp_eq_u32_e32 vcc_lo, s65, v25
	v_add_nc_u64_e32 v[16:17], 2, v[14:15]
	v_add_nc_u64_e32 v[18:19], 1, v[14:15]
	v_cndmask_b32_e32 v25, v29, v28, vcc_lo
	v_cmp_ne_u32_e32 vcc_lo, 0, v13
	s_delay_alu instid0(VALU_DEP_2) | instskip(NEXT) | instid1(VALU_DEP_4)
	v_cmp_ne_u32_e64 s0, 0, v25
	v_dual_cndmask_b32 v13, v19, v17 :: v_dual_cndmask_b32 v16, v18, v16
	s_delay_alu instid0(VALU_DEP_1) | instskip(NEXT) | instid1(VALU_DEP_1)
	v_dual_cndmask_b32 v15, v15, v13, s0 :: v_dual_bitop2_b32 v12, s62, v12 bitop3:0x14
	v_dual_cndmask_b32 v14, v14, v16, s0 :: v_dual_mov_b32 v13, v12
	s_delay_alu instid0(VALU_DEP_2) | instskip(NEXT) | instid1(VALU_DEP_2)
	v_xor_b32_e32 v15, v15, v12
	v_xor_b32_e32 v14, v14, v12
	s_delay_alu instid0(VALU_DEP_1)
	v_sub_nc_u64_e32 v[28:29], v[14:15], v[12:13]
.LBB26_13:                              ;   in Loop: Header=BB26_11 Depth=1
	s_and_not1_saveexec_b32 s0, s1
	s_cbranch_execz .LBB26_15
; %bb.14:                               ;   in Loop: Header=BB26_11 Depth=1
	v_cvt_f32_u32_e32 v12, s12
	s_sub_co_i32 s1, 0, s12
	v_mov_b32_e32 v29, v24
	s_delay_alu instid0(VALU_DEP_2) | instskip(SKIP_1) | instid1(TRANS32_DEP_1)
	v_rcp_iflag_f32_e32 v12, v12
	v_nop
	v_mul_f32_e32 v12, 0x4f7ffffe, v12
	s_delay_alu instid0(VALU_DEP_1) | instskip(NEXT) | instid1(VALU_DEP_1)
	v_cvt_u32_f32_e32 v12, v12
	v_mul_lo_u32 v13, s1, v12
	s_delay_alu instid0(VALU_DEP_1) | instskip(NEXT) | instid1(VALU_DEP_1)
	v_mul_hi_u32 v13, v12, v13
	v_add_nc_u32_e32 v12, v12, v13
	s_delay_alu instid0(VALU_DEP_1) | instskip(NEXT) | instid1(VALU_DEP_1)
	v_mul_hi_u32 v12, v4, v12
	v_mul_lo_u32 v13, v12, s12
	s_delay_alu instid0(VALU_DEP_1) | instskip(NEXT) | instid1(VALU_DEP_1)
	v_dual_add_nc_u32 v14, 1, v12 :: v_dual_sub_nc_u32 v13, v4, v13
	v_subrev_nc_u32_e32 v15, s12, v13
	v_cmp_le_u32_e32 vcc_lo, s12, v13
	s_delay_alu instid0(VALU_DEP_2) | instskip(NEXT) | instid1(VALU_DEP_1)
	v_dual_cndmask_b32 v13, v13, v15 :: v_dual_cndmask_b32 v12, v12, v14
	v_cmp_le_u32_e32 vcc_lo, s12, v13
	s_delay_alu instid0(VALU_DEP_2) | instskip(NEXT) | instid1(VALU_DEP_1)
	v_add_nc_u32_e32 v14, 1, v12
	v_cndmask_b32_e32 v28, v12, v14, vcc_lo
.LBB26_15:                              ;   in Loop: Header=BB26_11 Depth=1
	s_or_b32 exec_lo, exec_lo, s0
	v_or_b32_e32 v25, s13, v7
                                        ; implicit-def: $vgpr30_vgpr31
	s_mov_b32 s0, exec_lo
	s_delay_alu instid0(VALU_DEP_1)
	v_cmpx_ne_u64_e32 0, v[24:25]
	s_xor_b32 s1, exec_lo, s0
	s_cbranch_execz .LBB26_17
; %bb.16:                               ;   in Loop: Header=BB26_11 Depth=1
	s_mov_b32 s63, s62
	v_dual_mov_b32 v17, v24 :: v_dual_ashrrev_i32 v12, 31, v7
	s_add_nc_u64 s[64:65], s[12:13], s[62:63]
	s_delay_alu instid0(SALU_CYCLE_1) | instskip(NEXT) | instid1(VALU_DEP_1)
	s_xor_b64 s[64:65], s[64:65], s[62:63]
	v_mov_b32_e32 v13, v12
	s_cvt_f32_u32 s0, s64
	s_cvt_f32_u32 s2, s65
	s_sub_nc_u64 s[72:73], 0, s[64:65]
	s_delay_alu instid0(VALU_DEP_1) | instskip(NEXT) | instid1(SALU_CYCLE_1)
	v_add_nc_u64_e32 v[14:15], v[6:7], v[12:13]
	s_fmamk_f32 s0, s2, 0x4f800000, s0
	v_mov_b32_e32 v31, v24
	s_delay_alu instid0(SALU_CYCLE_2) | instskip(NEXT) | instid1(VALU_DEP_2)
	v_s_rcp_f32 s0, s0
	v_xor_b32_e32 v16, v14, v12
	s_delay_alu instid0(VALU_DEP_3) | instskip(NEXT) | instid1(TRANS32_DEP_1)
	v_dual_mov_b32 v35, v24 :: v_dual_bitop2_b32 v30, v15, v12 bitop3:0x14
	s_mul_f32 s0, s0, 0x5f7ffffc
	s_delay_alu instid0(SALU_CYCLE_3) | instskip(NEXT) | instid1(SALU_CYCLE_3)
	s_mul_f32 s2, s0, 0x2f800000
	s_trunc_f32 s2, s2
	s_delay_alu instid0(SALU_CYCLE_3) | instskip(SKIP_1) | instid1(SALU_CYCLE_2)
	s_fmamk_f32 s0, s2, 0xcf800000, s0
	s_cvt_u32_f32 s71, s2
	s_cvt_u32_f32 s70, s0
	s_delay_alu instid0(SALU_CYCLE_3) | instskip(NEXT) | instid1(SALU_CYCLE_1)
	s_mul_u64 s[74:75], s[72:73], s[70:71]
	s_mul_hi_u32 s77, s70, s75
	s_mul_i32 s76, s70, s75
	s_mul_hi_u32 s2, s70, s74
	s_mul_i32 s63, s71, s74
	s_add_nc_u64 s[76:77], s[2:3], s[76:77]
	s_mul_hi_u32 s0, s71, s74
	s_mul_hi_u32 s78, s71, s75
	s_add_co_u32 s2, s76, s63
	s_add_co_ci_u32 s2, s77, s0
	s_mul_i32 s74, s71, s75
	s_add_co_ci_u32 s75, s78, 0
	s_delay_alu instid0(SALU_CYCLE_1) | instskip(NEXT) | instid1(SALU_CYCLE_1)
	s_add_nc_u64 s[74:75], s[2:3], s[74:75]
	s_add_co_u32 s70, s70, s74
	s_cselect_b32 s0, -1, 0
	s_delay_alu instid0(SALU_CYCLE_1) | instskip(SKIP_1) | instid1(SALU_CYCLE_1)
	s_cmp_lg_u32 s0, 0
	s_add_co_ci_u32 s71, s71, s75
	s_mul_u64 s[72:73], s[72:73], s[70:71]
	s_delay_alu instid0(SALU_CYCLE_1)
	s_mul_hi_u32 s75, s70, s73
	s_mul_i32 s74, s70, s73
	s_mul_hi_u32 s2, s70, s72
	s_mul_i32 s63, s71, s72
	s_add_nc_u64 s[74:75], s[2:3], s[74:75]
	s_mul_hi_u32 s0, s71, s72
	s_mul_hi_u32 s76, s71, s73
	s_add_co_u32 s2, s74, s63
	s_add_co_ci_u32 s2, s75, s0
	s_mul_i32 s72, s71, s73
	s_add_co_ci_u32 s73, s76, 0
	s_delay_alu instid0(SALU_CYCLE_1) | instskip(NEXT) | instid1(SALU_CYCLE_1)
	s_add_nc_u64 s[72:73], s[2:3], s[72:73]
	s_add_co_u32 s0, s70, s72
	s_cselect_b32 s2, -1, 0
	v_mul_hi_u32 v34, v16, s0
	s_cmp_lg_u32 s2, 0
	s_add_co_ci_u32 s2, s71, s73
	s_and_b64 s[70:71], s[0:1], s[60:61]
	v_mul_u64_e32 v[18:19], s[2:3], v[16:17]
	v_mul_u64_e32 v[14:15], s[70:71], v[30:31]
	;; [unrolled: 1-line block ×3, first 2 shown]
	s_delay_alu instid0(VALU_DEP_3) | instskip(NEXT) | instid1(VALU_DEP_1)
	v_add_nc_u64_e32 v[18:19], v[34:35], v[18:19]
	v_add_co_u32 v13, vcc_lo, v18, v14
	s_delay_alu instid0(VALU_DEP_2) | instskip(NEXT) | instid1(VALU_DEP_4)
	v_add_co_ci_u32_e32 v34, vcc_lo, v19, v15, vcc_lo
	v_add_co_ci_u32_e32 v33, vcc_lo, 0, v33, vcc_lo
	s_delay_alu instid0(VALU_DEP_1) | instskip(NEXT) | instid1(VALU_DEP_1)
	v_add_nc_u64_e32 v[14:15], v[34:35], v[32:33]
	v_mul_u64_e32 v[18:19], s[64:65], v[14:15]
	s_delay_alu instid0(VALU_DEP_1) | instskip(NEXT) | instid1(VALU_DEP_2)
	v_sub_nc_u32_e32 v13, v30, v19
	v_sub_co_u32 v16, vcc_lo, v16, v18
	s_delay_alu instid0(VALU_DEP_1) | instskip(NEXT) | instid1(VALU_DEP_3)
	v_sub_co_ci_u32_e64 v25, null, v30, v19, vcc_lo
	v_subrev_co_ci_u32_e64 v13, null, s65, v13, vcc_lo
	s_delay_alu instid0(VALU_DEP_3) | instskip(NEXT) | instid1(VALU_DEP_1)
	v_sub_co_u32 v17, s0, v16, s64
	v_subrev_co_ci_u32_e64 v13, null, 0, v13, s0
	s_delay_alu instid0(VALU_DEP_2) | instskip(SKIP_1) | instid1(VALU_DEP_3)
	v_cmp_le_u32_e32 vcc_lo, s64, v17
	v_cndmask_b32_e64 v17, 0, -1, vcc_lo
	v_cmp_le_u32_e32 vcc_lo, s65, v13
	v_cndmask_b32_e64 v18, 0, -1, vcc_lo
	;; [unrolled: 2-line block ×4, first 2 shown]
	v_cmp_eq_u32_e32 vcc_lo, s65, v13
	v_cndmask_b32_e32 v13, v18, v17, vcc_lo
	v_cmp_eq_u32_e32 vcc_lo, s65, v25
	v_add_nc_u64_e32 v[16:17], 2, v[14:15]
	v_add_nc_u64_e32 v[18:19], 1, v[14:15]
	v_cndmask_b32_e32 v25, v31, v30, vcc_lo
	v_cmp_ne_u32_e32 vcc_lo, 0, v13
	s_delay_alu instid0(VALU_DEP_2) | instskip(NEXT) | instid1(VALU_DEP_4)
	v_cmp_ne_u32_e64 s0, 0, v25
	v_dual_cndmask_b32 v13, v19, v17 :: v_dual_cndmask_b32 v16, v18, v16
	s_delay_alu instid0(VALU_DEP_1) | instskip(NEXT) | instid1(VALU_DEP_1)
	v_dual_cndmask_b32 v15, v15, v13, s0 :: v_dual_bitop2_b32 v12, s62, v12 bitop3:0x14
	v_dual_cndmask_b32 v14, v14, v16, s0 :: v_dual_mov_b32 v13, v12
	s_delay_alu instid0(VALU_DEP_2) | instskip(NEXT) | instid1(VALU_DEP_2)
	v_xor_b32_e32 v15, v15, v12
	v_xor_b32_e32 v14, v14, v12
	s_delay_alu instid0(VALU_DEP_1)
	v_sub_nc_u64_e32 v[30:31], v[14:15], v[12:13]
.LBB26_17:                              ;   in Loop: Header=BB26_11 Depth=1
	s_and_not1_saveexec_b32 s0, s1
	s_cbranch_execz .LBB26_19
; %bb.18:                               ;   in Loop: Header=BB26_11 Depth=1
	v_cvt_f32_u32_e32 v12, s12
	s_sub_co_i32 s1, 0, s12
	v_mov_b32_e32 v31, v24
	s_delay_alu instid0(VALU_DEP_2) | instskip(SKIP_1) | instid1(TRANS32_DEP_1)
	v_rcp_iflag_f32_e32 v12, v12
	v_nop
	v_mul_f32_e32 v12, 0x4f7ffffe, v12
	s_delay_alu instid0(VALU_DEP_1) | instskip(NEXT) | instid1(VALU_DEP_1)
	v_cvt_u32_f32_e32 v12, v12
	v_mul_lo_u32 v13, s1, v12
	s_delay_alu instid0(VALU_DEP_1) | instskip(NEXT) | instid1(VALU_DEP_1)
	v_mul_hi_u32 v13, v12, v13
	v_add_nc_u32_e32 v12, v12, v13
	s_delay_alu instid0(VALU_DEP_1) | instskip(NEXT) | instid1(VALU_DEP_1)
	v_mul_hi_u32 v12, v6, v12
	v_mul_lo_u32 v13, v12, s12
	s_delay_alu instid0(VALU_DEP_1) | instskip(NEXT) | instid1(VALU_DEP_1)
	v_dual_add_nc_u32 v14, 1, v12 :: v_dual_sub_nc_u32 v13, v6, v13
	v_subrev_nc_u32_e32 v15, s12, v13
	v_cmp_le_u32_e32 vcc_lo, s12, v13
	s_delay_alu instid0(VALU_DEP_2) | instskip(NEXT) | instid1(VALU_DEP_1)
	v_dual_cndmask_b32 v13, v13, v15 :: v_dual_cndmask_b32 v12, v12, v14
	v_cmp_le_u32_e32 vcc_lo, s12, v13
	s_delay_alu instid0(VALU_DEP_2) | instskip(NEXT) | instid1(VALU_DEP_1)
	v_add_nc_u32_e32 v14, 1, v12
	v_cndmask_b32_e32 v30, v12, v14, vcc_lo
.LBB26_19:                              ;   in Loop: Header=BB26_11 Depth=1
	s_or_b32 exec_lo, exec_lo, s0
	v_or_b32_e32 v25, s13, v9
                                        ; implicit-def: $vgpr32_vgpr33
	s_mov_b32 s0, exec_lo
	s_delay_alu instid0(VALU_DEP_1)
	v_cmpx_ne_u64_e32 0, v[24:25]
	s_xor_b32 s1, exec_lo, s0
	s_cbranch_execz .LBB26_21
; %bb.20:                               ;   in Loop: Header=BB26_11 Depth=1
	s_mov_b32 s63, s62
	v_dual_mov_b32 v17, v24 :: v_dual_ashrrev_i32 v12, 31, v9
	s_add_nc_u64 s[64:65], s[12:13], s[62:63]
	v_mov_b32_e32 v37, v24
	s_xor_b64 s[64:65], s[64:65], s[62:63]
	s_delay_alu instid0(VALU_DEP_2) | instskip(SKIP_3) | instid1(VALU_DEP_1)
	v_mov_b32_e32 v13, v12
	s_cvt_f32_u32 s0, s64
	s_cvt_f32_u32 s2, s65
	s_sub_nc_u64 s[72:73], 0, s[64:65]
	v_add_nc_u64_e32 v[14:15], v[8:9], v[12:13]
	s_delay_alu instid0(SALU_CYCLE_1) | instskip(SKIP_1) | instid1(SALU_CYCLE_2)
	s_fmamk_f32 s0, s2, 0x4f800000, s0
	v_mov_b32_e32 v33, v24
	v_s_rcp_f32 s0, s0
	s_delay_alu instid0(VALU_DEP_2) | instskip(NEXT) | instid1(VALU_DEP_3)
	v_xor_b32_e32 v16, v14, v12
	v_xor_b32_e32 v32, v15, v12
	s_delay_alu instid0(TRANS32_DEP_1) | instskip(NEXT) | instid1(SALU_CYCLE_3)
	s_mul_f32 s0, s0, 0x5f7ffffc
	s_mul_f32 s2, s0, 0x2f800000
	s_delay_alu instid0(SALU_CYCLE_3) | instskip(NEXT) | instid1(SALU_CYCLE_3)
	s_trunc_f32 s2, s2
	s_fmamk_f32 s0, s2, 0xcf800000, s0
	s_cvt_u32_f32 s71, s2
	s_delay_alu instid0(SALU_CYCLE_2) | instskip(NEXT) | instid1(SALU_CYCLE_3)
	s_cvt_u32_f32 s70, s0
	s_mul_u64 s[74:75], s[72:73], s[70:71]
	s_delay_alu instid0(SALU_CYCLE_1)
	s_mul_hi_u32 s77, s70, s75
	s_mul_i32 s76, s70, s75
	s_mul_hi_u32 s2, s70, s74
	s_mul_i32 s63, s71, s74
	s_add_nc_u64 s[76:77], s[2:3], s[76:77]
	s_mul_hi_u32 s0, s71, s74
	s_mul_hi_u32 s78, s71, s75
	s_add_co_u32 s2, s76, s63
	s_add_co_ci_u32 s2, s77, s0
	s_mul_i32 s74, s71, s75
	s_add_co_ci_u32 s75, s78, 0
	s_delay_alu instid0(SALU_CYCLE_1) | instskip(NEXT) | instid1(SALU_CYCLE_1)
	s_add_nc_u64 s[74:75], s[2:3], s[74:75]
	s_add_co_u32 s70, s70, s74
	s_cselect_b32 s0, -1, 0
	s_delay_alu instid0(SALU_CYCLE_1) | instskip(SKIP_1) | instid1(SALU_CYCLE_1)
	s_cmp_lg_u32 s0, 0
	s_add_co_ci_u32 s71, s71, s75
	s_mul_u64 s[72:73], s[72:73], s[70:71]
	s_delay_alu instid0(SALU_CYCLE_1)
	s_mul_hi_u32 s75, s70, s73
	s_mul_i32 s74, s70, s73
	s_mul_hi_u32 s2, s70, s72
	s_mul_i32 s63, s71, s72
	s_add_nc_u64 s[74:75], s[2:3], s[74:75]
	s_mul_hi_u32 s0, s71, s72
	s_mul_hi_u32 s76, s71, s73
	s_add_co_u32 s2, s74, s63
	s_add_co_ci_u32 s2, s75, s0
	s_mul_i32 s72, s71, s73
	s_add_co_ci_u32 s73, s76, 0
	s_delay_alu instid0(SALU_CYCLE_1) | instskip(NEXT) | instid1(SALU_CYCLE_1)
	s_add_nc_u64 s[72:73], s[2:3], s[72:73]
	s_add_co_u32 s0, s70, s72
	s_cselect_b32 s2, -1, 0
	v_mul_hi_u32 v36, v16, s0
	s_cmp_lg_u32 s2, 0
	s_add_co_ci_u32 s2, s71, s73
	s_and_b64 s[70:71], s[0:1], s[60:61]
	v_mul_u64_e32 v[18:19], s[2:3], v[16:17]
	v_mul_u64_e32 v[14:15], s[70:71], v[32:33]
	;; [unrolled: 1-line block ×3, first 2 shown]
	s_delay_alu instid0(VALU_DEP_3) | instskip(NEXT) | instid1(VALU_DEP_1)
	v_add_nc_u64_e32 v[18:19], v[36:37], v[18:19]
	v_add_co_u32 v13, vcc_lo, v18, v14
	s_delay_alu instid0(VALU_DEP_2) | instskip(NEXT) | instid1(VALU_DEP_4)
	v_add_co_ci_u32_e32 v36, vcc_lo, v19, v15, vcc_lo
	v_add_co_ci_u32_e32 v35, vcc_lo, 0, v35, vcc_lo
	s_delay_alu instid0(VALU_DEP_1) | instskip(NEXT) | instid1(VALU_DEP_1)
	v_add_nc_u64_e32 v[14:15], v[36:37], v[34:35]
	v_mul_u64_e32 v[18:19], s[64:65], v[14:15]
	s_delay_alu instid0(VALU_DEP_1) | instskip(NEXT) | instid1(VALU_DEP_2)
	v_sub_nc_u32_e32 v13, v32, v19
	v_sub_co_u32 v16, vcc_lo, v16, v18
	s_delay_alu instid0(VALU_DEP_1) | instskip(NEXT) | instid1(VALU_DEP_3)
	v_sub_co_ci_u32_e64 v25, null, v32, v19, vcc_lo
	v_subrev_co_ci_u32_e64 v13, null, s65, v13, vcc_lo
	s_delay_alu instid0(VALU_DEP_3) | instskip(NEXT) | instid1(VALU_DEP_1)
	v_sub_co_u32 v17, s0, v16, s64
	v_subrev_co_ci_u32_e64 v13, null, 0, v13, s0
	s_delay_alu instid0(VALU_DEP_2) | instskip(SKIP_1) | instid1(VALU_DEP_3)
	v_cmp_le_u32_e32 vcc_lo, s64, v17
	v_cndmask_b32_e64 v17, 0, -1, vcc_lo
	v_cmp_le_u32_e32 vcc_lo, s65, v13
	v_cndmask_b32_e64 v18, 0, -1, vcc_lo
	;; [unrolled: 2-line block ×4, first 2 shown]
	v_cmp_eq_u32_e32 vcc_lo, s65, v13
	v_cndmask_b32_e32 v13, v18, v17, vcc_lo
	v_cmp_eq_u32_e32 vcc_lo, s65, v25
	v_add_nc_u64_e32 v[16:17], 2, v[14:15]
	v_add_nc_u64_e32 v[18:19], 1, v[14:15]
	v_cndmask_b32_e32 v25, v33, v32, vcc_lo
	v_cmp_ne_u32_e32 vcc_lo, 0, v13
	s_delay_alu instid0(VALU_DEP_2) | instskip(NEXT) | instid1(VALU_DEP_4)
	v_cmp_ne_u32_e64 s0, 0, v25
	v_dual_cndmask_b32 v13, v19, v17 :: v_dual_cndmask_b32 v16, v18, v16
	s_delay_alu instid0(VALU_DEP_1) | instskip(NEXT) | instid1(VALU_DEP_1)
	v_dual_cndmask_b32 v15, v15, v13, s0 :: v_dual_bitop2_b32 v12, s62, v12 bitop3:0x14
	v_dual_cndmask_b32 v14, v14, v16, s0 :: v_dual_mov_b32 v13, v12
	s_delay_alu instid0(VALU_DEP_2) | instskip(NEXT) | instid1(VALU_DEP_2)
	v_xor_b32_e32 v15, v15, v12
	v_xor_b32_e32 v14, v14, v12
	s_delay_alu instid0(VALU_DEP_1)
	v_sub_nc_u64_e32 v[32:33], v[14:15], v[12:13]
.LBB26_21:                              ;   in Loop: Header=BB26_11 Depth=1
	s_and_not1_saveexec_b32 s0, s1
	s_cbranch_execz .LBB26_23
; %bb.22:                               ;   in Loop: Header=BB26_11 Depth=1
	v_cvt_f32_u32_e32 v12, s12
	s_sub_co_i32 s1, 0, s12
	v_mov_b32_e32 v33, v24
	s_delay_alu instid0(VALU_DEP_2) | instskip(SKIP_1) | instid1(TRANS32_DEP_1)
	v_rcp_iflag_f32_e32 v12, v12
	v_nop
	v_mul_f32_e32 v12, 0x4f7ffffe, v12
	s_delay_alu instid0(VALU_DEP_1) | instskip(NEXT) | instid1(VALU_DEP_1)
	v_cvt_u32_f32_e32 v12, v12
	v_mul_lo_u32 v13, s1, v12
	s_delay_alu instid0(VALU_DEP_1) | instskip(NEXT) | instid1(VALU_DEP_1)
	v_mul_hi_u32 v13, v12, v13
	v_add_nc_u32_e32 v12, v12, v13
	s_delay_alu instid0(VALU_DEP_1) | instskip(NEXT) | instid1(VALU_DEP_1)
	v_mul_hi_u32 v12, v8, v12
	v_mul_lo_u32 v13, v12, s12
	s_delay_alu instid0(VALU_DEP_1) | instskip(NEXT) | instid1(VALU_DEP_1)
	v_dual_add_nc_u32 v14, 1, v12 :: v_dual_sub_nc_u32 v13, v8, v13
	v_subrev_nc_u32_e32 v15, s12, v13
	v_cmp_le_u32_e32 vcc_lo, s12, v13
	s_delay_alu instid0(VALU_DEP_2) | instskip(NEXT) | instid1(VALU_DEP_1)
	v_dual_cndmask_b32 v13, v13, v15 :: v_dual_cndmask_b32 v12, v12, v14
	v_cmp_le_u32_e32 vcc_lo, s12, v13
	s_delay_alu instid0(VALU_DEP_2) | instskip(NEXT) | instid1(VALU_DEP_1)
	v_add_nc_u32_e32 v14, 1, v12
	v_cndmask_b32_e32 v32, v12, v14, vcc_lo
.LBB26_23:                              ;   in Loop: Header=BB26_11 Depth=1
	s_or_b32 exec_lo, exec_lo, s0
	v_or_b32_e32 v25, s13, v11
                                        ; implicit-def: $vgpr34_vgpr35
	s_mov_b32 s0, exec_lo
	s_delay_alu instid0(VALU_DEP_1)
	v_cmpx_ne_u64_e32 0, v[24:25]
	s_xor_b32 s1, exec_lo, s0
	s_cbranch_execnz .LBB26_29
; %bb.24:                               ;   in Loop: Header=BB26_11 Depth=1
	s_and_not1_saveexec_b32 s0, s1
	s_cbranch_execnz .LBB26_30
.LBB26_25:                              ;   in Loop: Header=BB26_11 Depth=1
	s_or_b32 exec_lo, exec_lo, s0
	s_delay_alu instid0(SALU_CYCLE_1)
	s_and_not1_b32 vcc_lo, exec_lo, s68
                                        ; implicit-def: $vgpr12_vgpr13_vgpr14_vgpr15_vgpr16_vgpr17_vgpr18_vgpr19
	s_cbranch_vccz .LBB26_31
.LBB26_26:                              ;   in Loop: Header=BB26_11 Depth=1
	s_and_not1_b32 vcc_lo, exec_lo, s68
	s_cbranch_vccz .LBB26_36
.LBB26_27:                              ;   in Loop: Header=BB26_11 Depth=1
	s_and_not1_b32 vcc_lo, exec_lo, s68
	s_cbranch_vccz .LBB26_41
.LBB26_28:                              ;   in Loop: Header=BB26_11 Depth=1
	s_and_not1_b32 vcc_lo, exec_lo, s68
	s_cbranch_vccnz .LBB26_10
	s_branch .LBB26_46
.LBB26_29:                              ;   in Loop: Header=BB26_11 Depth=1
	s_mov_b32 s63, s62
	v_dual_mov_b32 v17, v24 :: v_dual_ashrrev_i32 v12, 31, v11
	s_add_nc_u64 s[64:65], s[12:13], s[62:63]
	s_delay_alu instid0(SALU_CYCLE_1) | instskip(NEXT) | instid1(VALU_DEP_1)
	s_xor_b64 s[64:65], s[64:65], s[62:63]
	v_mov_b32_e32 v13, v12
	s_cvt_f32_u32 s0, s64
	s_cvt_f32_u32 s2, s65
	s_sub_nc_u64 s[72:73], 0, s[64:65]
	s_delay_alu instid0(VALU_DEP_1) | instskip(NEXT) | instid1(SALU_CYCLE_1)
	v_add_nc_u64_e32 v[14:15], v[10:11], v[12:13]
	s_fmamk_f32 s0, s2, 0x4f800000, s0
	v_mov_b32_e32 v35, v24
	s_delay_alu instid0(SALU_CYCLE_2) | instskip(NEXT) | instid1(VALU_DEP_2)
	v_s_rcp_f32 s0, s0
	v_xor_b32_e32 v16, v14, v12
	s_delay_alu instid0(VALU_DEP_3) | instskip(NEXT) | instid1(TRANS32_DEP_1)
	v_dual_mov_b32 v39, v24 :: v_dual_bitop2_b32 v34, v15, v12 bitop3:0x14
	s_mul_f32 s0, s0, 0x5f7ffffc
	s_delay_alu instid0(SALU_CYCLE_3) | instskip(NEXT) | instid1(SALU_CYCLE_3)
	s_mul_f32 s2, s0, 0x2f800000
	s_trunc_f32 s2, s2
	s_delay_alu instid0(SALU_CYCLE_3) | instskip(SKIP_1) | instid1(SALU_CYCLE_2)
	s_fmamk_f32 s0, s2, 0xcf800000, s0
	s_cvt_u32_f32 s71, s2
	s_cvt_u32_f32 s70, s0
	s_delay_alu instid0(SALU_CYCLE_3) | instskip(NEXT) | instid1(SALU_CYCLE_1)
	s_mul_u64 s[74:75], s[72:73], s[70:71]
	s_mul_hi_u32 s77, s70, s75
	s_mul_i32 s76, s70, s75
	s_mul_hi_u32 s2, s70, s74
	s_mul_i32 s63, s71, s74
	s_add_nc_u64 s[76:77], s[2:3], s[76:77]
	s_mul_hi_u32 s0, s71, s74
	s_mul_hi_u32 s78, s71, s75
	s_add_co_u32 s2, s76, s63
	s_add_co_ci_u32 s2, s77, s0
	s_mul_i32 s74, s71, s75
	s_add_co_ci_u32 s75, s78, 0
	s_delay_alu instid0(SALU_CYCLE_1) | instskip(NEXT) | instid1(SALU_CYCLE_1)
	s_add_nc_u64 s[74:75], s[2:3], s[74:75]
	s_add_co_u32 s70, s70, s74
	s_cselect_b32 s0, -1, 0
	s_delay_alu instid0(SALU_CYCLE_1) | instskip(SKIP_1) | instid1(SALU_CYCLE_1)
	s_cmp_lg_u32 s0, 0
	s_add_co_ci_u32 s71, s71, s75
	s_mul_u64 s[72:73], s[72:73], s[70:71]
	s_delay_alu instid0(SALU_CYCLE_1)
	s_mul_hi_u32 s75, s70, s73
	s_mul_i32 s74, s70, s73
	s_mul_hi_u32 s2, s70, s72
	s_mul_i32 s63, s71, s72
	s_add_nc_u64 s[74:75], s[2:3], s[74:75]
	s_mul_hi_u32 s0, s71, s72
	s_mul_hi_u32 s76, s71, s73
	s_add_co_u32 s2, s74, s63
	s_add_co_ci_u32 s2, s75, s0
	s_mul_i32 s72, s71, s73
	s_add_co_ci_u32 s73, s76, 0
	s_delay_alu instid0(SALU_CYCLE_1) | instskip(NEXT) | instid1(SALU_CYCLE_1)
	s_add_nc_u64 s[72:73], s[2:3], s[72:73]
	s_add_co_u32 s0, s70, s72
	s_cselect_b32 s2, -1, 0
	v_mul_hi_u32 v38, v16, s0
	s_cmp_lg_u32 s2, 0
	s_add_co_ci_u32 s2, s71, s73
	s_and_b64 s[70:71], s[0:1], s[60:61]
	v_mul_u64_e32 v[18:19], s[2:3], v[16:17]
	v_mul_u64_e32 v[14:15], s[70:71], v[34:35]
	;; [unrolled: 1-line block ×3, first 2 shown]
	s_delay_alu instid0(VALU_DEP_3) | instskip(NEXT) | instid1(VALU_DEP_1)
	v_add_nc_u64_e32 v[18:19], v[38:39], v[18:19]
	v_add_co_u32 v13, vcc_lo, v18, v14
	s_delay_alu instid0(VALU_DEP_2) | instskip(NEXT) | instid1(VALU_DEP_4)
	v_add_co_ci_u32_e32 v38, vcc_lo, v19, v15, vcc_lo
	v_add_co_ci_u32_e32 v37, vcc_lo, 0, v37, vcc_lo
	s_delay_alu instid0(VALU_DEP_1) | instskip(NEXT) | instid1(VALU_DEP_1)
	v_add_nc_u64_e32 v[14:15], v[38:39], v[36:37]
	v_mul_u64_e32 v[18:19], s[64:65], v[14:15]
	s_delay_alu instid0(VALU_DEP_1) | instskip(NEXT) | instid1(VALU_DEP_2)
	v_sub_nc_u32_e32 v13, v34, v19
	v_sub_co_u32 v16, vcc_lo, v16, v18
	s_delay_alu instid0(VALU_DEP_1) | instskip(NEXT) | instid1(VALU_DEP_3)
	v_sub_co_ci_u32_e64 v25, null, v34, v19, vcc_lo
	v_subrev_co_ci_u32_e64 v13, null, s65, v13, vcc_lo
	s_delay_alu instid0(VALU_DEP_3) | instskip(NEXT) | instid1(VALU_DEP_1)
	v_sub_co_u32 v17, s0, v16, s64
	v_subrev_co_ci_u32_e64 v13, null, 0, v13, s0
	s_delay_alu instid0(VALU_DEP_2) | instskip(SKIP_1) | instid1(VALU_DEP_3)
	v_cmp_le_u32_e32 vcc_lo, s64, v17
	v_cndmask_b32_e64 v17, 0, -1, vcc_lo
	v_cmp_le_u32_e32 vcc_lo, s65, v13
	v_cndmask_b32_e64 v18, 0, -1, vcc_lo
	;; [unrolled: 2-line block ×4, first 2 shown]
	v_cmp_eq_u32_e32 vcc_lo, s65, v13
	v_cndmask_b32_e32 v13, v18, v17, vcc_lo
	v_cmp_eq_u32_e32 vcc_lo, s65, v25
	v_add_nc_u64_e32 v[16:17], 2, v[14:15]
	v_add_nc_u64_e32 v[18:19], 1, v[14:15]
	v_cndmask_b32_e32 v25, v35, v34, vcc_lo
	v_cmp_ne_u32_e32 vcc_lo, 0, v13
	s_delay_alu instid0(VALU_DEP_2) | instskip(NEXT) | instid1(VALU_DEP_4)
	v_cmp_ne_u32_e64 s0, 0, v25
	v_dual_cndmask_b32 v13, v19, v17 :: v_dual_cndmask_b32 v16, v18, v16
	s_delay_alu instid0(VALU_DEP_1) | instskip(NEXT) | instid1(VALU_DEP_1)
	v_dual_cndmask_b32 v15, v15, v13, s0 :: v_dual_bitop2_b32 v12, s62, v12 bitop3:0x14
	v_dual_cndmask_b32 v14, v14, v16, s0 :: v_dual_mov_b32 v13, v12
	s_delay_alu instid0(VALU_DEP_2) | instskip(NEXT) | instid1(VALU_DEP_2)
	v_xor_b32_e32 v15, v15, v12
	v_xor_b32_e32 v14, v14, v12
	s_delay_alu instid0(VALU_DEP_1)
	v_sub_nc_u64_e32 v[34:35], v[14:15], v[12:13]
	s_and_not1_saveexec_b32 s0, s1
	s_cbranch_execz .LBB26_25
.LBB26_30:                              ;   in Loop: Header=BB26_11 Depth=1
	v_cvt_f32_u32_e32 v12, s12
	s_sub_co_i32 s1, 0, s12
	v_mov_b32_e32 v35, v24
	s_delay_alu instid0(VALU_DEP_2) | instskip(SKIP_1) | instid1(TRANS32_DEP_1)
	v_rcp_iflag_f32_e32 v12, v12
	v_nop
	v_mul_f32_e32 v12, 0x4f7ffffe, v12
	s_delay_alu instid0(VALU_DEP_1) | instskip(NEXT) | instid1(VALU_DEP_1)
	v_cvt_u32_f32_e32 v12, v12
	v_mul_lo_u32 v13, s1, v12
	s_delay_alu instid0(VALU_DEP_1) | instskip(NEXT) | instid1(VALU_DEP_1)
	v_mul_hi_u32 v13, v12, v13
	v_add_nc_u32_e32 v12, v12, v13
	s_delay_alu instid0(VALU_DEP_1) | instskip(NEXT) | instid1(VALU_DEP_1)
	v_mul_hi_u32 v12, v10, v12
	v_mul_lo_u32 v13, v12, s12
	s_delay_alu instid0(VALU_DEP_1) | instskip(NEXT) | instid1(VALU_DEP_1)
	v_dual_add_nc_u32 v14, 1, v12 :: v_dual_sub_nc_u32 v13, v10, v13
	v_subrev_nc_u32_e32 v15, s12, v13
	v_cmp_le_u32_e32 vcc_lo, s12, v13
	s_delay_alu instid0(VALU_DEP_2) | instskip(NEXT) | instid1(VALU_DEP_1)
	v_dual_cndmask_b32 v13, v13, v15 :: v_dual_cndmask_b32 v12, v12, v14
	v_cmp_le_u32_e32 vcc_lo, s12, v13
	s_delay_alu instid0(VALU_DEP_2) | instskip(NEXT) | instid1(VALU_DEP_1)
	v_add_nc_u32_e32 v14, 1, v12
	v_cndmask_b32_e32 v34, v12, v14, vcc_lo
	s_or_b32 exec_lo, exec_lo, s0
	s_delay_alu instid0(SALU_CYCLE_1)
	s_and_not1_b32 vcc_lo, exec_lo, s68
                                        ; implicit-def: $vgpr12_vgpr13_vgpr14_vgpr15_vgpr16_vgpr17_vgpr18_vgpr19
	s_cbranch_vccnz .LBB26_26
.LBB26_31:                              ;   in Loop: Header=BB26_11 Depth=1
	v_add_nc_u64_e32 v[12:13], s[44:45], v[0:1]
	s_mov_b32 s0, exec_lo
	s_delay_alu instid0(VALU_DEP_1) | instskip(NEXT) | instid1(VALU_DEP_1)
	v_mad_nc_u64_u32 v[14:15], s20, v28, v[12:13]
	v_mad_u32 v12, s21, v28, v15
	s_delay_alu instid0(VALU_DEP_1) | instskip(NEXT) | instid1(VALU_DEP_1)
	v_mad_u32 v15, s20, v29, v12
                                        ; implicit-def: $vgpr12_vgpr13
	v_or_b32_e32 v25, s19, v15
	s_delay_alu instid0(VALU_DEP_1)
	v_cmpx_ne_u64_e32 0, v[24:25]
	s_xor_b32 s1, exec_lo, s0
	s_cbranch_execz .LBB26_33
; %bb.32:                               ;   in Loop: Header=BB26_11 Depth=1
	s_ashr_i32 s64, s19, 31
	v_dual_mov_b32 v17, v24 :: v_dual_ashrrev_i32 v12, 31, v15
	s_mov_b32 s65, s64
	v_mov_b32_e32 v41, v24
	s_add_nc_u64 s[70:71], s[18:19], s[64:65]
	s_delay_alu instid0(VALU_DEP_2) | instskip(SKIP_1) | instid1(SALU_CYCLE_1)
	v_mov_b32_e32 v13, v12
	s_xor_b64 s[64:65], s[70:71], s[64:65]
	s_cvt_f32_u32 s0, s64
	s_cvt_f32_u32 s2, s65
	s_sub_nc_u64 s[72:73], 0, s[64:65]
	v_add_nc_u64_e32 v[14:15], v[14:15], v[12:13]
	v_mov_b32_e32 v37, v24
	s_fmamk_f32 s0, s2, 0x4f800000, s0
	s_delay_alu instid0(SALU_CYCLE_3) | instskip(NEXT) | instid1(VALU_DEP_2)
	v_s_rcp_f32 s0, s0
	v_xor_b32_e32 v16, v14, v12
	s_delay_alu instid0(VALU_DEP_3) | instskip(NEXT) | instid1(TRANS32_DEP_1)
	v_xor_b32_e32 v36, v15, v12
	s_mul_f32 s0, s0, 0x5f7ffffc
	s_delay_alu instid0(SALU_CYCLE_3) | instskip(NEXT) | instid1(SALU_CYCLE_3)
	s_mul_f32 s2, s0, 0x2f800000
	s_trunc_f32 s2, s2
	s_delay_alu instid0(SALU_CYCLE_3) | instskip(SKIP_1) | instid1(SALU_CYCLE_2)
	s_fmamk_f32 s0, s2, 0xcf800000, s0
	s_cvt_u32_f32 s71, s2
	s_cvt_u32_f32 s70, s0
	s_delay_alu instid0(SALU_CYCLE_3) | instskip(NEXT) | instid1(SALU_CYCLE_1)
	s_mul_u64 s[74:75], s[72:73], s[70:71]
	s_mul_hi_u32 s77, s70, s75
	s_mul_i32 s76, s70, s75
	s_mul_hi_u32 s2, s70, s74
	s_mul_i32 s63, s71, s74
	s_add_nc_u64 s[76:77], s[2:3], s[76:77]
	s_mul_hi_u32 s0, s71, s74
	s_mul_hi_u32 s78, s71, s75
	s_add_co_u32 s2, s76, s63
	s_add_co_ci_u32 s2, s77, s0
	s_mul_i32 s74, s71, s75
	s_add_co_ci_u32 s75, s78, 0
	s_delay_alu instid0(SALU_CYCLE_1) | instskip(NEXT) | instid1(SALU_CYCLE_1)
	s_add_nc_u64 s[74:75], s[2:3], s[74:75]
	s_add_co_u32 s70, s70, s74
	s_cselect_b32 s0, -1, 0
	s_delay_alu instid0(SALU_CYCLE_1) | instskip(SKIP_1) | instid1(SALU_CYCLE_1)
	s_cmp_lg_u32 s0, 0
	s_add_co_ci_u32 s71, s71, s75
	s_mul_u64 s[72:73], s[72:73], s[70:71]
	s_delay_alu instid0(SALU_CYCLE_1)
	s_mul_hi_u32 s75, s70, s73
	s_mul_i32 s74, s70, s73
	s_mul_hi_u32 s2, s70, s72
	s_mul_i32 s63, s71, s72
	s_add_nc_u64 s[74:75], s[2:3], s[74:75]
	s_mul_hi_u32 s0, s71, s72
	s_mul_hi_u32 s76, s71, s73
	s_add_co_u32 s2, s74, s63
	s_add_co_ci_u32 s2, s75, s0
	s_mul_i32 s72, s71, s73
	s_add_co_ci_u32 s73, s76, 0
	s_delay_alu instid0(SALU_CYCLE_1) | instskip(NEXT) | instid1(SALU_CYCLE_1)
	s_add_nc_u64 s[72:73], s[2:3], s[72:73]
	s_add_co_u32 s0, s70, s72
	s_cselect_b32 s2, -1, 0
	v_mul_hi_u32 v40, v16, s0
	s_cmp_lg_u32 s2, 0
	s_add_co_ci_u32 s2, s71, s73
	s_and_b64 s[70:71], s[0:1], s[60:61]
	v_mul_u64_e32 v[18:19], s[2:3], v[16:17]
	v_mul_u64_e32 v[14:15], s[70:71], v[36:37]
	v_mul_u64_e32 v[38:39], s[2:3], v[36:37]
	s_delay_alu instid0(VALU_DEP_3) | instskip(NEXT) | instid1(VALU_DEP_1)
	v_add_nc_u64_e32 v[18:19], v[40:41], v[18:19]
	v_add_co_u32 v14, vcc_lo, v18, v14
	s_delay_alu instid0(VALU_DEP_2) | instskip(NEXT) | instid1(VALU_DEP_4)
	v_add_co_ci_u32_e32 v40, vcc_lo, v19, v15, vcc_lo
	v_add_co_ci_u32_e32 v39, vcc_lo, 0, v39, vcc_lo
	s_delay_alu instid0(VALU_DEP_1) | instskip(NEXT) | instid1(VALU_DEP_1)
	v_add_nc_u64_e32 v[14:15], v[40:41], v[38:39]
	v_mul_u64_e32 v[14:15], s[64:65], v[14:15]
	s_delay_alu instid0(VALU_DEP_1) | instskip(NEXT) | instid1(VALU_DEP_2)
	v_sub_nc_u32_e32 v17, v36, v15
	v_sub_co_u32 v14, vcc_lo, v16, v14
	s_delay_alu instid0(VALU_DEP_1) | instskip(NEXT) | instid1(VALU_DEP_3)
	v_sub_co_ci_u32_e64 v15, null, v36, v15, vcc_lo
	v_subrev_co_ci_u32_e64 v16, null, s65, v17, vcc_lo
	s_delay_alu instid0(VALU_DEP_3) | instskip(SKIP_1) | instid1(VALU_DEP_3)
	v_sub_co_u32 v17, vcc_lo, v14, s64
	v_cmp_le_u32_e64 s0, s64, v14
	v_subrev_co_ci_u32_e64 v18, null, 0, v16, vcc_lo
	v_subrev_co_ci_u32_e64 v16, null, s65, v16, vcc_lo
	s_delay_alu instid0(VALU_DEP_3) | instskip(SKIP_2) | instid1(VALU_DEP_2)
	v_cndmask_b32_e64 v19, 0, -1, s0
	v_cmp_le_u32_e64 s0, s64, v17
	v_cmp_le_u32_e32 vcc_lo, s65, v15
	v_cndmask_b32_e64 v25, 0, -1, s0
	v_cmp_le_u32_e64 s0, s65, v18
	v_cndmask_b32_e64 v37, 0, -1, vcc_lo
	v_cmp_eq_u32_e32 vcc_lo, s65, v18
	s_delay_alu instid0(VALU_DEP_3) | instskip(SKIP_1) | instid1(VALU_DEP_2)
	v_cndmask_b32_e64 v36, 0, -1, s0
	v_cmp_eq_u32_e64 s0, s65, v15
	v_cndmask_b32_e32 v25, v36, v25, vcc_lo
	v_sub_co_u32 v36, vcc_lo, v17, s64
	s_delay_alu instid0(VALU_DEP_1) | instskip(NEXT) | instid1(VALU_DEP_3)
	v_subrev_co_ci_u32_e64 v16, null, 0, v16, vcc_lo
	v_cmp_ne_u32_e32 vcc_lo, 0, v25
	s_delay_alu instid0(VALU_DEP_2) | instskip(NEXT) | instid1(VALU_DEP_4)
	v_dual_cndmask_b32 v19, v37, v19, s0 :: v_dual_cndmask_b32 v16, v18, v16, vcc_lo
	v_cndmask_b32_e32 v17, v17, v36, vcc_lo
	s_delay_alu instid0(VALU_DEP_2) | instskip(NEXT) | instid1(VALU_DEP_2)
	v_cmp_ne_u32_e32 vcc_lo, 0, v19
	v_dual_cndmask_b32 v15, v15, v16 :: v_dual_cndmask_b32 v14, v14, v17
	s_delay_alu instid0(VALU_DEP_1) | instskip(NEXT) | instid1(VALU_DEP_2)
	v_xor_b32_e32 v15, v15, v12
	v_xor_b32_e32 v14, v14, v12
	s_delay_alu instid0(VALU_DEP_1)
	v_sub_nc_u64_e32 v[12:13], v[14:15], v[12:13]
                                        ; implicit-def: $vgpr14_vgpr15
.LBB26_33:                              ;   in Loop: Header=BB26_11 Depth=1
	s_and_not1_saveexec_b32 s0, s1
	s_cbranch_execz .LBB26_35
; %bb.34:                               ;   in Loop: Header=BB26_11 Depth=1
	v_cvt_f32_u32_e32 v12, s18
	s_sub_co_i32 s1, 0, s18
	s_delay_alu instid0(VALU_DEP_1) | instskip(SKIP_1) | instid1(TRANS32_DEP_1)
	v_rcp_iflag_f32_e32 v12, v12
	v_nop
	v_mul_f32_e32 v12, 0x4f7ffffe, v12
	s_delay_alu instid0(VALU_DEP_1) | instskip(NEXT) | instid1(VALU_DEP_1)
	v_cvt_u32_f32_e32 v12, v12
	v_mul_lo_u32 v13, s1, v12
	s_delay_alu instid0(VALU_DEP_1) | instskip(NEXT) | instid1(VALU_DEP_1)
	v_mul_hi_u32 v13, v12, v13
	v_add_nc_u32_e32 v12, v12, v13
	s_delay_alu instid0(VALU_DEP_1) | instskip(NEXT) | instid1(VALU_DEP_1)
	v_mul_hi_u32 v12, v14, v12
	v_mul_lo_u32 v12, v12, s18
	s_delay_alu instid0(VALU_DEP_1) | instskip(NEXT) | instid1(VALU_DEP_1)
	v_sub_nc_u32_e32 v12, v14, v12
	v_subrev_nc_u32_e32 v13, s18, v12
	v_cmp_le_u32_e32 vcc_lo, s18, v12
	s_delay_alu instid0(VALU_DEP_2) | instskip(NEXT) | instid1(VALU_DEP_1)
	v_cndmask_b32_e32 v12, v12, v13, vcc_lo
	v_subrev_nc_u32_e32 v13, s18, v12
	v_cmp_le_u32_e32 vcc_lo, s18, v12
	s_delay_alu instid0(VALU_DEP_2)
	v_cndmask_b32_e32 v12, v12, v13, vcc_lo
	v_mov_b32_e32 v13, v24
.LBB26_35:                              ;   in Loop: Header=BB26_11 Depth=1
	s_or_b32 exec_lo, exec_lo, s0
	s_delay_alu instid0(SALU_CYCLE_1)
	s_and_not1_b32 vcc_lo, exec_lo, s68
	s_cbranch_vccnz .LBB26_27
.LBB26_36:                              ;   in Loop: Header=BB26_11 Depth=1
	v_add_nc_u64_e32 v[14:15], s[58:59], v[0:1]
	s_mov_b32 s0, exec_lo
	s_delay_alu instid0(VALU_DEP_1) | instskip(NEXT) | instid1(VALU_DEP_1)
	v_mad_nc_u64_u32 v[36:37], s20, v30, v[14:15]
	v_mad_u32 v14, s21, v30, v37
	s_delay_alu instid0(VALU_DEP_1) | instskip(NEXT) | instid1(VALU_DEP_1)
	v_mad_u32 v37, s20, v31, v14
	v_or_b32_e32 v25, s19, v37
	s_delay_alu instid0(VALU_DEP_1)
	v_cmpx_ne_u64_e32 0, v[24:25]
	s_xor_b32 s1, exec_lo, s0
	s_cbranch_execz .LBB26_38
; %bb.37:                               ;   in Loop: Header=BB26_11 Depth=1
	s_ashr_i32 s64, s19, 31
	v_dual_mov_b32 v39, v24 :: v_dual_ashrrev_i32 v14, 31, v37
	s_mov_b32 s65, s64
	s_delay_alu instid0(SALU_CYCLE_1) | instskip(NEXT) | instid1(VALU_DEP_1)
	s_add_nc_u64 s[70:71], s[18:19], s[64:65]
	v_mov_b32_e32 v15, v14
	s_xor_b64 s[64:65], s[70:71], s[64:65]
	s_delay_alu instid0(SALU_CYCLE_1)
	s_cvt_f32_u32 s0, s64
	s_cvt_f32_u32 s2, s65
	s_sub_nc_u64 s[72:73], 0, s[64:65]
	v_add_nc_u64_e32 v[36:37], v[36:37], v[14:15]
	v_mov_b32_e32 v43, v24
	s_fmamk_f32 s0, s2, 0x4f800000, s0
	s_delay_alu instid0(SALU_CYCLE_3) | instskip(NEXT) | instid1(VALU_DEP_2)
	v_s_rcp_f32 s0, s0
	v_xor_b32_e32 v38, v36, v14
	s_delay_alu instid0(VALU_DEP_3) | instskip(NEXT) | instid1(TRANS32_DEP_1)
	v_dual_mov_b32 v47, v24 :: v_dual_bitop2_b32 v42, v37, v14 bitop3:0x14
	s_mul_f32 s0, s0, 0x5f7ffffc
	s_delay_alu instid0(SALU_CYCLE_3) | instskip(NEXT) | instid1(SALU_CYCLE_3)
	s_mul_f32 s2, s0, 0x2f800000
	s_trunc_f32 s2, s2
	s_delay_alu instid0(SALU_CYCLE_3) | instskip(SKIP_1) | instid1(SALU_CYCLE_2)
	s_fmamk_f32 s0, s2, 0xcf800000, s0
	s_cvt_u32_f32 s71, s2
	s_cvt_u32_f32 s70, s0
	s_delay_alu instid0(SALU_CYCLE_3) | instskip(NEXT) | instid1(SALU_CYCLE_1)
	s_mul_u64 s[74:75], s[72:73], s[70:71]
	s_mul_hi_u32 s77, s70, s75
	s_mul_i32 s76, s70, s75
	s_mul_hi_u32 s2, s70, s74
	s_mul_i32 s63, s71, s74
	s_add_nc_u64 s[76:77], s[2:3], s[76:77]
	s_mul_hi_u32 s0, s71, s74
	s_mul_hi_u32 s78, s71, s75
	s_add_co_u32 s2, s76, s63
	s_add_co_ci_u32 s2, s77, s0
	s_mul_i32 s74, s71, s75
	s_add_co_ci_u32 s75, s78, 0
	s_delay_alu instid0(SALU_CYCLE_1) | instskip(NEXT) | instid1(SALU_CYCLE_1)
	s_add_nc_u64 s[74:75], s[2:3], s[74:75]
	s_add_co_u32 s70, s70, s74
	s_cselect_b32 s0, -1, 0
	s_delay_alu instid0(SALU_CYCLE_1) | instskip(SKIP_1) | instid1(SALU_CYCLE_1)
	s_cmp_lg_u32 s0, 0
	s_add_co_ci_u32 s71, s71, s75
	s_mul_u64 s[72:73], s[72:73], s[70:71]
	s_delay_alu instid0(SALU_CYCLE_1)
	s_mul_hi_u32 s75, s70, s73
	s_mul_i32 s74, s70, s73
	s_mul_hi_u32 s2, s70, s72
	s_mul_i32 s63, s71, s72
	s_add_nc_u64 s[74:75], s[2:3], s[74:75]
	s_mul_hi_u32 s0, s71, s72
	s_mul_hi_u32 s76, s71, s73
	s_add_co_u32 s2, s74, s63
	s_add_co_ci_u32 s2, s75, s0
	s_mul_i32 s72, s71, s73
	s_add_co_ci_u32 s73, s76, 0
	s_delay_alu instid0(SALU_CYCLE_1) | instskip(NEXT) | instid1(SALU_CYCLE_1)
	s_add_nc_u64 s[72:73], s[2:3], s[72:73]
	s_add_co_u32 s0, s70, s72
	s_cselect_b32 s2, -1, 0
	v_mul_hi_u32 v46, v38, s0
	s_cmp_lg_u32 s2, 0
	s_add_co_ci_u32 s2, s71, s73
	s_and_b64 s[70:71], s[0:1], s[60:61]
	v_mul_u64_e32 v[40:41], s[2:3], v[38:39]
	v_mul_u64_e32 v[36:37], s[70:71], v[42:43]
	;; [unrolled: 1-line block ×3, first 2 shown]
	s_delay_alu instid0(VALU_DEP_3) | instskip(NEXT) | instid1(VALU_DEP_1)
	v_add_nc_u64_e32 v[40:41], v[46:47], v[40:41]
	v_add_co_u32 v25, vcc_lo, v40, v36
	s_delay_alu instid0(VALU_DEP_2) | instskip(NEXT) | instid1(VALU_DEP_4)
	v_add_co_ci_u32_e32 v46, vcc_lo, v41, v37, vcc_lo
	v_add_co_ci_u32_e32 v45, vcc_lo, 0, v45, vcc_lo
	s_delay_alu instid0(VALU_DEP_1) | instskip(NEXT) | instid1(VALU_DEP_1)
	v_add_nc_u64_e32 v[36:37], v[46:47], v[44:45]
	v_mul_u64_e32 v[36:37], s[64:65], v[36:37]
	s_delay_alu instid0(VALU_DEP_1) | instskip(NEXT) | instid1(VALU_DEP_2)
	v_sub_nc_u32_e32 v25, v42, v37
	v_sub_co_u32 v36, vcc_lo, v38, v36
	s_delay_alu instid0(VALU_DEP_1) | instskip(NEXT) | instid1(VALU_DEP_3)
	v_sub_co_ci_u32_e64 v37, null, v42, v37, vcc_lo
	v_subrev_co_ci_u32_e64 v25, null, s65, v25, vcc_lo
	s_delay_alu instid0(VALU_DEP_3) | instskip(SKIP_1) | instid1(VALU_DEP_3)
	v_sub_co_u32 v38, vcc_lo, v36, s64
	v_cmp_le_u32_e64 s0, s64, v36
	v_subrev_co_ci_u32_e64 v39, null, 0, v25, vcc_lo
	v_subrev_co_ci_u32_e64 v25, null, s65, v25, vcc_lo
	s_delay_alu instid0(VALU_DEP_3) | instskip(SKIP_2) | instid1(VALU_DEP_2)
	v_cndmask_b32_e64 v40, 0, -1, s0
	v_cmp_le_u32_e64 s0, s64, v38
	v_cmp_le_u32_e32 vcc_lo, s65, v37
	v_cndmask_b32_e64 v41, 0, -1, s0
	v_cmp_le_u32_e64 s0, s65, v39
	v_cndmask_b32_e64 v43, 0, -1, vcc_lo
	v_cmp_eq_u32_e32 vcc_lo, s65, v39
	s_delay_alu instid0(VALU_DEP_3) | instskip(SKIP_1) | instid1(VALU_DEP_1)
	v_cndmask_b32_e64 v42, 0, -1, s0
	v_cmp_eq_u32_e64 s0, s65, v37
	v_dual_cndmask_b32 v41, v42, v41, vcc_lo :: v_dual_cndmask_b32 v40, v43, v40, s0
	v_sub_co_u32 v42, vcc_lo, v38, s64
	s_delay_alu instid0(VALU_DEP_1) | instskip(NEXT) | instid1(VALU_DEP_3)
	v_subrev_co_ci_u32_e64 v25, null, 0, v25, vcc_lo
	v_cmp_ne_u32_e32 vcc_lo, 0, v41
	s_delay_alu instid0(VALU_DEP_2) | instskip(SKIP_1) | instid1(VALU_DEP_2)
	v_dual_cndmask_b32 v25, v39, v25 :: v_dual_cndmask_b32 v38, v38, v42
	v_cmp_ne_u32_e32 vcc_lo, 0, v40
	v_dual_cndmask_b32 v25, v37, v25 :: v_dual_cndmask_b32 v36, v36, v38
	s_delay_alu instid0(VALU_DEP_1) | instskip(NEXT) | instid1(VALU_DEP_2)
	v_xor_b32_e32 v37, v25, v14
	v_xor_b32_e32 v36, v36, v14
	s_delay_alu instid0(VALU_DEP_1)
	v_sub_nc_u64_e32 v[14:15], v[36:37], v[14:15]
                                        ; implicit-def: $vgpr36_vgpr37
.LBB26_38:                              ;   in Loop: Header=BB26_11 Depth=1
	s_and_not1_saveexec_b32 s0, s1
	s_cbranch_execz .LBB26_40
; %bb.39:                               ;   in Loop: Header=BB26_11 Depth=1
	v_cvt_f32_u32_e32 v14, s18
	s_sub_co_i32 s1, 0, s18
	s_delay_alu instid0(VALU_DEP_1) | instskip(SKIP_1) | instid1(TRANS32_DEP_1)
	v_rcp_iflag_f32_e32 v14, v14
	v_nop
	v_mul_f32_e32 v14, 0x4f7ffffe, v14
	s_delay_alu instid0(VALU_DEP_1) | instskip(NEXT) | instid1(VALU_DEP_1)
	v_cvt_u32_f32_e32 v14, v14
	v_mul_lo_u32 v15, s1, v14
	s_delay_alu instid0(VALU_DEP_1) | instskip(NEXT) | instid1(VALU_DEP_1)
	v_mul_hi_u32 v15, v14, v15
	v_add_nc_u32_e32 v14, v14, v15
	s_delay_alu instid0(VALU_DEP_1) | instskip(NEXT) | instid1(VALU_DEP_1)
	v_mul_hi_u32 v14, v36, v14
	v_mul_lo_u32 v14, v14, s18
	s_delay_alu instid0(VALU_DEP_1) | instskip(NEXT) | instid1(VALU_DEP_1)
	v_sub_nc_u32_e32 v14, v36, v14
	v_subrev_nc_u32_e32 v15, s18, v14
	v_cmp_le_u32_e32 vcc_lo, s18, v14
	s_delay_alu instid0(VALU_DEP_2) | instskip(NEXT) | instid1(VALU_DEP_1)
	v_cndmask_b32_e32 v14, v14, v15, vcc_lo
	v_subrev_nc_u32_e32 v15, s18, v14
	v_cmp_le_u32_e32 vcc_lo, s18, v14
	s_delay_alu instid0(VALU_DEP_2)
	v_dual_cndmask_b32 v14, v14, v15 :: v_dual_mov_b32 v15, v24
.LBB26_40:                              ;   in Loop: Header=BB26_11 Depth=1
	s_or_b32 exec_lo, exec_lo, s0
	s_delay_alu instid0(SALU_CYCLE_1)
	s_and_not1_b32 vcc_lo, exec_lo, s68
	s_cbranch_vccnz .LBB26_28
.LBB26_41:                              ;   in Loop: Header=BB26_11 Depth=1
	v_add_nc_u64_e32 v[16:17], s[54:55], v[0:1]
	s_mov_b32 s0, exec_lo
	s_delay_alu instid0(VALU_DEP_1) | instskip(NEXT) | instid1(VALU_DEP_1)
	v_mad_nc_u64_u32 v[36:37], s20, v32, v[16:17]
	v_mad_u32 v16, s21, v32, v37
	s_delay_alu instid0(VALU_DEP_1) | instskip(NEXT) | instid1(VALU_DEP_1)
	v_mad_u32 v37, s20, v33, v16
	v_or_b32_e32 v25, s19, v37
	s_delay_alu instid0(VALU_DEP_1)
	v_cmpx_ne_u64_e32 0, v[24:25]
	s_xor_b32 s1, exec_lo, s0
	s_cbranch_execz .LBB26_43
; %bb.42:                               ;   in Loop: Header=BB26_11 Depth=1
	s_ashr_i32 s64, s19, 31
	v_dual_mov_b32 v39, v24 :: v_dual_ashrrev_i32 v16, 31, v37
	s_mov_b32 s65, s64
	v_mov_b32_e32 v43, v24
	s_add_nc_u64 s[70:71], s[18:19], s[64:65]
	s_delay_alu instid0(VALU_DEP_2)
	v_mov_b32_e32 v17, v16
	s_xor_b64 s[64:65], s[70:71], s[64:65]
	v_mov_b32_e32 v47, v24
	s_cvt_f32_u32 s0, s64
	s_cvt_f32_u32 s2, s65
	s_sub_nc_u64 s[72:73], 0, s[64:65]
	v_add_nc_u64_e32 v[36:37], v[36:37], v[16:17]
	s_delay_alu instid0(SALU_CYCLE_1) | instskip(NEXT) | instid1(SALU_CYCLE_3)
	s_fmamk_f32 s0, s2, 0x4f800000, s0
	v_s_rcp_f32 s0, s0
	s_delay_alu instid0(VALU_DEP_1) | instskip(NEXT) | instid1(VALU_DEP_2)
	v_xor_b32_e32 v42, v37, v16
	v_xor_b32_e32 v38, v36, v16
	s_delay_alu instid0(TRANS32_DEP_1) | instskip(NEXT) | instid1(SALU_CYCLE_3)
	s_mul_f32 s0, s0, 0x5f7ffffc
	s_mul_f32 s2, s0, 0x2f800000
	s_delay_alu instid0(SALU_CYCLE_3) | instskip(NEXT) | instid1(SALU_CYCLE_3)
	s_trunc_f32 s2, s2
	s_fmamk_f32 s0, s2, 0xcf800000, s0
	s_cvt_u32_f32 s71, s2
	s_delay_alu instid0(SALU_CYCLE_2) | instskip(NEXT) | instid1(SALU_CYCLE_3)
	s_cvt_u32_f32 s70, s0
	s_mul_u64 s[74:75], s[72:73], s[70:71]
	s_delay_alu instid0(SALU_CYCLE_1)
	s_mul_hi_u32 s77, s70, s75
	s_mul_i32 s76, s70, s75
	s_mul_hi_u32 s2, s70, s74
	s_mul_i32 s63, s71, s74
	s_add_nc_u64 s[76:77], s[2:3], s[76:77]
	s_mul_hi_u32 s0, s71, s74
	s_mul_hi_u32 s78, s71, s75
	s_add_co_u32 s2, s76, s63
	s_add_co_ci_u32 s2, s77, s0
	s_mul_i32 s74, s71, s75
	s_add_co_ci_u32 s75, s78, 0
	s_delay_alu instid0(SALU_CYCLE_1) | instskip(NEXT) | instid1(SALU_CYCLE_1)
	s_add_nc_u64 s[74:75], s[2:3], s[74:75]
	s_add_co_u32 s70, s70, s74
	s_cselect_b32 s0, -1, 0
	s_delay_alu instid0(SALU_CYCLE_1) | instskip(SKIP_1) | instid1(SALU_CYCLE_1)
	s_cmp_lg_u32 s0, 0
	s_add_co_ci_u32 s71, s71, s75
	s_mul_u64 s[72:73], s[72:73], s[70:71]
	s_delay_alu instid0(SALU_CYCLE_1)
	s_mul_hi_u32 s75, s70, s73
	s_mul_i32 s74, s70, s73
	s_mul_hi_u32 s2, s70, s72
	s_mul_i32 s63, s71, s72
	s_add_nc_u64 s[74:75], s[2:3], s[74:75]
	s_mul_hi_u32 s0, s71, s72
	s_mul_hi_u32 s76, s71, s73
	s_add_co_u32 s2, s74, s63
	s_add_co_ci_u32 s2, s75, s0
	s_mul_i32 s72, s71, s73
	s_add_co_ci_u32 s73, s76, 0
	s_delay_alu instid0(SALU_CYCLE_1) | instskip(NEXT) | instid1(SALU_CYCLE_1)
	s_add_nc_u64 s[72:73], s[2:3], s[72:73]
	s_add_co_u32 s0, s70, s72
	s_cselect_b32 s2, -1, 0
	v_mul_hi_u32 v46, v38, s0
	s_cmp_lg_u32 s2, 0
	s_add_co_ci_u32 s2, s71, s73
	s_and_b64 s[70:71], s[0:1], s[60:61]
	v_mul_u64_e32 v[40:41], s[2:3], v[38:39]
	v_mul_u64_e32 v[36:37], s[70:71], v[42:43]
	v_mul_u64_e32 v[44:45], s[2:3], v[42:43]
	s_delay_alu instid0(VALU_DEP_3) | instskip(NEXT) | instid1(VALU_DEP_1)
	v_add_nc_u64_e32 v[40:41], v[46:47], v[40:41]
	v_add_co_u32 v25, vcc_lo, v40, v36
	s_delay_alu instid0(VALU_DEP_2) | instskip(NEXT) | instid1(VALU_DEP_4)
	v_add_co_ci_u32_e32 v46, vcc_lo, v41, v37, vcc_lo
	v_add_co_ci_u32_e32 v45, vcc_lo, 0, v45, vcc_lo
	s_delay_alu instid0(VALU_DEP_1) | instskip(NEXT) | instid1(VALU_DEP_1)
	v_add_nc_u64_e32 v[36:37], v[46:47], v[44:45]
	v_mul_u64_e32 v[36:37], s[64:65], v[36:37]
	s_delay_alu instid0(VALU_DEP_1) | instskip(NEXT) | instid1(VALU_DEP_2)
	v_sub_nc_u32_e32 v25, v42, v37
	v_sub_co_u32 v36, vcc_lo, v38, v36
	s_delay_alu instid0(VALU_DEP_1) | instskip(NEXT) | instid1(VALU_DEP_3)
	v_sub_co_ci_u32_e64 v37, null, v42, v37, vcc_lo
	v_subrev_co_ci_u32_e64 v25, null, s65, v25, vcc_lo
	s_delay_alu instid0(VALU_DEP_3) | instskip(SKIP_1) | instid1(VALU_DEP_3)
	v_sub_co_u32 v38, vcc_lo, v36, s64
	v_cmp_le_u32_e64 s0, s64, v36
	v_subrev_co_ci_u32_e64 v39, null, 0, v25, vcc_lo
	v_subrev_co_ci_u32_e64 v25, null, s65, v25, vcc_lo
	s_delay_alu instid0(VALU_DEP_3) | instskip(SKIP_2) | instid1(VALU_DEP_2)
	v_cndmask_b32_e64 v40, 0, -1, s0
	v_cmp_le_u32_e64 s0, s64, v38
	v_cmp_le_u32_e32 vcc_lo, s65, v37
	v_cndmask_b32_e64 v41, 0, -1, s0
	v_cmp_le_u32_e64 s0, s65, v39
	v_cndmask_b32_e64 v43, 0, -1, vcc_lo
	v_cmp_eq_u32_e32 vcc_lo, s65, v39
	s_delay_alu instid0(VALU_DEP_3) | instskip(SKIP_1) | instid1(VALU_DEP_1)
	v_cndmask_b32_e64 v42, 0, -1, s0
	v_cmp_eq_u32_e64 s0, s65, v37
	v_dual_cndmask_b32 v41, v42, v41, vcc_lo :: v_dual_cndmask_b32 v40, v43, v40, s0
	v_sub_co_u32 v42, vcc_lo, v38, s64
	s_delay_alu instid0(VALU_DEP_1) | instskip(NEXT) | instid1(VALU_DEP_3)
	v_subrev_co_ci_u32_e64 v25, null, 0, v25, vcc_lo
	v_cmp_ne_u32_e32 vcc_lo, 0, v41
	s_delay_alu instid0(VALU_DEP_2) | instskip(SKIP_1) | instid1(VALU_DEP_2)
	v_dual_cndmask_b32 v25, v39, v25 :: v_dual_cndmask_b32 v38, v38, v42
	v_cmp_ne_u32_e32 vcc_lo, 0, v40
	v_dual_cndmask_b32 v25, v37, v25 :: v_dual_cndmask_b32 v36, v36, v38
	s_delay_alu instid0(VALU_DEP_1) | instskip(NEXT) | instid1(VALU_DEP_2)
	v_xor_b32_e32 v37, v25, v16
	v_xor_b32_e32 v36, v36, v16
	s_delay_alu instid0(VALU_DEP_1)
	v_sub_nc_u64_e32 v[16:17], v[36:37], v[16:17]
                                        ; implicit-def: $vgpr36_vgpr37
.LBB26_43:                              ;   in Loop: Header=BB26_11 Depth=1
	s_and_not1_saveexec_b32 s0, s1
	s_cbranch_execz .LBB26_45
; %bb.44:                               ;   in Loop: Header=BB26_11 Depth=1
	v_cvt_f32_u32_e32 v16, s18
	s_sub_co_i32 s1, 0, s18
	s_delay_alu instid0(VALU_DEP_1) | instskip(SKIP_1) | instid1(TRANS32_DEP_1)
	v_rcp_iflag_f32_e32 v16, v16
	v_nop
	v_mul_f32_e32 v16, 0x4f7ffffe, v16
	s_delay_alu instid0(VALU_DEP_1) | instskip(NEXT) | instid1(VALU_DEP_1)
	v_cvt_u32_f32_e32 v16, v16
	v_mul_lo_u32 v17, s1, v16
	s_delay_alu instid0(VALU_DEP_1) | instskip(NEXT) | instid1(VALU_DEP_1)
	v_mul_hi_u32 v17, v16, v17
	v_add_nc_u32_e32 v16, v16, v17
	s_delay_alu instid0(VALU_DEP_1) | instskip(NEXT) | instid1(VALU_DEP_1)
	v_mul_hi_u32 v16, v36, v16
	v_mul_lo_u32 v16, v16, s18
	s_delay_alu instid0(VALU_DEP_1) | instskip(NEXT) | instid1(VALU_DEP_1)
	v_sub_nc_u32_e32 v16, v36, v16
	v_subrev_nc_u32_e32 v17, s18, v16
	v_cmp_le_u32_e32 vcc_lo, s18, v16
	s_delay_alu instid0(VALU_DEP_2) | instskip(NEXT) | instid1(VALU_DEP_1)
	v_cndmask_b32_e32 v16, v16, v17, vcc_lo
	v_subrev_nc_u32_e32 v17, s18, v16
	v_cmp_le_u32_e32 vcc_lo, s18, v16
	s_delay_alu instid0(VALU_DEP_2)
	v_cndmask_b32_e32 v16, v16, v17, vcc_lo
	v_mov_b32_e32 v17, v24
.LBB26_45:                              ;   in Loop: Header=BB26_11 Depth=1
	s_or_b32 exec_lo, exec_lo, s0
	s_delay_alu instid0(SALU_CYCLE_1)
	s_and_not1_b32 vcc_lo, exec_lo, s68
	s_cbranch_vccnz .LBB26_10
.LBB26_46:                              ;   in Loop: Header=BB26_11 Depth=1
	v_add_nc_u64_e32 v[18:19], s[56:57], v[0:1]
	s_mov_b32 s0, exec_lo
	s_delay_alu instid0(VALU_DEP_1) | instskip(NEXT) | instid1(VALU_DEP_1)
	v_mad_nc_u64_u32 v[36:37], s20, v34, v[18:19]
	v_mad_u32 v18, s21, v34, v37
	s_delay_alu instid0(VALU_DEP_1) | instskip(NEXT) | instid1(VALU_DEP_1)
	v_mad_u32 v37, s20, v35, v18
	v_or_b32_e32 v25, s19, v37
	s_delay_alu instid0(VALU_DEP_1)
	v_cmpx_ne_u64_e32 0, v[24:25]
	s_xor_b32 s1, exec_lo, s0
	s_cbranch_execz .LBB26_48
; %bb.47:                               ;   in Loop: Header=BB26_11 Depth=1
	s_ashr_i32 s64, s19, 31
	v_dual_mov_b32 v39, v24 :: v_dual_ashrrev_i32 v18, 31, v37
	s_mov_b32 s65, s64
	s_delay_alu instid0(SALU_CYCLE_1) | instskip(NEXT) | instid1(VALU_DEP_1)
	s_add_nc_u64 s[70:71], s[18:19], s[64:65]
	v_mov_b32_e32 v19, v18
	s_xor_b64 s[64:65], s[70:71], s[64:65]
	s_delay_alu instid0(SALU_CYCLE_1)
	s_cvt_f32_u32 s0, s64
	s_cvt_f32_u32 s2, s65
	s_sub_nc_u64 s[72:73], 0, s[64:65]
	v_add_nc_u64_e32 v[36:37], v[36:37], v[18:19]
	v_mov_b32_e32 v43, v24
	s_fmamk_f32 s0, s2, 0x4f800000, s0
	s_delay_alu instid0(SALU_CYCLE_3) | instskip(NEXT) | instid1(VALU_DEP_2)
	v_s_rcp_f32 s0, s0
	v_xor_b32_e32 v38, v36, v18
	s_delay_alu instid0(VALU_DEP_3) | instskip(NEXT) | instid1(TRANS32_DEP_1)
	v_dual_mov_b32 v47, v24 :: v_dual_bitop2_b32 v42, v37, v18 bitop3:0x14
	s_mul_f32 s0, s0, 0x5f7ffffc
	s_delay_alu instid0(SALU_CYCLE_3) | instskip(NEXT) | instid1(SALU_CYCLE_3)
	s_mul_f32 s2, s0, 0x2f800000
	s_trunc_f32 s2, s2
	s_delay_alu instid0(SALU_CYCLE_3) | instskip(SKIP_1) | instid1(SALU_CYCLE_2)
	s_fmamk_f32 s0, s2, 0xcf800000, s0
	s_cvt_u32_f32 s71, s2
	s_cvt_u32_f32 s70, s0
	s_delay_alu instid0(SALU_CYCLE_3) | instskip(NEXT) | instid1(SALU_CYCLE_1)
	s_mul_u64 s[74:75], s[72:73], s[70:71]
	s_mul_hi_u32 s77, s70, s75
	s_mul_i32 s76, s70, s75
	s_mul_hi_u32 s2, s70, s74
	s_mul_i32 s63, s71, s74
	s_add_nc_u64 s[76:77], s[2:3], s[76:77]
	s_mul_hi_u32 s0, s71, s74
	s_mul_hi_u32 s78, s71, s75
	s_add_co_u32 s2, s76, s63
	s_add_co_ci_u32 s2, s77, s0
	s_mul_i32 s74, s71, s75
	s_add_co_ci_u32 s75, s78, 0
	s_delay_alu instid0(SALU_CYCLE_1) | instskip(NEXT) | instid1(SALU_CYCLE_1)
	s_add_nc_u64 s[74:75], s[2:3], s[74:75]
	s_add_co_u32 s70, s70, s74
	s_cselect_b32 s0, -1, 0
	s_delay_alu instid0(SALU_CYCLE_1) | instskip(SKIP_1) | instid1(SALU_CYCLE_1)
	s_cmp_lg_u32 s0, 0
	s_add_co_ci_u32 s71, s71, s75
	s_mul_u64 s[72:73], s[72:73], s[70:71]
	s_delay_alu instid0(SALU_CYCLE_1)
	s_mul_hi_u32 s75, s70, s73
	s_mul_i32 s74, s70, s73
	s_mul_hi_u32 s2, s70, s72
	s_mul_i32 s63, s71, s72
	s_add_nc_u64 s[74:75], s[2:3], s[74:75]
	s_mul_hi_u32 s0, s71, s72
	s_mul_hi_u32 s76, s71, s73
	s_add_co_u32 s2, s74, s63
	s_add_co_ci_u32 s2, s75, s0
	s_mul_i32 s72, s71, s73
	s_add_co_ci_u32 s73, s76, 0
	s_delay_alu instid0(SALU_CYCLE_1) | instskip(NEXT) | instid1(SALU_CYCLE_1)
	s_add_nc_u64 s[72:73], s[2:3], s[72:73]
	s_add_co_u32 s0, s70, s72
	s_cselect_b32 s2, -1, 0
	v_mul_hi_u32 v46, v38, s0
	s_cmp_lg_u32 s2, 0
	s_add_co_ci_u32 s2, s71, s73
	s_and_b64 s[70:71], s[0:1], s[60:61]
	v_mul_u64_e32 v[40:41], s[2:3], v[38:39]
	v_mul_u64_e32 v[36:37], s[70:71], v[42:43]
	;; [unrolled: 1-line block ×3, first 2 shown]
	s_delay_alu instid0(VALU_DEP_3) | instskip(NEXT) | instid1(VALU_DEP_1)
	v_add_nc_u64_e32 v[40:41], v[46:47], v[40:41]
	v_add_co_u32 v25, vcc_lo, v40, v36
	s_delay_alu instid0(VALU_DEP_2) | instskip(NEXT) | instid1(VALU_DEP_4)
	v_add_co_ci_u32_e32 v46, vcc_lo, v41, v37, vcc_lo
	v_add_co_ci_u32_e32 v45, vcc_lo, 0, v45, vcc_lo
	s_delay_alu instid0(VALU_DEP_1) | instskip(NEXT) | instid1(VALU_DEP_1)
	v_add_nc_u64_e32 v[36:37], v[46:47], v[44:45]
	v_mul_u64_e32 v[36:37], s[64:65], v[36:37]
	s_delay_alu instid0(VALU_DEP_1) | instskip(NEXT) | instid1(VALU_DEP_2)
	v_sub_nc_u32_e32 v25, v42, v37
	v_sub_co_u32 v36, vcc_lo, v38, v36
	s_delay_alu instid0(VALU_DEP_1) | instskip(NEXT) | instid1(VALU_DEP_3)
	v_sub_co_ci_u32_e64 v37, null, v42, v37, vcc_lo
	v_subrev_co_ci_u32_e64 v25, null, s65, v25, vcc_lo
	s_delay_alu instid0(VALU_DEP_3) | instskip(SKIP_1) | instid1(VALU_DEP_3)
	v_sub_co_u32 v38, vcc_lo, v36, s64
	v_cmp_le_u32_e64 s0, s64, v36
	v_subrev_co_ci_u32_e64 v39, null, 0, v25, vcc_lo
	v_subrev_co_ci_u32_e64 v25, null, s65, v25, vcc_lo
	s_delay_alu instid0(VALU_DEP_3) | instskip(SKIP_2) | instid1(VALU_DEP_2)
	v_cndmask_b32_e64 v40, 0, -1, s0
	v_cmp_le_u32_e64 s0, s64, v38
	v_cmp_le_u32_e32 vcc_lo, s65, v37
	v_cndmask_b32_e64 v41, 0, -1, s0
	v_cmp_le_u32_e64 s0, s65, v39
	v_cndmask_b32_e64 v43, 0, -1, vcc_lo
	v_cmp_eq_u32_e32 vcc_lo, s65, v39
	s_delay_alu instid0(VALU_DEP_3) | instskip(SKIP_1) | instid1(VALU_DEP_1)
	v_cndmask_b32_e64 v42, 0, -1, s0
	v_cmp_eq_u32_e64 s0, s65, v37
	v_dual_cndmask_b32 v41, v42, v41, vcc_lo :: v_dual_cndmask_b32 v40, v43, v40, s0
	v_sub_co_u32 v42, vcc_lo, v38, s64
	s_delay_alu instid0(VALU_DEP_1) | instskip(NEXT) | instid1(VALU_DEP_3)
	v_subrev_co_ci_u32_e64 v25, null, 0, v25, vcc_lo
	v_cmp_ne_u32_e32 vcc_lo, 0, v41
	s_delay_alu instid0(VALU_DEP_2) | instskip(SKIP_1) | instid1(VALU_DEP_2)
	v_dual_cndmask_b32 v25, v39, v25 :: v_dual_cndmask_b32 v38, v38, v42
	v_cmp_ne_u32_e32 vcc_lo, 0, v40
	v_dual_cndmask_b32 v25, v37, v25 :: v_dual_cndmask_b32 v36, v36, v38
	s_delay_alu instid0(VALU_DEP_1) | instskip(NEXT) | instid1(VALU_DEP_2)
	v_xor_b32_e32 v37, v25, v18
	v_xor_b32_e32 v36, v36, v18
	s_delay_alu instid0(VALU_DEP_1)
	v_sub_nc_u64_e32 v[18:19], v[36:37], v[18:19]
                                        ; implicit-def: $vgpr36_vgpr37
.LBB26_48:                              ;   in Loop: Header=BB26_11 Depth=1
	s_and_not1_saveexec_b32 s0, s1
	s_cbranch_execz .LBB26_9
; %bb.49:                               ;   in Loop: Header=BB26_11 Depth=1
	v_cvt_f32_u32_e32 v18, s18
	s_sub_co_i32 s1, 0, s18
	s_delay_alu instid0(VALU_DEP_1) | instskip(SKIP_1) | instid1(TRANS32_DEP_1)
	v_rcp_iflag_f32_e32 v18, v18
	v_nop
	v_mul_f32_e32 v18, 0x4f7ffffe, v18
	s_delay_alu instid0(VALU_DEP_1) | instskip(NEXT) | instid1(VALU_DEP_1)
	v_cvt_u32_f32_e32 v18, v18
	v_mul_lo_u32 v19, s1, v18
	s_delay_alu instid0(VALU_DEP_1) | instskip(NEXT) | instid1(VALU_DEP_1)
	v_mul_hi_u32 v19, v18, v19
	v_add_nc_u32_e32 v18, v18, v19
	s_delay_alu instid0(VALU_DEP_1) | instskip(NEXT) | instid1(VALU_DEP_1)
	v_mul_hi_u32 v18, v36, v18
	v_mul_lo_u32 v18, v18, s18
	s_delay_alu instid0(VALU_DEP_1) | instskip(NEXT) | instid1(VALU_DEP_1)
	v_sub_nc_u32_e32 v18, v36, v18
	v_subrev_nc_u32_e32 v19, s18, v18
	v_cmp_le_u32_e32 vcc_lo, s18, v18
	s_delay_alu instid0(VALU_DEP_2) | instskip(NEXT) | instid1(VALU_DEP_1)
	v_cndmask_b32_e32 v18, v18, v19, vcc_lo
	v_subrev_nc_u32_e32 v19, s18, v18
	v_cmp_le_u32_e32 vcc_lo, s18, v18
	s_delay_alu instid0(VALU_DEP_2)
	v_dual_cndmask_b32 v18, v18, v19 :: v_dual_mov_b32 v19, v24
	s_branch .LBB26_9
.LBB26_50:
	s_or_b32 exec_lo, exec_lo, s69
	v_mad_nc_u64_u32 v[2:3], v22, s16, v[2:3]
	v_cmp_ne_u64_e32 vcc_lo, v[20:21], v[22:23]
	v_mov_b64_e32 v[4:5], s[20:21]
	s_and_b32 s0, vcc_lo, exec_lo
	s_delay_alu instid0(VALU_DEP_3) | instskip(NEXT) | instid1(VALU_DEP_1)
	v_mad_u32 v0, v23, s16, v3
	v_mad_u32 v3, v22, s17, v0
	s_and_not1_saveexec_b32 s1, s66
	s_cbranch_execz .LBB26_7
.LBB26_51:
	v_mov_b64_e32 v[4:5], s[20:21]
	s_or_b32 s0, s0, exec_lo
	s_or_b32 exec_lo, exec_lo, s1
	s_delay_alu instid0(SALU_CYCLE_1)
	s_and_b32 exec_lo, exec_lo, s0
	s_cbranch_execz .LBB26_64
.LBB26_52:
	v_cvt_f32_u32_e32 v0, s12
	s_sub_co_i32 s0, 0, s12
	s_sub_nc_u64 s[2:3], 0, s[10:11]
	s_mov_b32 s1, 0
	s_ashr_i32 s10, s13, 31
	v_rcp_iflag_f32_e32 v0, v0
	s_mov_b64 s[20:21], 0xffffffff
	s_ashr_i32 s22, s19, 31
	s_sub_co_i32 s26, 0, s18
	s_mov_b32 s27, 0
	v_nop
	s_delay_alu instid0(TRANS32_DEP_1) | instskip(NEXT) | instid1(VALU_DEP_1)
	v_mul_f32_e32 v0, 0x4f7ffffe, v0
	v_cvt_u32_f32_e32 v1, v0
	s_delay_alu instid0(VALU_DEP_1) | instskip(NEXT) | instid1(VALU_DEP_1)
	v_mul_lo_u32 v0, s0, v1
	v_mul_hi_u32 v6, v1, v0
	s_delay_alu instid0(VALU_DEP_1)
	v_dual_mov_b32 v0, 0 :: v_dual_add_nc_u32 v12, v1, v6
	s_branch .LBB26_55
.LBB26_53:                              ;   in Loop: Header=BB26_55 Depth=1
	s_or_b32 exec_lo, exec_lo, s0
	s_delay_alu instid0(VALU_DEP_1) | instskip(NEXT) | instid1(VALU_DEP_1)
	v_ashrrev_i32_e32 v1, 31, v11
	v_and_b32_e32 v9, s19, v1
	v_and_b32_e32 v8, s18, v1
	s_delay_alu instid0(VALU_DEP_1) | instskip(NEXT) | instid1(VALU_DEP_1)
	v_add_nc_u64_e32 v[8:9], v[8:9], v[10:11]
	v_sub_nc_u64_e32 v[10:11], s[18:19], v[8:9]
	v_cmp_gt_i64_e32 vcc_lo, s[8:9], v[8:9]
	s_delay_alu instid0(VALU_DEP_2)
	v_dual_cndmask_b32 v9, v11, v9 :: v_dual_cndmask_b32 v8, v10, v8
.LBB26_54:                              ;   in Loop: Header=BB26_55 Depth=1
	v_mad_nc_u64_u32 v[10:11], v6, s8, s[4:5]
	s_delay_alu instid0(VALU_DEP_1) | instskip(NEXT) | instid1(VALU_DEP_1)
	v_mad_u32 v1, v7, s8, v11
	v_mad_u32 v11, v6, s9, v1
	s_delay_alu instid0(VALU_DEP_1) | instskip(SKIP_4) | instid1(VALU_DEP_1)
	v_add_nc_u64_e32 v[6:7], v[10:11], v[8:9]
	global_load_u8 v1, v[6:7], off
	s_wait_xcnt 0x0
	v_add_nc_u64_e32 v[6:7], s[6:7], v[2:3]
	v_add_nc_u64_e32 v[2:3], s[16:17], v[2:3]
	v_cmp_le_i64_e32 vcc_lo, s[14:15], v[2:3]
	s_or_b32 s27, vcc_lo, s27
	s_wait_loadcnt 0x0
	global_store_b8 v[6:7], v1, off
	s_wait_xcnt 0x0
	s_and_not1_b32 exec_lo, exec_lo, s27
	s_cbranch_execz .LBB26_64
.LBB26_55:                              ; =>This Inner Loop Header: Depth=1
	v_or_b32_e32 v1, s13, v3
                                        ; implicit-def: $vgpr6_vgpr7
	s_mov_b32 s0, exec_lo
	s_delay_alu instid0(VALU_DEP_1)
	v_cmpx_ne_u64_e32 0, v[0:1]
	s_xor_b32 s23, exec_lo, s0
	s_cbranch_execnz .LBB26_58
; %bb.56:                               ;   in Loop: Header=BB26_55 Depth=1
	s_and_not1_saveexec_b32 s0, s23
	s_cbranch_execnz .LBB26_59
.LBB26_57:                              ;   in Loop: Header=BB26_55 Depth=1
	s_or_b32 exec_lo, exec_lo, s0
	v_mov_b64_e32 v[8:9], 0
	s_and_not1_b32 vcc_lo, exec_lo, s33
	s_cbranch_vccnz .LBB26_54
	s_branch .LBB26_60
.LBB26_58:                              ;   in Loop: Header=BB26_55 Depth=1
	s_mov_b32 s11, s10
	v_dual_mov_b32 v11, v0 :: v_dual_ashrrev_i32 v6, 31, v3
	s_add_nc_u64 s[24:25], s[12:13], s[10:11]
	v_mov_b32_e32 v21, v0
	s_xor_b64 s[24:25], s[24:25], s[10:11]
	s_delay_alu instid0(VALU_DEP_2) | instskip(SKIP_3) | instid1(VALU_DEP_1)
	v_mov_b32_e32 v7, v6
	s_cvt_f32_u32 s0, s24
	s_cvt_f32_u32 s11, s25
	s_sub_nc_u64 s[30:31], 0, s[24:25]
	v_add_nc_u64_e32 v[8:9], v[2:3], v[6:7]
	s_delay_alu instid0(SALU_CYCLE_1) | instskip(SKIP_1) | instid1(SALU_CYCLE_2)
	s_fmamk_f32 s0, s11, 0x4f800000, s0
	v_mov_b32_e32 v17, v0
	v_s_rcp_f32 s0, s0
	s_delay_alu instid0(VALU_DEP_2) | instskip(NEXT) | instid1(VALU_DEP_3)
	v_xor_b32_e32 v10, v8, v6
	v_xor_b32_e32 v16, v9, v6
	v_xor_b32_e32 v6, s10, v6
	s_delay_alu instid0(TRANS32_DEP_1) | instskip(NEXT) | instid1(SALU_CYCLE_3)
	s_mul_f32 s0, s0, 0x5f7ffffc
	s_mul_f32 s11, s0, 0x2f800000
	s_delay_alu instid0(SALU_CYCLE_3) | instskip(NEXT) | instid1(SALU_CYCLE_3)
	s_trunc_f32 s11, s11
	s_fmamk_f32 s0, s11, 0xcf800000, s0
	s_cvt_u32_f32 s29, s11
	s_delay_alu instid0(SALU_CYCLE_2) | instskip(NEXT) | instid1(SALU_CYCLE_3)
	s_cvt_u32_f32 s28, s0
	s_mul_u64 s[34:35], s[30:31], s[28:29]
	s_delay_alu instid0(SALU_CYCLE_1)
	s_mul_hi_u32 s37, s28, s35
	s_mul_i32 s36, s28, s35
	s_mul_hi_u32 s0, s28, s34
	s_mul_i32 s38, s29, s34
	s_add_nc_u64 s[36:37], s[0:1], s[36:37]
	s_mul_hi_u32 s11, s29, s34
	s_mul_hi_u32 s39, s29, s35
	s_add_co_u32 s0, s36, s38
	s_add_co_ci_u32 s0, s37, s11
	s_mul_i32 s34, s29, s35
	s_add_co_ci_u32 s35, s39, 0
	s_delay_alu instid0(SALU_CYCLE_1) | instskip(NEXT) | instid1(SALU_CYCLE_1)
	s_add_nc_u64 s[34:35], s[0:1], s[34:35]
	s_add_co_u32 s28, s28, s34
	s_cselect_b32 s0, -1, 0
	s_delay_alu instid0(SALU_CYCLE_1) | instskip(SKIP_1) | instid1(SALU_CYCLE_1)
	s_cmp_lg_u32 s0, 0
	s_add_co_ci_u32 s29, s29, s35
	s_mul_u64 s[30:31], s[30:31], s[28:29]
	s_delay_alu instid0(SALU_CYCLE_1)
	s_mul_hi_u32 s35, s28, s31
	s_mul_i32 s34, s28, s31
	s_mul_hi_u32 s0, s28, s30
	s_mul_i32 s36, s29, s30
	s_add_nc_u64 s[34:35], s[0:1], s[34:35]
	s_mul_hi_u32 s11, s29, s30
	s_mul_hi_u32 s37, s29, s31
	s_add_co_u32 s0, s34, s36
	s_add_co_ci_u32 s0, s35, s11
	s_mul_i32 s30, s29, s31
	s_add_co_ci_u32 s31, s37, 0
	s_delay_alu instid0(SALU_CYCLE_1) | instskip(NEXT) | instid1(SALU_CYCLE_1)
	s_add_nc_u64 s[30:31], s[0:1], s[30:31]
	s_add_co_u32 s28, s28, s30
	s_cselect_b32 s0, -1, 0
	v_mul_hi_u32 v20, v10, s28
	s_cmp_lg_u32 s0, 0
	s_add_co_ci_u32 s0, s29, s31
	s_and_b64 s[30:31], s[28:29], s[20:21]
	v_mul_u64_e32 v[14:15], s[0:1], v[10:11]
	v_mul_u64_e32 v[8:9], s[30:31], v[16:17]
	;; [unrolled: 1-line block ×3, first 2 shown]
	s_delay_alu instid0(VALU_DEP_3) | instskip(NEXT) | instid1(VALU_DEP_1)
	v_add_nc_u64_e32 v[14:15], v[20:21], v[14:15]
	v_add_co_u32 v1, vcc_lo, v14, v8
	s_delay_alu instid0(VALU_DEP_2) | instskip(NEXT) | instid1(VALU_DEP_4)
	v_add_co_ci_u32_e32 v20, vcc_lo, v15, v9, vcc_lo
	v_add_co_ci_u32_e32 v19, vcc_lo, 0, v19, vcc_lo
	s_delay_alu instid0(VALU_DEP_1) | instskip(NEXT) | instid1(VALU_DEP_1)
	v_add_nc_u64_e32 v[8:9], v[20:21], v[18:19]
	v_mul_u64_e32 v[14:15], s[24:25], v[8:9]
	s_delay_alu instid0(VALU_DEP_1) | instskip(NEXT) | instid1(VALU_DEP_2)
	v_sub_nc_u32_e32 v1, v16, v15
	v_sub_co_u32 v7, vcc_lo, v10, v14
	s_delay_alu instid0(VALU_DEP_1) | instskip(NEXT) | instid1(VALU_DEP_3)
	v_sub_co_ci_u32_e64 v13, null, v16, v15, vcc_lo
	v_subrev_co_ci_u32_e64 v1, null, s25, v1, vcc_lo
	s_delay_alu instid0(VALU_DEP_3) | instskip(SKIP_1) | instid1(VALU_DEP_3)
	v_sub_co_u32 v10, s0, v7, s24
	v_add_nc_u64_e32 v[14:15], 1, v[8:9]
	v_subrev_co_ci_u32_e64 v1, null, 0, v1, s0
	s_delay_alu instid0(VALU_DEP_3) | instskip(SKIP_1) | instid1(VALU_DEP_3)
	v_cmp_le_u32_e32 vcc_lo, s24, v10
	v_cndmask_b32_e64 v10, 0, -1, vcc_lo
	v_cmp_le_u32_e32 vcc_lo, s25, v1
	v_cndmask_b32_e64 v11, 0, -1, vcc_lo
	;; [unrolled: 2-line block ×4, first 2 shown]
	v_cmp_eq_u32_e32 vcc_lo, s25, v1
	v_cndmask_b32_e32 v1, v11, v10, vcc_lo
	v_cmp_eq_u32_e32 vcc_lo, s25, v13
	v_add_nc_u64_e32 v[10:11], 2, v[8:9]
	v_cndmask_b32_e32 v7, v16, v7, vcc_lo
	s_delay_alu instid0(VALU_DEP_4) | instskip(NEXT) | instid1(VALU_DEP_2)
	v_cmp_ne_u32_e32 vcc_lo, 0, v1
	v_cmp_ne_u32_e64 s0, 0, v7
	s_delay_alu instid0(VALU_DEP_4) | instskip(NEXT) | instid1(VALU_DEP_1)
	v_dual_cndmask_b32 v1, v15, v11, vcc_lo :: v_dual_cndmask_b32 v7, v14, v10, vcc_lo
	v_dual_cndmask_b32 v8, v8, v7, s0 :: v_dual_mov_b32 v7, v6
	s_delay_alu instid0(VALU_DEP_1) | instskip(NEXT) | instid1(VALU_DEP_1)
	v_dual_cndmask_b32 v1, v9, v1, s0 :: v_dual_bitop2_b32 v8, v8, v6 bitop3:0x14
	v_xor_b32_e32 v9, v1, v6
	s_delay_alu instid0(VALU_DEP_1)
	v_sub_nc_u64_e32 v[6:7], v[8:9], v[6:7]
	s_and_not1_saveexec_b32 s0, s23
	s_cbranch_execz .LBB26_57
.LBB26_59:                              ;   in Loop: Header=BB26_55 Depth=1
	v_mul_hi_u32 v1, v2, v12
	s_delay_alu instid0(VALU_DEP_1) | instskip(NEXT) | instid1(VALU_DEP_1)
	v_mul_lo_u32 v6, v1, s12
	v_dual_add_nc_u32 v7, 1, v1 :: v_dual_sub_nc_u32 v6, v2, v6
	s_delay_alu instid0(VALU_DEP_1) | instskip(SKIP_1) | instid1(VALU_DEP_2)
	v_subrev_nc_u32_e32 v8, s12, v6
	v_cmp_le_u32_e32 vcc_lo, s12, v6
	v_dual_cndmask_b32 v6, v6, v8 :: v_dual_cndmask_b32 v1, v1, v7
	s_delay_alu instid0(VALU_DEP_1) | instskip(NEXT) | instid1(VALU_DEP_2)
	v_cmp_le_u32_e32 vcc_lo, s12, v6
	v_add_nc_u32_e32 v7, 1, v1
	s_delay_alu instid0(VALU_DEP_1)
	v_dual_cndmask_b32 v6, v1, v7 :: v_dual_mov_b32 v7, v0
	s_or_b32 exec_lo, exec_lo, s0
	v_mov_b64_e32 v[8:9], 0
	s_and_not1_b32 vcc_lo, exec_lo, s33
	s_cbranch_vccnz .LBB26_54
.LBB26_60:                              ;   in Loop: Header=BB26_55 Depth=1
	v_add_nc_u64_e32 v[8:9], s[2:3], v[2:3]
                                        ; implicit-def: $vgpr10_vgpr11
	s_mov_b32 s0, exec_lo
	s_delay_alu instid0(VALU_DEP_1) | instskip(NEXT) | instid1(VALU_DEP_1)
	v_mad_nc_u64_u32 v[8:9], v4, v6, v[8:9]
	v_mad_u32 v1, v5, v6, v9
	s_delay_alu instid0(VALU_DEP_1) | instskip(NEXT) | instid1(VALU_DEP_1)
	v_mad_u32 v9, v4, v7, v1
	v_or_b32_e32 v1, s19, v9
	s_delay_alu instid0(VALU_DEP_1)
	v_cmpx_ne_u64_e32 0, v[0:1]
	s_xor_b32 s11, exec_lo, s0
	s_cbranch_execz .LBB26_62
; %bb.61:                               ;   in Loop: Header=BB26_55 Depth=1
	s_mov_b32 s23, s22
	v_dual_mov_b32 v15, v0 :: v_dual_ashrrev_i32 v10, 31, v9
	s_add_nc_u64 s[24:25], s[18:19], s[22:23]
	s_delay_alu instid0(SALU_CYCLE_1) | instskip(NEXT) | instid1(VALU_DEP_1)
	s_xor_b64 s[24:25], s[24:25], s[22:23]
	v_mov_b32_e32 v11, v10
	s_cvt_f32_u32 s0, s24
	s_cvt_f32_u32 s23, s25
	s_sub_nc_u64 s[30:31], 0, s[24:25]
	s_delay_alu instid0(VALU_DEP_1) | instskip(NEXT) | instid1(SALU_CYCLE_1)
	v_add_nc_u64_e32 v[8:9], v[8:9], v[10:11]
	s_fmamk_f32 s0, s23, 0x4f800000, s0
	v_mov_b32_e32 v19, v0
	s_delay_alu instid0(SALU_CYCLE_2) | instskip(NEXT) | instid1(VALU_DEP_2)
	v_s_rcp_f32 s0, s0
	v_xor_b32_e32 v14, v8, v10
	s_delay_alu instid0(VALU_DEP_3) | instskip(NEXT) | instid1(TRANS32_DEP_1)
	v_dual_mov_b32 v23, v0 :: v_dual_bitop2_b32 v18, v9, v10 bitop3:0x14
	s_mul_f32 s0, s0, 0x5f7ffffc
	s_delay_alu instid0(SALU_CYCLE_3) | instskip(NEXT) | instid1(SALU_CYCLE_3)
	s_mul_f32 s23, s0, 0x2f800000
	s_trunc_f32 s23, s23
	s_delay_alu instid0(SALU_CYCLE_3) | instskip(SKIP_1) | instid1(SALU_CYCLE_2)
	s_fmamk_f32 s0, s23, 0xcf800000, s0
	s_cvt_u32_f32 s29, s23
	s_cvt_u32_f32 s28, s0
	s_delay_alu instid0(SALU_CYCLE_3) | instskip(NEXT) | instid1(SALU_CYCLE_1)
	s_mul_u64 s[34:35], s[30:31], s[28:29]
	s_mul_hi_u32 s37, s28, s35
	s_mul_i32 s36, s28, s35
	s_mul_hi_u32 s0, s28, s34
	s_mul_i32 s38, s29, s34
	s_add_nc_u64 s[36:37], s[0:1], s[36:37]
	s_mul_hi_u32 s23, s29, s34
	s_mul_hi_u32 s39, s29, s35
	s_add_co_u32 s0, s36, s38
	s_add_co_ci_u32 s0, s37, s23
	s_mul_i32 s34, s29, s35
	s_add_co_ci_u32 s35, s39, 0
	s_delay_alu instid0(SALU_CYCLE_1) | instskip(NEXT) | instid1(SALU_CYCLE_1)
	s_add_nc_u64 s[34:35], s[0:1], s[34:35]
	s_add_co_u32 s28, s28, s34
	s_cselect_b32 s0, -1, 0
	s_delay_alu instid0(SALU_CYCLE_1) | instskip(SKIP_1) | instid1(SALU_CYCLE_1)
	s_cmp_lg_u32 s0, 0
	s_add_co_ci_u32 s29, s29, s35
	s_mul_u64 s[30:31], s[30:31], s[28:29]
	s_delay_alu instid0(SALU_CYCLE_1)
	s_mul_hi_u32 s35, s28, s31
	s_mul_i32 s34, s28, s31
	s_mul_hi_u32 s0, s28, s30
	s_mul_i32 s36, s29, s30
	s_add_nc_u64 s[34:35], s[0:1], s[34:35]
	s_mul_hi_u32 s23, s29, s30
	s_mul_hi_u32 s37, s29, s31
	s_add_co_u32 s0, s34, s36
	s_add_co_ci_u32 s0, s35, s23
	s_mul_i32 s30, s29, s31
	s_add_co_ci_u32 s31, s37, 0
	s_delay_alu instid0(SALU_CYCLE_1) | instskip(NEXT) | instid1(SALU_CYCLE_1)
	s_add_nc_u64 s[30:31], s[0:1], s[30:31]
	s_add_co_u32 s28, s28, s30
	s_cselect_b32 s0, -1, 0
	v_mul_hi_u32 v22, v14, s28
	s_cmp_lg_u32 s0, 0
	s_add_co_ci_u32 s0, s29, s31
	s_and_b64 s[30:31], s[28:29], s[20:21]
	v_mul_u64_e32 v[16:17], s[0:1], v[14:15]
	v_mul_u64_e32 v[8:9], s[30:31], v[18:19]
	;; [unrolled: 1-line block ×3, first 2 shown]
	s_delay_alu instid0(VALU_DEP_3) | instskip(NEXT) | instid1(VALU_DEP_1)
	v_add_nc_u64_e32 v[16:17], v[22:23], v[16:17]
	v_add_co_u32 v1, vcc_lo, v16, v8
	s_delay_alu instid0(VALU_DEP_2) | instskip(NEXT) | instid1(VALU_DEP_4)
	v_add_co_ci_u32_e32 v22, vcc_lo, v17, v9, vcc_lo
	v_add_co_ci_u32_e32 v21, vcc_lo, 0, v21, vcc_lo
	s_delay_alu instid0(VALU_DEP_1) | instskip(NEXT) | instid1(VALU_DEP_1)
	v_add_nc_u64_e32 v[8:9], v[22:23], v[20:21]
	v_mul_u64_e32 v[8:9], s[24:25], v[8:9]
	s_delay_alu instid0(VALU_DEP_1) | instskip(NEXT) | instid1(VALU_DEP_2)
	v_sub_nc_u32_e32 v1, v18, v9
	v_sub_co_u32 v8, vcc_lo, v14, v8
	s_delay_alu instid0(VALU_DEP_1) | instskip(NEXT) | instid1(VALU_DEP_3)
	v_sub_co_ci_u32_e64 v9, null, v18, v9, vcc_lo
	v_subrev_co_ci_u32_e64 v1, null, s25, v1, vcc_lo
	s_delay_alu instid0(VALU_DEP_3) | instskip(SKIP_1) | instid1(VALU_DEP_3)
	v_sub_co_u32 v13, vcc_lo, v8, s24
	v_cmp_le_u32_e64 s0, s24, v8
	v_subrev_co_ci_u32_e64 v14, null, 0, v1, vcc_lo
	v_subrev_co_ci_u32_e64 v1, null, s25, v1, vcc_lo
	s_delay_alu instid0(VALU_DEP_3) | instskip(SKIP_2) | instid1(VALU_DEP_2)
	v_cndmask_b32_e64 v15, 0, -1, s0
	v_cmp_le_u32_e64 s0, s24, v13
	v_cmp_le_u32_e32 vcc_lo, s25, v9
	v_cndmask_b32_e64 v16, 0, -1, s0
	v_cmp_le_u32_e64 s0, s25, v14
	v_cndmask_b32_e64 v18, 0, -1, vcc_lo
	v_cmp_eq_u32_e32 vcc_lo, s25, v14
	s_delay_alu instid0(VALU_DEP_3) | instskip(SKIP_1) | instid1(VALU_DEP_1)
	v_cndmask_b32_e64 v17, 0, -1, s0
	v_cmp_eq_u32_e64 s0, s25, v9
	v_dual_cndmask_b32 v16, v17, v16, vcc_lo :: v_dual_cndmask_b32 v15, v18, v15, s0
	v_sub_co_u32 v17, vcc_lo, v13, s24
	s_delay_alu instid0(VALU_DEP_1) | instskip(NEXT) | instid1(VALU_DEP_3)
	v_subrev_co_ci_u32_e64 v1, null, 0, v1, vcc_lo
	v_cmp_ne_u32_e32 vcc_lo, 0, v16
	s_delay_alu instid0(VALU_DEP_2) | instskip(NEXT) | instid1(VALU_DEP_4)
	v_cndmask_b32_e32 v1, v14, v1, vcc_lo
	v_cndmask_b32_e32 v13, v13, v17, vcc_lo
	v_cmp_ne_u32_e32 vcc_lo, 0, v15
	s_delay_alu instid0(VALU_DEP_2) | instskip(NEXT) | instid1(VALU_DEP_1)
	v_cndmask_b32_e32 v8, v8, v13, vcc_lo
	v_dual_cndmask_b32 v1, v9, v1, vcc_lo :: v_dual_bitop2_b32 v8, v8, v10 bitop3:0x14
	s_delay_alu instid0(VALU_DEP_1) | instskip(NEXT) | instid1(VALU_DEP_1)
	v_xor_b32_e32 v9, v1, v10
	v_sub_nc_u64_e32 v[10:11], v[8:9], v[10:11]
                                        ; implicit-def: $vgpr8_vgpr9
.LBB26_62:                              ;   in Loop: Header=BB26_55 Depth=1
	s_and_not1_saveexec_b32 s0, s11
	s_cbranch_execz .LBB26_53
; %bb.63:                               ;   in Loop: Header=BB26_55 Depth=1
	v_cvt_f32_u32_e32 v1, s18
	v_mov_b32_e32 v11, v0
	s_delay_alu instid0(VALU_DEP_2) | instskip(SKIP_1) | instid1(TRANS32_DEP_1)
	v_rcp_iflag_f32_e32 v1, v1
	v_nop
	v_mul_f32_e32 v1, 0x4f7ffffe, v1
	s_delay_alu instid0(VALU_DEP_1) | instskip(NEXT) | instid1(VALU_DEP_1)
	v_cvt_u32_f32_e32 v1, v1
	v_mul_lo_u32 v9, s26, v1
	s_delay_alu instid0(VALU_DEP_1) | instskip(NEXT) | instid1(VALU_DEP_1)
	v_mul_hi_u32 v9, v1, v9
	v_add_nc_u32_e32 v1, v1, v9
	s_delay_alu instid0(VALU_DEP_1) | instskip(NEXT) | instid1(VALU_DEP_1)
	v_mul_hi_u32 v1, v8, v1
	v_mul_lo_u32 v1, v1, s18
	s_delay_alu instid0(VALU_DEP_1) | instskip(NEXT) | instid1(VALU_DEP_1)
	v_sub_nc_u32_e32 v1, v8, v1
	v_subrev_nc_u32_e32 v8, s18, v1
	v_cmp_le_u32_e32 vcc_lo, s18, v1
	s_delay_alu instid0(VALU_DEP_2) | instskip(NEXT) | instid1(VALU_DEP_1)
	v_cndmask_b32_e32 v1, v1, v8, vcc_lo
	v_subrev_nc_u32_e32 v8, s18, v1
	v_cmp_le_u32_e32 vcc_lo, s18, v1
	s_delay_alu instid0(VALU_DEP_2)
	v_cndmask_b32_e32 v10, v1, v8, vcc_lo
	s_branch .LBB26_53
.LBB26_64:
	s_endpgm
	.section	.rodata,"a",@progbits
	.p2align	6, 0x0
	.amdhsa_kernel _ZN2at6native12_GLOBAL__N_121reflection_pad1d_flatIaEEvPKT_PS3_lllll
		.amdhsa_group_segment_fixed_size 0
		.amdhsa_private_segment_fixed_size 0
		.amdhsa_kernarg_size 312
		.amdhsa_user_sgpr_count 2
		.amdhsa_user_sgpr_dispatch_ptr 0
		.amdhsa_user_sgpr_queue_ptr 0
		.amdhsa_user_sgpr_kernarg_segment_ptr 1
		.amdhsa_user_sgpr_dispatch_id 0
		.amdhsa_user_sgpr_kernarg_preload_length 0
		.amdhsa_user_sgpr_kernarg_preload_offset 0
		.amdhsa_user_sgpr_private_segment_size 0
		.amdhsa_wavefront_size32 1
		.amdhsa_uses_dynamic_stack 0
		.amdhsa_enable_private_segment 0
		.amdhsa_system_sgpr_workgroup_id_x 1
		.amdhsa_system_sgpr_workgroup_id_y 0
		.amdhsa_system_sgpr_workgroup_id_z 0
		.amdhsa_system_sgpr_workgroup_info 0
		.amdhsa_system_vgpr_workitem_id 0
		.amdhsa_next_free_vgpr 52
		.amdhsa_next_free_sgpr 79
		.amdhsa_named_barrier_count 0
		.amdhsa_reserve_vcc 1
		.amdhsa_float_round_mode_32 0
		.amdhsa_float_round_mode_16_64 0
		.amdhsa_float_denorm_mode_32 3
		.amdhsa_float_denorm_mode_16_64 3
		.amdhsa_fp16_overflow 0
		.amdhsa_memory_ordered 1
		.amdhsa_forward_progress 1
		.amdhsa_inst_pref_size 77
		.amdhsa_round_robin_scheduling 0
		.amdhsa_exception_fp_ieee_invalid_op 0
		.amdhsa_exception_fp_denorm_src 0
		.amdhsa_exception_fp_ieee_div_zero 0
		.amdhsa_exception_fp_ieee_overflow 0
		.amdhsa_exception_fp_ieee_underflow 0
		.amdhsa_exception_fp_ieee_inexact 0
		.amdhsa_exception_int_div_zero 0
	.end_amdhsa_kernel
	.section	.text._ZN2at6native12_GLOBAL__N_121reflection_pad1d_flatIaEEvPKT_PS3_lllll,"axG",@progbits,_ZN2at6native12_GLOBAL__N_121reflection_pad1d_flatIaEEvPKT_PS3_lllll,comdat
.Lfunc_end26:
	.size	_ZN2at6native12_GLOBAL__N_121reflection_pad1d_flatIaEEvPKT_PS3_lllll, .Lfunc_end26-_ZN2at6native12_GLOBAL__N_121reflection_pad1d_flatIaEEvPKT_PS3_lllll
                                        ; -- End function
	.set _ZN2at6native12_GLOBAL__N_121reflection_pad1d_flatIaEEvPKT_PS3_lllll.num_vgpr, 52
	.set _ZN2at6native12_GLOBAL__N_121reflection_pad1d_flatIaEEvPKT_PS3_lllll.num_agpr, 0
	.set _ZN2at6native12_GLOBAL__N_121reflection_pad1d_flatIaEEvPKT_PS3_lllll.numbered_sgpr, 79
	.set _ZN2at6native12_GLOBAL__N_121reflection_pad1d_flatIaEEvPKT_PS3_lllll.num_named_barrier, 0
	.set _ZN2at6native12_GLOBAL__N_121reflection_pad1d_flatIaEEvPKT_PS3_lllll.private_seg_size, 0
	.set _ZN2at6native12_GLOBAL__N_121reflection_pad1d_flatIaEEvPKT_PS3_lllll.uses_vcc, 1
	.set _ZN2at6native12_GLOBAL__N_121reflection_pad1d_flatIaEEvPKT_PS3_lllll.uses_flat_scratch, 0
	.set _ZN2at6native12_GLOBAL__N_121reflection_pad1d_flatIaEEvPKT_PS3_lllll.has_dyn_sized_stack, 0
	.set _ZN2at6native12_GLOBAL__N_121reflection_pad1d_flatIaEEvPKT_PS3_lllll.has_recursion, 0
	.set _ZN2at6native12_GLOBAL__N_121reflection_pad1d_flatIaEEvPKT_PS3_lllll.has_indirect_call, 0
	.section	.AMDGPU.csdata,"",@progbits
; Kernel info:
; codeLenInByte = 9740
; TotalNumSgprs: 81
; NumVgprs: 52
; ScratchSize: 0
; MemoryBound: 0
; FloatMode: 240
; IeeeMode: 1
; LDSByteSize: 0 bytes/workgroup (compile time only)
; SGPRBlocks: 0
; VGPRBlocks: 3
; NumSGPRsForWavesPerEU: 81
; NumVGPRsForWavesPerEU: 52
; NamedBarCnt: 0
; Occupancy: 16
; WaveLimiterHint : 0
; COMPUTE_PGM_RSRC2:SCRATCH_EN: 0
; COMPUTE_PGM_RSRC2:USER_SGPR: 2
; COMPUTE_PGM_RSRC2:TRAP_HANDLER: 0
; COMPUTE_PGM_RSRC2:TGID_X_EN: 1
; COMPUTE_PGM_RSRC2:TGID_Y_EN: 0
; COMPUTE_PGM_RSRC2:TGID_Z_EN: 0
; COMPUTE_PGM_RSRC2:TIDIG_COMP_CNT: 0
	.section	.text._ZN2at6native12_GLOBAL__N_127reflection_pad1d_out_kernelIiEEvPKT_PS3_lll,"axG",@progbits,_ZN2at6native12_GLOBAL__N_127reflection_pad1d_out_kernelIiEEvPKT_PS3_lll,comdat
	.globl	_ZN2at6native12_GLOBAL__N_127reflection_pad1d_out_kernelIiEEvPKT_PS3_lll ; -- Begin function _ZN2at6native12_GLOBAL__N_127reflection_pad1d_out_kernelIiEEvPKT_PS3_lll
	.p2align	8
	.type	_ZN2at6native12_GLOBAL__N_127reflection_pad1d_out_kernelIiEEvPKT_PS3_lll,@function
_ZN2at6native12_GLOBAL__N_127reflection_pad1d_out_kernelIiEEvPKT_PS3_lll: ; @_ZN2at6native12_GLOBAL__N_127reflection_pad1d_out_kernelIiEEvPKT_PS3_lll
; %bb.0:
	s_clause 0x2
	s_load_b32 s13, s[0:1], 0x34
	s_load_b64 s[2:3], s[0:1], 0x20
	s_load_b256 s[4:11], s[0:1], 0x0
	s_bfe_u32 s12, ttmp6, 0x4000c
	s_and_b32 s14, ttmp6, 15
	s_add_co_i32 s15, s12, 1
	s_getreg_b32 s12, hwreg(HW_REG_IB_STS2, 6, 4)
	s_mul_i32 s15, ttmp9, s15
	v_mov_b32_e32 v1, 0
	s_add_co_i32 s14, s14, s15
	s_mov_b32 s16, exec_lo
	s_wait_kmcnt 0x0
	s_and_b32 s13, s13, 0xffff
	s_cmp_eq_u32 s12, 0
	s_cselect_b32 s14, ttmp9, s14
	s_delay_alu instid0(SALU_CYCLE_1)
	v_mad_nc_u64_u32 v[0:1], s13, s14, v[0:1]
	s_add_nc_u64 s[14:15], s[10:11], s[8:9]
	s_mov_b32 s13, 0
	s_add_nc_u64 s[2:3], s[14:15], s[2:3]
	s_delay_alu instid0(VALU_DEP_1) | instid1(SALU_CYCLE_1)
	v_cmpx_gt_i64_e64 s[2:3], v[0:1]
	s_cbranch_execz .LBB27_2
; %bb.1:
	v_sub_nc_u64_e64 v[2:3], v[0:1], s[14:15]
	v_max_i64 v[4:5], s[10:11], 0
	s_sub_nc_u64 s[16:17], 0, s[10:11]
	v_sub_nc_u64_e64 v[8:9], v[0:1], s[10:11]
	s_add_nc_u64 s[10:11], s[14:15], s[10:11]
	s_add_nc_u64 s[0:1], s[0:1], 40
	s_lshr_b32 s14, ttmp7, 16
	v_add_nc_u64_e32 v[6:7], 1, v[2:3]
	v_not_b32_e32 v3, v3
	v_not_b32_e32 v2, v2
	v_sub_nc_u64_e32 v[10:11], 0, v[8:9]
	s_load_b32 s0, s[0:1], 0x4
	s_wait_xcnt 0x0
	s_bfe_u32 s1, ttmp6, 0x40010
	s_bfe_u32 s15, ttmp6, 0x40004
	v_max_i64 v[2:3], v[6:7], v[2:3]
	v_max_i64 v[6:7], s[16:17], 0
	s_add_co_i32 s1, s1, 1
	v_max_i64 v[8:9], v[8:9], v[10:11]
	s_bfe_u32 s16, ttmp6, 0x40008
	v_not_b32_e32 v4, v4
	v_not_b32_e32 v5, v5
	s_delay_alu instid0(VALU_DEP_1)
	v_add_nc_u64_e32 v[4:5], s[10:11], v[4:5]
	s_bfe_u32 s11, ttmp6, 0x40014
	s_and_b32 s10, ttmp7, 0xffff
	s_add_co_i32 s11, s11, 1
	s_mul_i32 s1, s10, s1
	s_mul_i32 s11, s14, s11
	s_add_co_i32 s15, s15, s1
	v_add_nc_u64_e32 v[2:3], v[0:1], v[2:3]
	v_add_nc_u64_e32 v[4:5], v[4:5], v[6:7]
	s_add_co_i32 s16, s16, s11
	s_cmp_eq_u32 s12, 0
	s_cselect_b32 s1, s14, s16
	s_wait_kmcnt 0x0
	s_mul_i32 s0, s0, s1
	s_delay_alu instid0(VALU_DEP_1) | instskip(SKIP_1) | instid1(SALU_CYCLE_1)
	v_sub_nc_u64_e32 v[2:3], v[4:5], v[2:3]
	s_cselect_b32 s1, s10, s15
	s_add_co_i32 s12, s0, s1
	s_delay_alu instid0(SALU_CYCLE_1) | instskip(NEXT) | instid1(VALU_DEP_1)
	s_mul_u64 s[0:1], s[8:9], s[12:13]
	v_lshl_add_u64 v[2:3], v[2:3], 2, s[4:5]
	s_delay_alu instid0(VALU_DEP_1) | instskip(NEXT) | instid1(VALU_DEP_1)
	v_lshl_add_u64 v[2:3], v[8:9], 2, v[2:3]
	v_lshl_add_u64 v[2:3], s[0:1], 2, v[2:3]
	s_mul_u64 s[0:1], s[2:3], s[12:13]
	s_delay_alu instid0(SALU_CYCLE_1) | instskip(SKIP_2) | instid1(SALU_CYCLE_1)
	s_lshl_b64 s[0:1], s[0:1], 2
	global_load_b32 v2, v[2:3], off
	s_add_nc_u64 s[0:1], s[6:7], s[0:1]
	v_lshl_add_u64 v[0:1], v[0:1], 2, s[0:1]
	s_wait_loadcnt 0x0
	global_store_b32 v[0:1], v2, off
.LBB27_2:
	s_endpgm
	.section	.rodata,"a",@progbits
	.p2align	6, 0x0
	.amdhsa_kernel _ZN2at6native12_GLOBAL__N_127reflection_pad1d_out_kernelIiEEvPKT_PS3_lll
		.amdhsa_group_segment_fixed_size 0
		.amdhsa_private_segment_fixed_size 0
		.amdhsa_kernarg_size 296
		.amdhsa_user_sgpr_count 2
		.amdhsa_user_sgpr_dispatch_ptr 0
		.amdhsa_user_sgpr_queue_ptr 0
		.amdhsa_user_sgpr_kernarg_segment_ptr 1
		.amdhsa_user_sgpr_dispatch_id 0
		.amdhsa_user_sgpr_kernarg_preload_length 0
		.amdhsa_user_sgpr_kernarg_preload_offset 0
		.amdhsa_user_sgpr_private_segment_size 0
		.amdhsa_wavefront_size32 1
		.amdhsa_uses_dynamic_stack 0
		.amdhsa_enable_private_segment 0
		.amdhsa_system_sgpr_workgroup_id_x 1
		.amdhsa_system_sgpr_workgroup_id_y 1
		.amdhsa_system_sgpr_workgroup_id_z 1
		.amdhsa_system_sgpr_workgroup_info 0
		.amdhsa_system_vgpr_workitem_id 0
		.amdhsa_next_free_vgpr 12
		.amdhsa_next_free_sgpr 18
		.amdhsa_named_barrier_count 0
		.amdhsa_reserve_vcc 0
		.amdhsa_float_round_mode_32 0
		.amdhsa_float_round_mode_16_64 0
		.amdhsa_float_denorm_mode_32 3
		.amdhsa_float_denorm_mode_16_64 3
		.amdhsa_fp16_overflow 0
		.amdhsa_memory_ordered 1
		.amdhsa_forward_progress 1
		.amdhsa_inst_pref_size 4
		.amdhsa_round_robin_scheduling 0
		.amdhsa_exception_fp_ieee_invalid_op 0
		.amdhsa_exception_fp_denorm_src 0
		.amdhsa_exception_fp_ieee_div_zero 0
		.amdhsa_exception_fp_ieee_overflow 0
		.amdhsa_exception_fp_ieee_underflow 0
		.amdhsa_exception_fp_ieee_inexact 0
		.amdhsa_exception_int_div_zero 0
	.end_amdhsa_kernel
	.section	.text._ZN2at6native12_GLOBAL__N_127reflection_pad1d_out_kernelIiEEvPKT_PS3_lll,"axG",@progbits,_ZN2at6native12_GLOBAL__N_127reflection_pad1d_out_kernelIiEEvPKT_PS3_lll,comdat
.Lfunc_end27:
	.size	_ZN2at6native12_GLOBAL__N_127reflection_pad1d_out_kernelIiEEvPKT_PS3_lll, .Lfunc_end27-_ZN2at6native12_GLOBAL__N_127reflection_pad1d_out_kernelIiEEvPKT_PS3_lll
                                        ; -- End function
	.set _ZN2at6native12_GLOBAL__N_127reflection_pad1d_out_kernelIiEEvPKT_PS3_lll.num_vgpr, 12
	.set _ZN2at6native12_GLOBAL__N_127reflection_pad1d_out_kernelIiEEvPKT_PS3_lll.num_agpr, 0
	.set _ZN2at6native12_GLOBAL__N_127reflection_pad1d_out_kernelIiEEvPKT_PS3_lll.numbered_sgpr, 18
	.set _ZN2at6native12_GLOBAL__N_127reflection_pad1d_out_kernelIiEEvPKT_PS3_lll.num_named_barrier, 0
	.set _ZN2at6native12_GLOBAL__N_127reflection_pad1d_out_kernelIiEEvPKT_PS3_lll.private_seg_size, 0
	.set _ZN2at6native12_GLOBAL__N_127reflection_pad1d_out_kernelIiEEvPKT_PS3_lll.uses_vcc, 0
	.set _ZN2at6native12_GLOBAL__N_127reflection_pad1d_out_kernelIiEEvPKT_PS3_lll.uses_flat_scratch, 0
	.set _ZN2at6native12_GLOBAL__N_127reflection_pad1d_out_kernelIiEEvPKT_PS3_lll.has_dyn_sized_stack, 0
	.set _ZN2at6native12_GLOBAL__N_127reflection_pad1d_out_kernelIiEEvPKT_PS3_lll.has_recursion, 0
	.set _ZN2at6native12_GLOBAL__N_127reflection_pad1d_out_kernelIiEEvPKT_PS3_lll.has_indirect_call, 0
	.section	.AMDGPU.csdata,"",@progbits
; Kernel info:
; codeLenInByte = 428
; TotalNumSgprs: 18
; NumVgprs: 12
; ScratchSize: 0
; MemoryBound: 0
; FloatMode: 240
; IeeeMode: 1
; LDSByteSize: 0 bytes/workgroup (compile time only)
; SGPRBlocks: 0
; VGPRBlocks: 0
; NumSGPRsForWavesPerEU: 18
; NumVGPRsForWavesPerEU: 12
; NamedBarCnt: 0
; Occupancy: 16
; WaveLimiterHint : 0
; COMPUTE_PGM_RSRC2:SCRATCH_EN: 0
; COMPUTE_PGM_RSRC2:USER_SGPR: 2
; COMPUTE_PGM_RSRC2:TRAP_HANDLER: 0
; COMPUTE_PGM_RSRC2:TGID_X_EN: 1
; COMPUTE_PGM_RSRC2:TGID_Y_EN: 1
; COMPUTE_PGM_RSRC2:TGID_Z_EN: 1
; COMPUTE_PGM_RSRC2:TIDIG_COMP_CNT: 0
	.section	.text._ZN2at6native12_GLOBAL__N_121reflection_pad1d_flatIiEEvPKT_PS3_lllll,"axG",@progbits,_ZN2at6native12_GLOBAL__N_121reflection_pad1d_flatIiEEvPKT_PS3_lllll,comdat
	.globl	_ZN2at6native12_GLOBAL__N_121reflection_pad1d_flatIiEEvPKT_PS3_lllll ; -- Begin function _ZN2at6native12_GLOBAL__N_121reflection_pad1d_flatIiEEvPKT_PS3_lllll
	.p2align	8
	.type	_ZN2at6native12_GLOBAL__N_121reflection_pad1d_flatIiEEvPKT_PS3_lllll,@function
_ZN2at6native12_GLOBAL__N_121reflection_pad1d_flatIiEEvPKT_PS3_lllll: ; @_ZN2at6native12_GLOBAL__N_121reflection_pad1d_flatIiEEvPKT_PS3_lllll
; %bb.0:
	s_clause 0x1
	s_load_b32 s2, s[0:1], 0x44
	s_load_b128 s[12:15], s[0:1], 0x28
	s_bfe_u32 s4, ttmp6, 0x4000c
	s_and_b32 s5, ttmp6, 15
	s_add_co_i32 s4, s4, 1
	s_getreg_b32 s6, hwreg(HW_REG_IB_STS2, 6, 4)
	s_mul_i32 s4, ttmp9, s4
	s_mov_b32 s3, 0
	s_add_co_i32 s5, s5, s4
	v_mov_b32_e32 v1, 0
	s_wait_kmcnt 0x0
	s_and_b32 s2, s2, 0xffff
	s_cmp_eq_u32 s6, 0
	s_mul_u64 s[14:15], s[14:15], s[12:13]
	s_cselect_b32 s4, ttmp9, s5
	s_mov_b32 s5, s3
	s_mov_b32 s6, exec_lo
	s_mul_u64 s[18:19], s[2:3], s[4:5]
	s_delay_alu instid0(SALU_CYCLE_1) | instskip(NEXT) | instid1(VALU_DEP_1)
	v_add_nc_u64_e32 v[2:3], s[18:19], v[0:1]
	v_cmpx_gt_i64_e64 s[14:15], v[2:3]
	s_cbranch_execz .LBB28_44
; %bb.1:
	s_add_nc_u64 s[6:7], s[0:1], 56
	s_load_b32 s6, s[6:7], 0x0
	s_wait_xcnt 0x0
	s_mov_b32 s7, s3
	s_wait_kmcnt 0x0
	s_add_nc_u64 s[4:5], s[4:5], s[6:7]
	s_mul_u64 s[16:17], s[2:3], s[6:7]
	s_mul_u64 s[20:21], s[4:5], s[2:3]
	v_mov_b32_e32 v5, s3
	v_add_nc_u64_e32 v[6:7], s[20:21], v[0:1]
	s_delay_alu instid0(VALU_DEP_1) | instskip(SKIP_2) | instid1(VALU_DEP_1)
	v_max_i64 v[8:9], s[14:15], v[6:7]
	v_cmp_gt_i64_e32 vcc_lo, s[14:15], v[6:7]
	v_cndmask_b32_e64 v4, 0, 1, vcc_lo
	v_add_nc_u64_e32 v[6:7], v[6:7], v[4:5]
	s_delay_alu instid0(VALU_DEP_1) | instskip(NEXT) | instid1(VALU_DEP_1)
	v_sub_nc_u64_e32 v[6:7], v[8:9], v[6:7]
	v_dual_mov_b32 v8, v1 :: v_dual_bitop2_b32 v9, s17, v7 bitop3:0x54
	s_delay_alu instid0(VALU_DEP_1) | instskip(SKIP_1) | instid1(SALU_CYCLE_1)
	v_cmp_ne_u64_e32 vcc_lo, 0, v[8:9]
                                        ; implicit-def: $vgpr8_vgpr9
	s_and_saveexec_b32 s2, vcc_lo
	s_xor_b32 s3, exec_lo, s2
	s_cbranch_execz .LBB28_3
; %bb.2:
	s_cvt_f32_u32 s2, s16
	s_cvt_f32_u32 s4, s17
	s_sub_nc_u64 s[6:7], 0, s[16:17]
	s_mov_b32 s11, 0
	v_dual_mov_b32 v9, 0 :: v_dual_mov_b32 v8, v6
	s_fmamk_f32 s2, s4, 0x4f800000, s2
	s_delay_alu instid0(SALU_CYCLE_3) | instskip(NEXT) | instid1(TRANS32_DEP_1)
	v_s_rcp_f32 s2, s2
	s_mul_f32 s2, s2, 0x5f7ffffc
	s_delay_alu instid0(SALU_CYCLE_3) | instskip(NEXT) | instid1(SALU_CYCLE_3)
	s_mul_f32 s4, s2, 0x2f800000
	s_trunc_f32 s4, s4
	s_delay_alu instid0(SALU_CYCLE_3) | instskip(SKIP_1) | instid1(SALU_CYCLE_2)
	s_fmamk_f32 s2, s4, 0xcf800000, s2
	s_cvt_u32_f32 s5, s4
	s_cvt_u32_f32 s4, s2
	s_delay_alu instid0(SALU_CYCLE_3) | instskip(NEXT) | instid1(SALU_CYCLE_1)
	s_mul_u64 s[8:9], s[6:7], s[4:5]
	s_mul_hi_u32 s23, s4, s9
	s_mul_i32 s22, s4, s9
	s_mul_hi_u32 s10, s4, s8
	s_mul_i32 s24, s5, s8
	s_add_nc_u64 s[22:23], s[10:11], s[22:23]
	s_mul_hi_u32 s2, s5, s8
	s_mul_hi_u32 s25, s5, s9
	s_mul_i32 s8, s5, s9
	s_add_co_u32 s9, s22, s24
	s_add_co_ci_u32 s10, s23, s2
	s_add_co_ci_u32 s9, s25, 0
	s_delay_alu instid0(SALU_CYCLE_1) | instskip(NEXT) | instid1(SALU_CYCLE_1)
	s_add_nc_u64 s[8:9], s[10:11], s[8:9]
	s_add_co_u32 s4, s4, s8
	s_cselect_b32 s2, -1, 0
	s_delay_alu instid0(SALU_CYCLE_1) | instskip(SKIP_1) | instid1(SALU_CYCLE_1)
	s_cmp_lg_u32 s2, 0
	s_add_co_ci_u32 s5, s5, s9
	s_mul_u64 s[6:7], s[6:7], s[4:5]
	s_delay_alu instid0(SALU_CYCLE_1)
	s_mul_hi_u32 s9, s4, s7
	s_mul_i32 s8, s4, s7
	s_mul_hi_u32 s10, s4, s6
	s_mul_i32 s22, s5, s6
	s_add_nc_u64 s[8:9], s[10:11], s[8:9]
	s_mul_hi_u32 s2, s5, s6
	s_mul_hi_u32 s23, s5, s7
	s_mul_i32 s6, s5, s7
	s_add_co_u32 s7, s8, s22
	s_add_co_ci_u32 s10, s9, s2
	s_add_co_ci_u32 s7, s23, 0
	s_delay_alu instid0(SALU_CYCLE_1) | instskip(NEXT) | instid1(SALU_CYCLE_1)
	s_add_nc_u64 s[6:7], s[10:11], s[6:7]
	s_add_co_u32 s2, s4, s6
	s_cselect_b32 s4, -1, 0
	s_delay_alu instid0(SALU_CYCLE_1)
	s_cmp_lg_u32 s4, 0
	s_add_co_ci_u32 s10, s5, s7
	s_mov_b64 s[4:5], 0xffffffff
	v_mul_u64_e32 v[10:11], s[10:11], v[8:9]
	v_mul_hi_u32 v8, v6, s2
	s_and_b64 s[4:5], s[2:3], s[4:5]
	s_delay_alu instid0(VALU_DEP_1) | instskip(SKIP_1) | instid1(VALU_DEP_1)
	v_add_nc_u64_e32 v[10:11], v[8:9], v[10:11]
	v_mov_b32_e32 v8, v7
	v_mul_u64_e32 v[12:13], s[4:5], v[8:9]
	v_mul_u64_e32 v[14:15], s[10:11], v[8:9]
	s_delay_alu instid0(VALU_DEP_2) | instskip(NEXT) | instid1(VALU_DEP_3)
	v_add_co_u32 v8, vcc_lo, v10, v12
	v_add_co_ci_u32_e32 v8, vcc_lo, v11, v13, vcc_lo
	s_delay_alu instid0(VALU_DEP_3) | instskip(NEXT) | instid1(VALU_DEP_1)
	v_add_co_ci_u32_e32 v15, vcc_lo, 0, v15, vcc_lo
	v_add_nc_u64_e32 v[8:9], v[8:9], v[14:15]
	s_delay_alu instid0(VALU_DEP_1) | instskip(NEXT) | instid1(VALU_DEP_1)
	v_mul_u64_e32 v[10:11], s[16:17], v[8:9]
	v_sub_nc_u32_e32 v12, v7, v11
	s_delay_alu instid0(VALU_DEP_2) | instskip(NEXT) | instid1(VALU_DEP_1)
	v_sub_co_u32 v6, vcc_lo, v6, v10
	v_sub_co_ci_u32_e64 v11, null, v7, v11, vcc_lo
	s_delay_alu instid0(VALU_DEP_3) | instskip(NEXT) | instid1(VALU_DEP_3)
	v_subrev_co_ci_u32_e64 v10, null, s17, v12, vcc_lo
	v_sub_co_u32 v14, s2, v6, s16
	v_cmp_le_u32_e32 vcc_lo, s16, v6
	s_delay_alu instid0(VALU_DEP_3) | instskip(NEXT) | instid1(VALU_DEP_3)
	v_subrev_co_ci_u32_e64 v10, null, 0, v10, s2
	v_cmp_le_u32_e64 s2, s16, v14
	v_add_nc_u64_e32 v[12:13], 2, v[8:9]
	v_cndmask_b32_e64 v16, 0, -1, vcc_lo
	s_delay_alu instid0(VALU_DEP_4) | instskip(SKIP_3) | instid1(VALU_DEP_1)
	v_cmp_eq_u32_e32 vcc_lo, s17, v10
	v_add_nc_u64_e32 v[6:7], 1, v[8:9]
	v_cndmask_b32_e64 v14, 0, -1, s2
	v_cmp_le_u32_e64 s2, s17, v10
	v_cndmask_b32_e64 v15, 0, -1, s2
	v_cmp_eq_u32_e64 s2, s17, v11
	s_delay_alu instid0(VALU_DEP_2) | instskip(SKIP_2) | instid1(VALU_DEP_3)
	v_cndmask_b32_e32 v10, v15, v14, vcc_lo
	v_cmp_le_u32_e32 vcc_lo, s17, v11
	v_cndmask_b32_e64 v14, 0, -1, vcc_lo
	v_cmp_ne_u32_e32 vcc_lo, 0, v10
	s_delay_alu instid0(VALU_DEP_2) | instskip(SKIP_1) | instid1(VALU_DEP_2)
	v_dual_cndmask_b32 v10, v14, v16, s2 :: v_dual_cndmask_b32 v7, v7, v13, vcc_lo
	v_cndmask_b32_e32 v6, v6, v12, vcc_lo
	v_cmp_ne_u32_e32 vcc_lo, 0, v10
	s_delay_alu instid0(VALU_DEP_2)
	v_dual_cndmask_b32 v9, v9, v7 :: v_dual_cndmask_b32 v8, v8, v6
                                        ; implicit-def: $vgpr6_vgpr7
.LBB28_3:
	s_and_not1_saveexec_b32 s2, s3
	s_cbranch_execz .LBB28_5
; %bb.4:
	v_cvt_f32_u32_e32 v7, s16
	s_sub_co_i32 s3, 0, s16
	s_delay_alu instid0(VALU_DEP_1) | instskip(SKIP_1) | instid1(TRANS32_DEP_1)
	v_rcp_iflag_f32_e32 v7, v7
	v_nop
	v_mul_f32_e32 v7, 0x4f7ffffe, v7
	s_delay_alu instid0(VALU_DEP_1) | instskip(NEXT) | instid1(VALU_DEP_1)
	v_cvt_u32_f32_e32 v7, v7
	v_mul_lo_u32 v8, s3, v7
	s_delay_alu instid0(VALU_DEP_1) | instskip(NEXT) | instid1(VALU_DEP_1)
	v_mul_hi_u32 v8, v7, v8
	v_add_nc_u32_e32 v7, v7, v8
	s_delay_alu instid0(VALU_DEP_1) | instskip(NEXT) | instid1(VALU_DEP_1)
	v_mul_hi_u32 v7, v6, v7
	v_mul_lo_u32 v8, v7, s16
	s_delay_alu instid0(VALU_DEP_1) | instskip(NEXT) | instid1(VALU_DEP_1)
	v_dual_sub_nc_u32 v6, v6, v8 :: v_dual_add_nc_u32 v8, 1, v7
	v_subrev_nc_u32_e32 v9, s16, v6
	v_cmp_le_u32_e32 vcc_lo, s16, v6
	s_delay_alu instid0(VALU_DEP_2) | instskip(NEXT) | instid1(VALU_DEP_4)
	v_dual_cndmask_b32 v6, v6, v9 :: v_dual_mov_b32 v9, 0
	v_cndmask_b32_e32 v7, v7, v8, vcc_lo
	s_delay_alu instid0(VALU_DEP_2) | instskip(NEXT) | instid1(VALU_DEP_2)
	v_cmp_le_u32_e32 vcc_lo, s16, v6
	v_add_nc_u32_e32 v8, 1, v7
	s_delay_alu instid0(VALU_DEP_1)
	v_cndmask_b32_e32 v8, v7, v8, vcc_lo
.LBB28_5:
	s_or_b32 exec_lo, exec_lo, s2
	s_load_b256 s[4:11], s[0:1], 0x0
	s_delay_alu instid0(VALU_DEP_1) | instskip(SKIP_1) | instid1(VALU_DEP_1)
	v_add_nc_u64_e32 v[4:5], v[8:9], v[4:5]
	s_sub_nc_u64 s[22:23], 0, s[12:13]
                                        ; implicit-def: $vgpr6_vgpr7
	v_add_nc_u64_e32 v[12:13], 1, v[4:5]
                                        ; implicit-def: $vgpr4_vgpr5
	s_wait_kmcnt 0x0
	s_lshl_b64 s[0:1], s[8:9], 1
	s_delay_alu instid0(SALU_CYCLE_1)
	s_add_nc_u64 s[2:3], s[0:1], -2
	s_mov_b32 s0, 0
	v_cmp_lt_i64_e64 s45, s[2:3], 1
	v_cmp_gt_i64_e64 s33, s[2:3], 0
	s_mov_b32 s1, exec_lo
	v_cmpx_lt_u64_e32 1, v[12:13]
	s_xor_b32 s44, exec_lo, s1
	s_cbranch_execnz .LBB28_8
; %bb.6:
	s_and_not1_saveexec_b32 s1, s44
	s_cbranch_execnz .LBB28_31
.LBB28_7:
	s_or_b32 exec_lo, exec_lo, s1
	s_delay_alu instid0(SALU_CYCLE_1)
	s_and_b32 exec_lo, exec_lo, s0
	s_cbranch_execnz .LBB28_32
	s_branch .LBB28_44
.LBB28_8:
	v_add_nc_u64_e32 v[4:5], s[16:17], v[2:3]
	v_dual_mov_b32 v15, v13 :: v_dual_bitop2_b32 v14, -2, v12 bitop3:0x40
	v_sub_nc_u64_e64 v[0:1], v[0:1], s[10:11]
	v_lshl_add_u64 v[16:17], v[2:3], 2, s[6:7]
	v_mov_b32_e32 v18, 0
	s_lshl_b64 s[30:31], s[16:17], 1
	v_mov_b64_e32 v[6:7], v[4:5]
	v_mov_b64_e32 v[20:21], v[14:15]
	v_mov_b64_e32 v[4:5], v[2:3]
	s_xor_b32 s46, s45, -1
	s_mov_b32 s24, s2
	s_mov_b32 s25, s3
	;; [unrolled: 1-line block ×6, first 2 shown]
	s_lshl_b64 s[28:29], s[16:17], 2
	s_lshl_b64 s[36:37], s[16:17], 3
	s_mov_b32 s1, 0
	s_mov_b64 s[38:39], 0xffffffff
	s_ashr_i32 s40, s13, 31
	s_sub_co_i32 s48, 0, s12
	s_mov_b32 s47, 0
	s_branch .LBB28_11
.LBB28_9:                               ;   in Loop: Header=BB28_11 Depth=1
	s_or_b32 exec_lo, exec_lo, s0
.LBB28_10:                              ;   in Loop: Header=BB28_11 Depth=1
	v_mul_u64_e32 v[22:23], s[8:9], v[22:23]
	s_delay_alu instid0(VALU_DEP_2) | instskip(SKIP_3) | instid1(VALU_DEP_4)
	v_dual_ashrrev_i32 v19, 31, v9 :: v_dual_ashrrev_i32 v28, 31, v11
	v_mul_u64_e32 v[24:25], s[26:27], v[24:25]
	v_add_nc_u64_e32 v[20:21], -2, v[20:21]
	v_add_nc_u64_e32 v[6:7], s[34:35], v[6:7]
	v_and_b32_e32 v27, s3, v19
	v_and_b32_e32 v26, s2, v19
	;; [unrolled: 1-line block ×4, first 2 shown]
	v_add_nc_u64_e32 v[4:5], s[30:31], v[4:5]
	v_add_nc_u64_e32 v[0:1], s[30:31], v[0:1]
	;; [unrolled: 1-line block ×3, first 2 shown]
	s_delay_alu instid0(VALU_DEP_4) | instskip(NEXT) | instid1(VALU_DEP_2)
	v_add_nc_u64_e32 v[10:11], v[28:29], v[10:11]
	v_sub_nc_u64_e32 v[26:27], s[2:3], v[8:9]
	v_cmp_gt_i64_e32 vcc_lo, s[8:9], v[8:9]
	s_delay_alu instid0(VALU_DEP_3) | instskip(SKIP_1) | instid1(VALU_DEP_4)
	v_sub_nc_u64_e32 v[28:29], s[24:25], v[10:11]
	v_cmp_gt_i64_e64 s0, s[26:27], v[10:11]
	v_dual_cndmask_b32 v8, v26, v8 :: v_dual_cndmask_b32 v9, v27, v9
	s_delay_alu instid0(VALU_DEP_2) | instskip(SKIP_1) | instid1(VALU_DEP_3)
	v_dual_cndmask_b32 v19, v28, v10, s0 :: v_dual_cndmask_b32 v26, v29, v11, s0
	v_cmp_eq_u64_e32 vcc_lo, 0, v[20:21]
	v_cndmask_b32_e64 v8, v8, 0, s45
	s_delay_alu instid0(VALU_DEP_4) | instskip(SKIP_4) | instid1(VALU_DEP_3)
	v_cndmask_b32_e64 v9, v9, 0, s45
	v_lshl_add_u64 v[10:11], v[22:23], 2, s[4:5]
	v_cndmask_b32_e64 v23, v26, 0, s45
	v_cndmask_b32_e64 v22, v19, 0, s45
	s_or_b32 s47, vcc_lo, s47
	v_lshl_add_u64 v[8:9], v[8:9], 2, v[10:11]
	v_lshl_add_u64 v[10:11], v[24:25], 2, s[4:5]
	global_load_b32 v19, v[8:9], off
	s_wait_xcnt 0x0
	v_lshl_add_u64 v[8:9], v[22:23], 2, v[10:11]
	global_load_b32 v10, v[8:9], off
	s_wait_xcnt 0x0
	v_add_nc_u64_e32 v[8:9], s[28:29], v[16:17]
	s_wait_loadcnt 0x1
	global_store_b32 v[16:17], v19, off
	s_wait_xcnt 0x0
	v_add_nc_u64_e32 v[16:17], s[36:37], v[16:17]
	s_wait_loadcnt 0x0
	global_store_b32 v[8:9], v10, off
	s_wait_xcnt 0x0
	s_and_not1_b32 exec_lo, exec_lo, s47
	s_cbranch_execz .LBB28_30
.LBB28_11:                              ; =>This Inner Loop Header: Depth=1
	v_or_b32_e32 v19, s13, v5
                                        ; implicit-def: $vgpr22_vgpr23
	s_mov_b32 s0, exec_lo
	s_delay_alu instid0(VALU_DEP_1)
	v_cmpx_ne_u64_e32 0, v[18:19]
	s_xor_b32 s49, exec_lo, s0
	s_cbranch_execz .LBB28_13
; %bb.12:                               ;   in Loop: Header=BB28_11 Depth=1
	s_mov_b32 s41, s40
	v_dual_mov_b32 v23, v18 :: v_dual_ashrrev_i32 v8, 31, v5
	s_add_nc_u64 s[42:43], s[12:13], s[40:41]
	v_mov_b32_e32 v31, v18
	s_xor_b64 s[42:43], s[42:43], s[40:41]
	s_delay_alu instid0(VALU_DEP_2) | instskip(SKIP_3) | instid1(VALU_DEP_1)
	v_mov_b32_e32 v9, v8
	s_cvt_f32_u32 s0, s42
	s_cvt_f32_u32 s41, s43
	s_sub_nc_u64 s[52:53], 0, s[42:43]
	v_add_nc_u64_e32 v[10:11], v[4:5], v[8:9]
	s_delay_alu instid0(SALU_CYCLE_1) | instskip(SKIP_1) | instid1(SALU_CYCLE_2)
	s_fmamk_f32 s0, s41, 0x4f800000, s0
	v_mov_b32_e32 v27, v18
	v_s_rcp_f32 s0, s0
	s_delay_alu instid0(VALU_DEP_2) | instskip(NEXT) | instid1(VALU_DEP_3)
	v_xor_b32_e32 v22, v10, v8
	v_xor_b32_e32 v26, v11, v8
	s_delay_alu instid0(TRANS32_DEP_1) | instskip(NEXT) | instid1(SALU_CYCLE_3)
	s_mul_f32 s0, s0, 0x5f7ffffc
	s_mul_f32 s41, s0, 0x2f800000
	s_delay_alu instid0(SALU_CYCLE_3) | instskip(NEXT) | instid1(SALU_CYCLE_3)
	s_trunc_f32 s41, s41
	s_fmamk_f32 s0, s41, 0xcf800000, s0
	s_cvt_u32_f32 s51, s41
	s_delay_alu instid0(SALU_CYCLE_2) | instskip(NEXT) | instid1(SALU_CYCLE_3)
	s_cvt_u32_f32 s50, s0
	s_mul_u64 s[54:55], s[52:53], s[50:51]
	s_delay_alu instid0(SALU_CYCLE_1)
	s_mul_hi_u32 s57, s50, s55
	s_mul_i32 s56, s50, s55
	s_mul_hi_u32 s0, s50, s54
	s_mul_i32 s58, s51, s54
	s_add_nc_u64 s[56:57], s[0:1], s[56:57]
	s_mul_hi_u32 s41, s51, s54
	s_mul_hi_u32 s59, s51, s55
	s_add_co_u32 s0, s56, s58
	s_add_co_ci_u32 s0, s57, s41
	s_mul_i32 s54, s51, s55
	s_add_co_ci_u32 s55, s59, 0
	s_delay_alu instid0(SALU_CYCLE_1) | instskip(NEXT) | instid1(SALU_CYCLE_1)
	s_add_nc_u64 s[54:55], s[0:1], s[54:55]
	s_add_co_u32 s50, s50, s54
	s_cselect_b32 s0, -1, 0
	s_delay_alu instid0(SALU_CYCLE_1) | instskip(SKIP_1) | instid1(SALU_CYCLE_1)
	s_cmp_lg_u32 s0, 0
	s_add_co_ci_u32 s51, s51, s55
	s_mul_u64 s[52:53], s[52:53], s[50:51]
	s_delay_alu instid0(SALU_CYCLE_1)
	s_mul_hi_u32 s55, s50, s53
	s_mul_i32 s54, s50, s53
	s_mul_hi_u32 s0, s50, s52
	s_mul_i32 s56, s51, s52
	s_add_nc_u64 s[54:55], s[0:1], s[54:55]
	s_mul_hi_u32 s41, s51, s52
	s_mul_hi_u32 s57, s51, s53
	s_add_co_u32 s0, s54, s56
	s_add_co_ci_u32 s0, s55, s41
	s_mul_i32 s52, s51, s53
	s_add_co_ci_u32 s53, s57, 0
	s_delay_alu instid0(SALU_CYCLE_1) | instskip(NEXT) | instid1(SALU_CYCLE_1)
	s_add_nc_u64 s[52:53], s[0:1], s[52:53]
	s_add_co_u32 s50, s50, s52
	s_cselect_b32 s0, -1, 0
	v_mul_hi_u32 v30, v22, s50
	s_cmp_lg_u32 s0, 0
	s_add_co_ci_u32 s0, s51, s53
	s_and_b64 s[52:53], s[50:51], s[38:39]
	v_mul_u64_e32 v[24:25], s[0:1], v[22:23]
	v_mul_u64_e32 v[10:11], s[52:53], v[26:27]
	;; [unrolled: 1-line block ×3, first 2 shown]
	s_delay_alu instid0(VALU_DEP_3) | instskip(NEXT) | instid1(VALU_DEP_1)
	v_add_nc_u64_e32 v[24:25], v[30:31], v[24:25]
	v_add_co_u32 v9, vcc_lo, v24, v10
	s_delay_alu instid0(VALU_DEP_2) | instskip(NEXT) | instid1(VALU_DEP_4)
	v_add_co_ci_u32_e32 v30, vcc_lo, v25, v11, vcc_lo
	v_add_co_ci_u32_e32 v29, vcc_lo, 0, v29, vcc_lo
	s_delay_alu instid0(VALU_DEP_1) | instskip(NEXT) | instid1(VALU_DEP_1)
	v_add_nc_u64_e32 v[10:11], v[30:31], v[28:29]
	v_mul_u64_e32 v[24:25], s[42:43], v[10:11]
	s_delay_alu instid0(VALU_DEP_1) | instskip(NEXT) | instid1(VALU_DEP_2)
	v_sub_nc_u32_e32 v9, v26, v25
	v_sub_co_u32 v19, vcc_lo, v22, v24
	s_delay_alu instid0(VALU_DEP_1) | instskip(NEXT) | instid1(VALU_DEP_3)
	v_sub_co_ci_u32_e64 v26, null, v26, v25, vcc_lo
	v_subrev_co_ci_u32_e64 v9, null, s43, v9, vcc_lo
	s_delay_alu instid0(VALU_DEP_3) | instskip(SKIP_1) | instid1(VALU_DEP_3)
	v_sub_co_u32 v22, s0, v19, s42
	v_add_nc_u64_e32 v[24:25], 1, v[10:11]
	v_subrev_co_ci_u32_e64 v9, null, 0, v9, s0
	s_delay_alu instid0(VALU_DEP_3) | instskip(SKIP_1) | instid1(VALU_DEP_3)
	v_cmp_le_u32_e32 vcc_lo, s42, v22
	v_cndmask_b32_e64 v22, 0, -1, vcc_lo
	v_cmp_le_u32_e32 vcc_lo, s43, v9
	v_cndmask_b32_e64 v23, 0, -1, vcc_lo
	;; [unrolled: 2-line block ×4, first 2 shown]
	v_cmp_eq_u32_e32 vcc_lo, s43, v9
	v_cndmask_b32_e32 v9, v23, v22, vcc_lo
	v_cmp_eq_u32_e32 vcc_lo, s43, v26
	v_add_nc_u64_e32 v[22:23], 2, v[10:11]
	v_cndmask_b32_e32 v19, v27, v19, vcc_lo
	s_delay_alu instid0(VALU_DEP_4) | instskip(NEXT) | instid1(VALU_DEP_2)
	v_cmp_ne_u32_e32 vcc_lo, 0, v9
	v_cmp_ne_u32_e64 s0, 0, v19
	s_delay_alu instid0(VALU_DEP_4) | instskip(NEXT) | instid1(VALU_DEP_1)
	v_dual_cndmask_b32 v9, v25, v23, vcc_lo :: v_dual_cndmask_b32 v19, v24, v22, vcc_lo
	v_dual_cndmask_b32 v11, v11, v9, s0 :: v_dual_bitop2_b32 v8, s40, v8 bitop3:0x14
	s_delay_alu instid0(VALU_DEP_1) | instskip(NEXT) | instid1(VALU_DEP_2)
	v_dual_cndmask_b32 v10, v10, v19, s0 :: v_dual_mov_b32 v9, v8
	v_xor_b32_e32 v11, v11, v8
	s_delay_alu instid0(VALU_DEP_2) | instskip(NEXT) | instid1(VALU_DEP_1)
	v_xor_b32_e32 v10, v10, v8
	v_sub_nc_u64_e32 v[22:23], v[10:11], v[8:9]
.LBB28_13:                              ;   in Loop: Header=BB28_11 Depth=1
	s_or_saveexec_b32 s0, s49
	v_cvt_f32_u32_e32 v8, s12
	s_delay_alu instid0(VALU_DEP_1)
	v_rcp_iflag_f32_e32 v8, v8
	s_xor_b32 exec_lo, exec_lo, s0
	s_cbranch_execz .LBB28_15
; %bb.14:                               ;   in Loop: Header=BB28_11 Depth=1
	v_nop
	s_delay_alu instid0(TRANS32_DEP_1) | instskip(SKIP_1) | instid1(VALU_DEP_2)
	v_mul_f32_e32 v9, 0x4f7ffffe, v8
	v_mov_b32_e32 v23, v18
	v_cvt_u32_f32_e32 v9, v9
	s_delay_alu instid0(VALU_DEP_1) | instskip(NEXT) | instid1(VALU_DEP_1)
	v_mul_lo_u32 v10, s48, v9
	v_mul_hi_u32 v10, v9, v10
	s_delay_alu instid0(VALU_DEP_1) | instskip(NEXT) | instid1(VALU_DEP_1)
	v_add_nc_u32_e32 v9, v9, v10
	v_mul_hi_u32 v9, v4, v9
	s_delay_alu instid0(VALU_DEP_1) | instskip(NEXT) | instid1(VALU_DEP_1)
	v_mul_lo_u32 v10, v9, s12
	v_dual_add_nc_u32 v11, 1, v9 :: v_dual_sub_nc_u32 v10, v4, v10
	s_delay_alu instid0(VALU_DEP_1) | instskip(SKIP_1) | instid1(VALU_DEP_2)
	v_subrev_nc_u32_e32 v19, s12, v10
	v_cmp_le_u32_e32 vcc_lo, s12, v10
	v_cndmask_b32_e32 v10, v10, v19, vcc_lo
	s_delay_alu instid0(VALU_DEP_4) | instskip(NEXT) | instid1(VALU_DEP_2)
	v_cndmask_b32_e32 v9, v9, v11, vcc_lo
	v_cmp_le_u32_e32 vcc_lo, s12, v10
	s_delay_alu instid0(VALU_DEP_2) | instskip(NEXT) | instid1(VALU_DEP_1)
	v_add_nc_u32_e32 v11, 1, v9
	v_cndmask_b32_e32 v22, v9, v11, vcc_lo
.LBB28_15:                              ;   in Loop: Header=BB28_11 Depth=1
	s_or_b32 exec_lo, exec_lo, s0
	v_or_b32_e32 v19, s13, v7
                                        ; implicit-def: $vgpr24_vgpr25
	s_mov_b32 s0, exec_lo
	s_delay_alu instid0(VALU_DEP_1)
	v_cmpx_ne_u64_e32 0, v[18:19]
	s_xor_b32 s49, exec_lo, s0
	s_cbranch_execnz .LBB28_19
; %bb.16:                               ;   in Loop: Header=BB28_11 Depth=1
	s_and_not1_saveexec_b32 s0, s49
	s_cbranch_execnz .LBB28_20
.LBB28_17:                              ;   in Loop: Header=BB28_11 Depth=1
	s_or_b32 exec_lo, exec_lo, s0
	s_delay_alu instid0(SALU_CYCLE_1)
	s_and_not1_b32 vcc_lo, exec_lo, s46
                                        ; implicit-def: $vgpr8_vgpr9_vgpr10_vgpr11
	s_cbranch_vccz .LBB28_21
.LBB28_18:                              ;   in Loop: Header=BB28_11 Depth=1
	s_and_not1_b32 vcc_lo, exec_lo, s46
	s_cbranch_vccnz .LBB28_10
	s_branch .LBB28_26
.LBB28_19:                              ;   in Loop: Header=BB28_11 Depth=1
	s_mov_b32 s41, s40
	v_dual_mov_b32 v25, v18 :: v_dual_ashrrev_i32 v8, 31, v7
	s_add_nc_u64 s[42:43], s[12:13], s[40:41]
	s_delay_alu instid0(SALU_CYCLE_1) | instskip(NEXT) | instid1(VALU_DEP_1)
	s_xor_b64 s[42:43], s[42:43], s[40:41]
	v_mov_b32_e32 v9, v8
	s_cvt_f32_u32 s0, s42
	s_cvt_f32_u32 s41, s43
	s_sub_nc_u64 s[52:53], 0, s[42:43]
	s_delay_alu instid0(VALU_DEP_1) | instskip(NEXT) | instid1(SALU_CYCLE_1)
	v_add_nc_u64_e32 v[10:11], v[6:7], v[8:9]
	s_fmamk_f32 s0, s41, 0x4f800000, s0
	v_mov_b32_e32 v29, v18
	s_delay_alu instid0(SALU_CYCLE_2) | instskip(NEXT) | instid1(VALU_DEP_2)
	v_s_rcp_f32 s0, s0
	v_xor_b32_e32 v24, v10, v8
	s_delay_alu instid0(VALU_DEP_3) | instskip(NEXT) | instid1(TRANS32_DEP_1)
	v_dual_mov_b32 v33, v18 :: v_dual_bitop2_b32 v28, v11, v8 bitop3:0x14
	s_mul_f32 s0, s0, 0x5f7ffffc
	s_delay_alu instid0(SALU_CYCLE_3) | instskip(NEXT) | instid1(SALU_CYCLE_3)
	s_mul_f32 s41, s0, 0x2f800000
	s_trunc_f32 s41, s41
	s_delay_alu instid0(SALU_CYCLE_3) | instskip(SKIP_1) | instid1(SALU_CYCLE_2)
	s_fmamk_f32 s0, s41, 0xcf800000, s0
	s_cvt_u32_f32 s51, s41
	s_cvt_u32_f32 s50, s0
	s_delay_alu instid0(SALU_CYCLE_3) | instskip(NEXT) | instid1(SALU_CYCLE_1)
	s_mul_u64 s[54:55], s[52:53], s[50:51]
	s_mul_hi_u32 s57, s50, s55
	s_mul_i32 s56, s50, s55
	s_mul_hi_u32 s0, s50, s54
	s_mul_i32 s58, s51, s54
	s_add_nc_u64 s[56:57], s[0:1], s[56:57]
	s_mul_hi_u32 s41, s51, s54
	s_mul_hi_u32 s59, s51, s55
	s_add_co_u32 s0, s56, s58
	s_add_co_ci_u32 s0, s57, s41
	s_mul_i32 s54, s51, s55
	s_add_co_ci_u32 s55, s59, 0
	s_delay_alu instid0(SALU_CYCLE_1) | instskip(NEXT) | instid1(SALU_CYCLE_1)
	s_add_nc_u64 s[54:55], s[0:1], s[54:55]
	s_add_co_u32 s50, s50, s54
	s_cselect_b32 s0, -1, 0
	s_delay_alu instid0(SALU_CYCLE_1) | instskip(SKIP_1) | instid1(SALU_CYCLE_1)
	s_cmp_lg_u32 s0, 0
	s_add_co_ci_u32 s51, s51, s55
	s_mul_u64 s[52:53], s[52:53], s[50:51]
	s_delay_alu instid0(SALU_CYCLE_1)
	s_mul_hi_u32 s55, s50, s53
	s_mul_i32 s54, s50, s53
	s_mul_hi_u32 s0, s50, s52
	s_mul_i32 s56, s51, s52
	s_add_nc_u64 s[54:55], s[0:1], s[54:55]
	s_mul_hi_u32 s41, s51, s52
	s_mul_hi_u32 s57, s51, s53
	s_add_co_u32 s0, s54, s56
	s_add_co_ci_u32 s0, s55, s41
	s_mul_i32 s52, s51, s53
	s_add_co_ci_u32 s53, s57, 0
	s_delay_alu instid0(SALU_CYCLE_1) | instskip(NEXT) | instid1(SALU_CYCLE_1)
	s_add_nc_u64 s[52:53], s[0:1], s[52:53]
	s_add_co_u32 s50, s50, s52
	s_cselect_b32 s0, -1, 0
	v_mul_hi_u32 v32, v24, s50
	s_cmp_lg_u32 s0, 0
	s_add_co_ci_u32 s0, s51, s53
	s_and_b64 s[52:53], s[50:51], s[38:39]
	v_mul_u64_e32 v[26:27], s[0:1], v[24:25]
	v_mul_u64_e32 v[10:11], s[52:53], v[28:29]
	;; [unrolled: 1-line block ×3, first 2 shown]
	s_delay_alu instid0(VALU_DEP_3) | instskip(NEXT) | instid1(VALU_DEP_1)
	v_add_nc_u64_e32 v[26:27], v[32:33], v[26:27]
	v_add_co_u32 v9, vcc_lo, v26, v10
	s_delay_alu instid0(VALU_DEP_2) | instskip(NEXT) | instid1(VALU_DEP_4)
	v_add_co_ci_u32_e32 v32, vcc_lo, v27, v11, vcc_lo
	v_add_co_ci_u32_e32 v31, vcc_lo, 0, v31, vcc_lo
	s_delay_alu instid0(VALU_DEP_1) | instskip(NEXT) | instid1(VALU_DEP_1)
	v_add_nc_u64_e32 v[10:11], v[32:33], v[30:31]
	v_mul_u64_e32 v[26:27], s[42:43], v[10:11]
	s_delay_alu instid0(VALU_DEP_1) | instskip(NEXT) | instid1(VALU_DEP_2)
	v_sub_nc_u32_e32 v9, v28, v27
	v_sub_co_u32 v19, vcc_lo, v24, v26
	s_delay_alu instid0(VALU_DEP_1) | instskip(NEXT) | instid1(VALU_DEP_3)
	v_sub_co_ci_u32_e64 v28, null, v28, v27, vcc_lo
	v_subrev_co_ci_u32_e64 v9, null, s43, v9, vcc_lo
	s_delay_alu instid0(VALU_DEP_3) | instskip(SKIP_1) | instid1(VALU_DEP_3)
	v_sub_co_u32 v24, s0, v19, s42
	v_add_nc_u64_e32 v[26:27], 1, v[10:11]
	v_subrev_co_ci_u32_e64 v9, null, 0, v9, s0
	s_delay_alu instid0(VALU_DEP_3) | instskip(SKIP_1) | instid1(VALU_DEP_3)
	v_cmp_le_u32_e32 vcc_lo, s42, v24
	v_cndmask_b32_e64 v24, 0, -1, vcc_lo
	v_cmp_le_u32_e32 vcc_lo, s43, v9
	v_cndmask_b32_e64 v25, 0, -1, vcc_lo
	;; [unrolled: 2-line block ×4, first 2 shown]
	v_cmp_eq_u32_e32 vcc_lo, s43, v9
	v_cndmask_b32_e32 v9, v25, v24, vcc_lo
	v_cmp_eq_u32_e32 vcc_lo, s43, v28
	v_add_nc_u64_e32 v[24:25], 2, v[10:11]
	v_cndmask_b32_e32 v19, v29, v19, vcc_lo
	s_delay_alu instid0(VALU_DEP_4) | instskip(NEXT) | instid1(VALU_DEP_3)
	v_cmp_ne_u32_e32 vcc_lo, 0, v9
	v_cndmask_b32_e32 v9, v27, v25, vcc_lo
	s_delay_alu instid0(VALU_DEP_3) | instskip(SKIP_1) | instid1(VALU_DEP_2)
	v_cmp_ne_u32_e64 s0, 0, v19
	v_cndmask_b32_e32 v19, v26, v24, vcc_lo
	v_dual_cndmask_b32 v11, v11, v9, s0 :: v_dual_bitop2_b32 v8, s40, v8 bitop3:0x14
	s_delay_alu instid0(VALU_DEP_1) | instskip(NEXT) | instid1(VALU_DEP_2)
	v_dual_cndmask_b32 v10, v10, v19, s0 :: v_dual_mov_b32 v9, v8
	v_xor_b32_e32 v11, v11, v8
	s_delay_alu instid0(VALU_DEP_2) | instskip(NEXT) | instid1(VALU_DEP_1)
	v_xor_b32_e32 v10, v10, v8
	v_sub_nc_u64_e32 v[24:25], v[10:11], v[8:9]
                                        ; implicit-def: $vgpr8
	s_and_not1_saveexec_b32 s0, s49
	s_cbranch_execz .LBB28_17
.LBB28_20:                              ;   in Loop: Header=BB28_11 Depth=1
	v_dual_mul_f32 v8, 0x4f7ffffe, v8 :: v_dual_mov_b32 v25, v18
	s_delay_alu instid0(VALU_DEP_1) | instskip(NEXT) | instid1(VALU_DEP_1)
	v_cvt_u32_f32_e32 v8, v8
	v_mul_lo_u32 v9, s48, v8
	s_delay_alu instid0(VALU_DEP_1) | instskip(NEXT) | instid1(VALU_DEP_1)
	v_mul_hi_u32 v9, v8, v9
	v_add_nc_u32_e32 v8, v8, v9
	s_delay_alu instid0(VALU_DEP_1) | instskip(NEXT) | instid1(VALU_DEP_1)
	v_mul_hi_u32 v8, v6, v8
	v_mul_lo_u32 v9, v8, s12
	s_delay_alu instid0(VALU_DEP_1) | instskip(NEXT) | instid1(VALU_DEP_1)
	v_dual_add_nc_u32 v10, 1, v8 :: v_dual_sub_nc_u32 v9, v6, v9
	v_subrev_nc_u32_e32 v11, s12, v9
	v_cmp_le_u32_e32 vcc_lo, s12, v9
	s_delay_alu instid0(VALU_DEP_2) | instskip(NEXT) | instid1(VALU_DEP_1)
	v_dual_cndmask_b32 v9, v9, v11 :: v_dual_cndmask_b32 v8, v8, v10
	v_cmp_le_u32_e32 vcc_lo, s12, v9
	s_delay_alu instid0(VALU_DEP_2) | instskip(NEXT) | instid1(VALU_DEP_1)
	v_add_nc_u32_e32 v10, 1, v8
	v_cndmask_b32_e32 v24, v8, v10, vcc_lo
	s_or_b32 exec_lo, exec_lo, s0
	s_delay_alu instid0(SALU_CYCLE_1)
	s_and_not1_b32 vcc_lo, exec_lo, s46
                                        ; implicit-def: $vgpr8_vgpr9_vgpr10_vgpr11
	s_cbranch_vccnz .LBB28_18
.LBB28_21:                              ;   in Loop: Header=BB28_11 Depth=1
	v_add_nc_u64_e32 v[8:9], s[18:19], v[0:1]
	s_mov_b32 s0, exec_lo
	s_delay_alu instid0(VALU_DEP_1) | instskip(NEXT) | instid1(VALU_DEP_1)
	v_mad_nc_u64_u32 v[10:11], s22, v22, v[8:9]
	v_mad_u32 v8, s23, v22, v11
	s_delay_alu instid0(VALU_DEP_1) | instskip(NEXT) | instid1(VALU_DEP_1)
	v_mad_u32 v11, s22, v23, v8
                                        ; implicit-def: $vgpr8_vgpr9
	v_or_b32_e32 v19, s3, v11
	s_delay_alu instid0(VALU_DEP_1)
	v_cmpx_ne_u64_e32 0, v[18:19]
	s_xor_b32 s41, exec_lo, s0
	s_cbranch_execz .LBB28_23
; %bb.22:                               ;   in Loop: Header=BB28_11 Depth=1
	s_ashr_i32 s42, s3, 31
	v_dual_mov_b32 v27, v18 :: v_dual_ashrrev_i32 v8, 31, v11
	s_mov_b32 s43, s42
	v_mov_b32_e32 v35, v18
	s_add_nc_u64 s[50:51], s[2:3], s[42:43]
	s_delay_alu instid0(VALU_DEP_2) | instskip(SKIP_1) | instid1(SALU_CYCLE_1)
	v_mov_b32_e32 v9, v8
	s_xor_b64 s[42:43], s[50:51], s[42:43]
	s_cvt_f32_u32 s0, s42
	s_cvt_f32_u32 s49, s43
	s_sub_nc_u64 s[52:53], 0, s[42:43]
	v_add_nc_u64_e32 v[10:11], v[10:11], v[8:9]
	v_mov_b32_e32 v31, v18
	s_fmamk_f32 s0, s49, 0x4f800000, s0
	s_delay_alu instid0(SALU_CYCLE_3) | instskip(NEXT) | instid1(VALU_DEP_2)
	v_s_rcp_f32 s0, s0
	v_xor_b32_e32 v26, v10, v8
	s_delay_alu instid0(VALU_DEP_3) | instskip(NEXT) | instid1(TRANS32_DEP_1)
	v_xor_b32_e32 v30, v11, v8
	s_mul_f32 s0, s0, 0x5f7ffffc
	s_delay_alu instid0(SALU_CYCLE_3) | instskip(NEXT) | instid1(SALU_CYCLE_3)
	s_mul_f32 s49, s0, 0x2f800000
	s_trunc_f32 s49, s49
	s_delay_alu instid0(SALU_CYCLE_3) | instskip(SKIP_1) | instid1(SALU_CYCLE_2)
	s_fmamk_f32 s0, s49, 0xcf800000, s0
	s_cvt_u32_f32 s51, s49
	s_cvt_u32_f32 s50, s0
	s_delay_alu instid0(SALU_CYCLE_3) | instskip(NEXT) | instid1(SALU_CYCLE_1)
	s_mul_u64 s[54:55], s[52:53], s[50:51]
	s_mul_hi_u32 s57, s50, s55
	s_mul_i32 s56, s50, s55
	s_mul_hi_u32 s0, s50, s54
	s_mul_i32 s58, s51, s54
	s_add_nc_u64 s[56:57], s[0:1], s[56:57]
	s_mul_hi_u32 s49, s51, s54
	s_mul_hi_u32 s59, s51, s55
	s_add_co_u32 s0, s56, s58
	s_add_co_ci_u32 s0, s57, s49
	s_mul_i32 s54, s51, s55
	s_add_co_ci_u32 s55, s59, 0
	s_delay_alu instid0(SALU_CYCLE_1) | instskip(NEXT) | instid1(SALU_CYCLE_1)
	s_add_nc_u64 s[54:55], s[0:1], s[54:55]
	s_add_co_u32 s50, s50, s54
	s_cselect_b32 s0, -1, 0
	s_delay_alu instid0(SALU_CYCLE_1) | instskip(SKIP_1) | instid1(SALU_CYCLE_1)
	s_cmp_lg_u32 s0, 0
	s_add_co_ci_u32 s51, s51, s55
	s_mul_u64 s[52:53], s[52:53], s[50:51]
	s_delay_alu instid0(SALU_CYCLE_1)
	s_mul_hi_u32 s55, s50, s53
	s_mul_i32 s54, s50, s53
	s_mul_hi_u32 s0, s50, s52
	s_mul_i32 s56, s51, s52
	s_add_nc_u64 s[54:55], s[0:1], s[54:55]
	s_mul_hi_u32 s49, s51, s52
	s_mul_hi_u32 s57, s51, s53
	s_add_co_u32 s0, s54, s56
	s_add_co_ci_u32 s0, s55, s49
	s_mul_i32 s52, s51, s53
	s_add_co_ci_u32 s53, s57, 0
	s_delay_alu instid0(SALU_CYCLE_1) | instskip(NEXT) | instid1(SALU_CYCLE_1)
	s_add_nc_u64 s[52:53], s[0:1], s[52:53]
	s_add_co_u32 s50, s50, s52
	s_cselect_b32 s0, -1, 0
	v_mul_hi_u32 v34, v26, s50
	s_cmp_lg_u32 s0, 0
	s_add_co_ci_u32 s0, s51, s53
	s_and_b64 s[52:53], s[50:51], s[38:39]
	v_mul_u64_e32 v[28:29], s[0:1], v[26:27]
	v_mul_u64_e32 v[10:11], s[52:53], v[30:31]
	;; [unrolled: 1-line block ×3, first 2 shown]
	s_delay_alu instid0(VALU_DEP_3) | instskip(NEXT) | instid1(VALU_DEP_1)
	v_add_nc_u64_e32 v[28:29], v[34:35], v[28:29]
	v_add_co_u32 v10, vcc_lo, v28, v10
	s_delay_alu instid0(VALU_DEP_2) | instskip(NEXT) | instid1(VALU_DEP_4)
	v_add_co_ci_u32_e32 v34, vcc_lo, v29, v11, vcc_lo
	v_add_co_ci_u32_e32 v33, vcc_lo, 0, v33, vcc_lo
	s_delay_alu instid0(VALU_DEP_1) | instskip(NEXT) | instid1(VALU_DEP_1)
	v_add_nc_u64_e32 v[10:11], v[34:35], v[32:33]
	v_mul_u64_e32 v[10:11], s[42:43], v[10:11]
	s_delay_alu instid0(VALU_DEP_1) | instskip(NEXT) | instid1(VALU_DEP_2)
	v_sub_nc_u32_e32 v19, v30, v11
	v_sub_co_u32 v10, vcc_lo, v26, v10
	s_delay_alu instid0(VALU_DEP_1) | instskip(NEXT) | instid1(VALU_DEP_3)
	v_sub_co_ci_u32_e64 v11, null, v30, v11, vcc_lo
	v_subrev_co_ci_u32_e64 v19, null, s43, v19, vcc_lo
	s_delay_alu instid0(VALU_DEP_3) | instskip(SKIP_1) | instid1(VALU_DEP_3)
	v_sub_co_u32 v26, vcc_lo, v10, s42
	v_cmp_le_u32_e64 s0, s42, v10
	v_subrev_co_ci_u32_e64 v27, null, 0, v19, vcc_lo
	v_subrev_co_ci_u32_e64 v19, null, s43, v19, vcc_lo
	s_delay_alu instid0(VALU_DEP_3) | instskip(SKIP_2) | instid1(VALU_DEP_2)
	v_cndmask_b32_e64 v28, 0, -1, s0
	v_cmp_le_u32_e64 s0, s42, v26
	v_cmp_le_u32_e32 vcc_lo, s43, v11
	v_cndmask_b32_e64 v29, 0, -1, s0
	v_cmp_le_u32_e64 s0, s43, v27
	v_cndmask_b32_e64 v31, 0, -1, vcc_lo
	v_cmp_eq_u32_e32 vcc_lo, s43, v27
	s_delay_alu instid0(VALU_DEP_3) | instskip(SKIP_1) | instid1(VALU_DEP_2)
	v_cndmask_b32_e64 v30, 0, -1, s0
	v_cmp_eq_u32_e64 s0, s43, v11
	v_cndmask_b32_e32 v29, v30, v29, vcc_lo
	v_sub_co_u32 v30, vcc_lo, v26, s42
	s_delay_alu instid0(VALU_DEP_1) | instskip(NEXT) | instid1(VALU_DEP_3)
	v_subrev_co_ci_u32_e64 v19, null, 0, v19, vcc_lo
	v_cmp_ne_u32_e32 vcc_lo, 0, v29
	v_cndmask_b32_e64 v28, v31, v28, s0
	s_delay_alu instid0(VALU_DEP_3) | instskip(NEXT) | instid1(VALU_DEP_2)
	v_dual_cndmask_b32 v19, v27, v19 :: v_dual_cndmask_b32 v26, v26, v30
	v_cmp_ne_u32_e32 vcc_lo, 0, v28
	s_delay_alu instid0(VALU_DEP_2) | instskip(NEXT) | instid1(VALU_DEP_1)
	v_dual_cndmask_b32 v11, v11, v19 :: v_dual_cndmask_b32 v10, v10, v26
	v_xor_b32_e32 v11, v11, v8
	s_delay_alu instid0(VALU_DEP_2) | instskip(NEXT) | instid1(VALU_DEP_1)
	v_xor_b32_e32 v10, v10, v8
	v_sub_nc_u64_e32 v[8:9], v[10:11], v[8:9]
                                        ; implicit-def: $vgpr10_vgpr11
.LBB28_23:                              ;   in Loop: Header=BB28_11 Depth=1
	s_and_not1_saveexec_b32 s0, s41
	s_cbranch_execz .LBB28_25
; %bb.24:                               ;   in Loop: Header=BB28_11 Depth=1
	v_cvt_f32_u32_e32 v8, s2
	s_sub_co_i32 s41, 0, s2
	s_delay_alu instid0(VALU_DEP_1) | instskip(SKIP_1) | instid1(TRANS32_DEP_1)
	v_rcp_iflag_f32_e32 v8, v8
	v_nop
	v_mul_f32_e32 v8, 0x4f7ffffe, v8
	s_delay_alu instid0(VALU_DEP_1) | instskip(NEXT) | instid1(VALU_DEP_1)
	v_cvt_u32_f32_e32 v8, v8
	v_mul_lo_u32 v9, s41, v8
	s_delay_alu instid0(VALU_DEP_1) | instskip(NEXT) | instid1(VALU_DEP_1)
	v_mul_hi_u32 v9, v8, v9
	v_add_nc_u32_e32 v8, v8, v9
	s_delay_alu instid0(VALU_DEP_1) | instskip(NEXT) | instid1(VALU_DEP_1)
	v_mul_hi_u32 v8, v10, v8
	v_mul_lo_u32 v8, v8, s2
	s_delay_alu instid0(VALU_DEP_1) | instskip(NEXT) | instid1(VALU_DEP_1)
	v_sub_nc_u32_e32 v8, v10, v8
	v_subrev_nc_u32_e32 v9, s2, v8
	v_cmp_le_u32_e32 vcc_lo, s2, v8
	s_delay_alu instid0(VALU_DEP_2) | instskip(NEXT) | instid1(VALU_DEP_1)
	v_cndmask_b32_e32 v8, v8, v9, vcc_lo
	v_subrev_nc_u32_e32 v9, s2, v8
	v_cmp_le_u32_e32 vcc_lo, s2, v8
	s_delay_alu instid0(VALU_DEP_2)
	v_dual_cndmask_b32 v8, v8, v9 :: v_dual_mov_b32 v9, v18
.LBB28_25:                              ;   in Loop: Header=BB28_11 Depth=1
	s_or_b32 exec_lo, exec_lo, s0
	s_delay_alu instid0(SALU_CYCLE_1)
	s_and_not1_b32 vcc_lo, exec_lo, s46
	s_cbranch_vccnz .LBB28_10
.LBB28_26:                              ;   in Loop: Header=BB28_11 Depth=1
	v_add_nc_u64_e32 v[10:11], s[20:21], v[0:1]
	s_mov_b32 s0, exec_lo
	s_delay_alu instid0(VALU_DEP_1) | instskip(NEXT) | instid1(VALU_DEP_1)
	v_mad_nc_u64_u32 v[26:27], s22, v24, v[10:11]
	v_mad_u32 v10, s23, v24, v27
	s_delay_alu instid0(VALU_DEP_1) | instskip(NEXT) | instid1(VALU_DEP_1)
	v_mad_u32 v27, s22, v25, v10
	v_or_b32_e32 v19, s3, v27
	s_delay_alu instid0(VALU_DEP_1)
	v_cmpx_ne_u64_e32 0, v[18:19]
	s_xor_b32 s41, exec_lo, s0
	s_cbranch_execz .LBB28_28
; %bb.27:                               ;   in Loop: Header=BB28_11 Depth=1
	s_ashr_i32 s42, s3, 31
	v_dual_mov_b32 v29, v18 :: v_dual_ashrrev_i32 v10, 31, v27
	s_mov_b32 s43, s42
	v_mov_b32_e32 v33, v18
	s_add_nc_u64 s[50:51], s[2:3], s[42:43]
	s_delay_alu instid0(VALU_DEP_2)
	v_mov_b32_e32 v11, v10
	s_xor_b64 s[42:43], s[50:51], s[42:43]
	v_mov_b32_e32 v37, v18
	s_cvt_f32_u32 s0, s42
	s_cvt_f32_u32 s49, s43
	s_sub_nc_u64 s[52:53], 0, s[42:43]
	v_add_nc_u64_e32 v[26:27], v[26:27], v[10:11]
	s_delay_alu instid0(SALU_CYCLE_1) | instskip(NEXT) | instid1(SALU_CYCLE_3)
	s_fmamk_f32 s0, s49, 0x4f800000, s0
	v_s_rcp_f32 s0, s0
	s_delay_alu instid0(VALU_DEP_1) | instskip(NEXT) | instid1(VALU_DEP_2)
	v_xor_b32_e32 v32, v27, v10
	v_xor_b32_e32 v28, v26, v10
	s_delay_alu instid0(TRANS32_DEP_1) | instskip(NEXT) | instid1(SALU_CYCLE_3)
	s_mul_f32 s0, s0, 0x5f7ffffc
	s_mul_f32 s49, s0, 0x2f800000
	s_delay_alu instid0(SALU_CYCLE_3) | instskip(NEXT) | instid1(SALU_CYCLE_3)
	s_trunc_f32 s49, s49
	s_fmamk_f32 s0, s49, 0xcf800000, s0
	s_cvt_u32_f32 s51, s49
	s_delay_alu instid0(SALU_CYCLE_2) | instskip(NEXT) | instid1(SALU_CYCLE_3)
	s_cvt_u32_f32 s50, s0
	s_mul_u64 s[54:55], s[52:53], s[50:51]
	s_delay_alu instid0(SALU_CYCLE_1)
	s_mul_hi_u32 s57, s50, s55
	s_mul_i32 s56, s50, s55
	s_mul_hi_u32 s0, s50, s54
	s_mul_i32 s58, s51, s54
	s_add_nc_u64 s[56:57], s[0:1], s[56:57]
	s_mul_hi_u32 s49, s51, s54
	s_mul_hi_u32 s59, s51, s55
	s_add_co_u32 s0, s56, s58
	s_add_co_ci_u32 s0, s57, s49
	s_mul_i32 s54, s51, s55
	s_add_co_ci_u32 s55, s59, 0
	s_delay_alu instid0(SALU_CYCLE_1) | instskip(NEXT) | instid1(SALU_CYCLE_1)
	s_add_nc_u64 s[54:55], s[0:1], s[54:55]
	s_add_co_u32 s50, s50, s54
	s_cselect_b32 s0, -1, 0
	s_delay_alu instid0(SALU_CYCLE_1) | instskip(SKIP_1) | instid1(SALU_CYCLE_1)
	s_cmp_lg_u32 s0, 0
	s_add_co_ci_u32 s51, s51, s55
	s_mul_u64 s[52:53], s[52:53], s[50:51]
	s_delay_alu instid0(SALU_CYCLE_1)
	s_mul_hi_u32 s55, s50, s53
	s_mul_i32 s54, s50, s53
	s_mul_hi_u32 s0, s50, s52
	s_mul_i32 s56, s51, s52
	s_add_nc_u64 s[54:55], s[0:1], s[54:55]
	s_mul_hi_u32 s49, s51, s52
	s_mul_hi_u32 s57, s51, s53
	s_add_co_u32 s0, s54, s56
	s_add_co_ci_u32 s0, s55, s49
	s_mul_i32 s52, s51, s53
	s_add_co_ci_u32 s53, s57, 0
	s_delay_alu instid0(SALU_CYCLE_1) | instskip(NEXT) | instid1(SALU_CYCLE_1)
	s_add_nc_u64 s[52:53], s[0:1], s[52:53]
	s_add_co_u32 s50, s50, s52
	s_cselect_b32 s0, -1, 0
	v_mul_hi_u32 v36, v28, s50
	s_cmp_lg_u32 s0, 0
	s_add_co_ci_u32 s0, s51, s53
	s_and_b64 s[52:53], s[50:51], s[38:39]
	v_mul_u64_e32 v[30:31], s[0:1], v[28:29]
	v_mul_u64_e32 v[26:27], s[52:53], v[32:33]
	v_mul_u64_e32 v[34:35], s[0:1], v[32:33]
	s_delay_alu instid0(VALU_DEP_3) | instskip(NEXT) | instid1(VALU_DEP_1)
	v_add_nc_u64_e32 v[30:31], v[36:37], v[30:31]
	v_add_co_u32 v19, vcc_lo, v30, v26
	s_delay_alu instid0(VALU_DEP_2) | instskip(NEXT) | instid1(VALU_DEP_4)
	v_add_co_ci_u32_e32 v36, vcc_lo, v31, v27, vcc_lo
	v_add_co_ci_u32_e32 v35, vcc_lo, 0, v35, vcc_lo
	s_delay_alu instid0(VALU_DEP_1) | instskip(NEXT) | instid1(VALU_DEP_1)
	v_add_nc_u64_e32 v[26:27], v[36:37], v[34:35]
	v_mul_u64_e32 v[26:27], s[42:43], v[26:27]
	s_delay_alu instid0(VALU_DEP_1) | instskip(NEXT) | instid1(VALU_DEP_2)
	v_sub_nc_u32_e32 v19, v32, v27
	v_sub_co_u32 v26, vcc_lo, v28, v26
	s_delay_alu instid0(VALU_DEP_1) | instskip(NEXT) | instid1(VALU_DEP_3)
	v_sub_co_ci_u32_e64 v27, null, v32, v27, vcc_lo
	v_subrev_co_ci_u32_e64 v19, null, s43, v19, vcc_lo
	s_delay_alu instid0(VALU_DEP_3) | instskip(SKIP_1) | instid1(VALU_DEP_3)
	v_sub_co_u32 v28, vcc_lo, v26, s42
	v_cmp_le_u32_e64 s0, s42, v26
	v_subrev_co_ci_u32_e64 v29, null, 0, v19, vcc_lo
	v_subrev_co_ci_u32_e64 v19, null, s43, v19, vcc_lo
	s_delay_alu instid0(VALU_DEP_3) | instskip(SKIP_2) | instid1(VALU_DEP_2)
	v_cndmask_b32_e64 v30, 0, -1, s0
	v_cmp_le_u32_e64 s0, s42, v28
	v_cmp_le_u32_e32 vcc_lo, s43, v27
	v_cndmask_b32_e64 v31, 0, -1, s0
	v_cmp_le_u32_e64 s0, s43, v29
	v_cndmask_b32_e64 v33, 0, -1, vcc_lo
	v_cmp_eq_u32_e32 vcc_lo, s43, v29
	s_delay_alu instid0(VALU_DEP_3) | instskip(SKIP_1) | instid1(VALU_DEP_1)
	v_cndmask_b32_e64 v32, 0, -1, s0
	v_cmp_eq_u32_e64 s0, s43, v27
	v_dual_cndmask_b32 v31, v32, v31, vcc_lo :: v_dual_cndmask_b32 v30, v33, v30, s0
	v_sub_co_u32 v32, vcc_lo, v28, s42
	s_delay_alu instid0(VALU_DEP_1) | instskip(NEXT) | instid1(VALU_DEP_3)
	v_subrev_co_ci_u32_e64 v19, null, 0, v19, vcc_lo
	v_cmp_ne_u32_e32 vcc_lo, 0, v31
	s_delay_alu instid0(VALU_DEP_2) | instskip(SKIP_1) | instid1(VALU_DEP_2)
	v_dual_cndmask_b32 v19, v29, v19 :: v_dual_cndmask_b32 v28, v28, v32
	v_cmp_ne_u32_e32 vcc_lo, 0, v30
	v_dual_cndmask_b32 v19, v27, v19 :: v_dual_cndmask_b32 v26, v26, v28
	s_delay_alu instid0(VALU_DEP_1) | instskip(NEXT) | instid1(VALU_DEP_2)
	v_xor_b32_e32 v27, v19, v10
	v_xor_b32_e32 v26, v26, v10
	s_delay_alu instid0(VALU_DEP_1)
	v_sub_nc_u64_e32 v[10:11], v[26:27], v[10:11]
                                        ; implicit-def: $vgpr26_vgpr27
.LBB28_28:                              ;   in Loop: Header=BB28_11 Depth=1
	s_and_not1_saveexec_b32 s0, s41
	s_cbranch_execz .LBB28_9
; %bb.29:                               ;   in Loop: Header=BB28_11 Depth=1
	v_cvt_f32_u32_e32 v10, s2
	s_sub_co_i32 s41, 0, s2
	s_delay_alu instid0(VALU_DEP_1) | instskip(SKIP_1) | instid1(TRANS32_DEP_1)
	v_rcp_iflag_f32_e32 v10, v10
	v_nop
	v_mul_f32_e32 v10, 0x4f7ffffe, v10
	s_delay_alu instid0(VALU_DEP_1) | instskip(NEXT) | instid1(VALU_DEP_1)
	v_cvt_u32_f32_e32 v10, v10
	v_mul_lo_u32 v11, s41, v10
	s_delay_alu instid0(VALU_DEP_1) | instskip(NEXT) | instid1(VALU_DEP_1)
	v_mul_hi_u32 v11, v10, v11
	v_add_nc_u32_e32 v10, v10, v11
	s_delay_alu instid0(VALU_DEP_1) | instskip(NEXT) | instid1(VALU_DEP_1)
	v_mul_hi_u32 v10, v26, v10
	v_mul_lo_u32 v10, v10, s2
	s_delay_alu instid0(VALU_DEP_1) | instskip(NEXT) | instid1(VALU_DEP_1)
	v_sub_nc_u32_e32 v10, v26, v10
	v_subrev_nc_u32_e32 v11, s2, v10
	v_cmp_le_u32_e32 vcc_lo, s2, v10
	s_delay_alu instid0(VALU_DEP_2) | instskip(NEXT) | instid1(VALU_DEP_1)
	v_cndmask_b32_e32 v10, v10, v11, vcc_lo
	v_subrev_nc_u32_e32 v11, s2, v10
	v_cmp_le_u32_e32 vcc_lo, s2, v10
	s_delay_alu instid0(VALU_DEP_2)
	v_cndmask_b32_e32 v10, v10, v11, vcc_lo
	v_mov_b32_e32 v11, v18
	s_branch .LBB28_9
.LBB28_30:
	s_or_b32 exec_lo, exec_lo, s47
	v_mad_nc_u64_u32 v[2:3], v14, s16, v[2:3]
	v_cmp_ne_u64_e32 vcc_lo, v[12:13], v[14:15]
	v_mov_b64_e32 v[6:7], s[28:29]
	v_mov_b64_e32 v[4:5], s[22:23]
	s_and_b32 s0, vcc_lo, exec_lo
	s_delay_alu instid0(VALU_DEP_4) | instskip(NEXT) | instid1(VALU_DEP_1)
	v_mad_u32 v0, v15, s16, v3
	v_mad_u32 v3, v14, s17, v0
	s_and_not1_saveexec_b32 s1, s44
	s_cbranch_execz .LBB28_7
.LBB28_31:
	s_lshl_b64 s[18:19], s[16:17], 2
	v_mov_b64_e32 v[4:5], s[22:23]
	v_mov_b64_e32 v[6:7], s[18:19]
	s_or_b32 s0, s0, exec_lo
	s_or_b32 exec_lo, exec_lo, s1
	s_delay_alu instid0(SALU_CYCLE_1)
	s_and_b32 exec_lo, exec_lo, s0
	s_cbranch_execz .LBB28_44
.LBB28_32:
	v_cvt_f32_u32_e32 v0, s12
	s_sub_co_i32 s0, 0, s12
	s_sub_nc_u64 s[10:11], 0, s[10:11]
	s_mov_b32 s1, 0
	s_mov_b64 s[18:19], 0xffffffff
	v_rcp_iflag_f32_e32 v0, v0
	s_ashr_i32 s20, s3, 31
	s_sub_co_i32 s24, 0, s2
	s_mov_b32 s25, 0
	v_nop
	s_delay_alu instid0(TRANS32_DEP_1) | instskip(NEXT) | instid1(VALU_DEP_1)
	v_mul_f32_e32 v0, 0x4f7ffffe, v0
	v_cvt_u32_f32_e32 v9, v0
	s_delay_alu instid0(VALU_DEP_1) | instskip(NEXT) | instid1(VALU_DEP_1)
	v_mul_lo_u32 v0, s0, v9
	v_mul_hi_u32 v10, v9, v0
	v_lshl_add_u64 v[0:1], v[2:3], 2, s[6:7]
	v_mov_b32_e32 v8, 0
	s_ashr_i32 s6, s13, 31
	s_delay_alu instid0(VALU_DEP_3)
	v_add_nc_u32_e32 v16, v9, v10
	s_branch .LBB28_35
.LBB28_33:                              ;   in Loop: Header=BB28_35 Depth=1
	s_or_b32 exec_lo, exec_lo, s0
	s_delay_alu instid0(VALU_DEP_1) | instskip(NEXT) | instid1(VALU_DEP_1)
	v_ashrrev_i32_e32 v9, 31, v15
	v_and_b32_e32 v13, s3, v9
	v_and_b32_e32 v12, s2, v9
	s_delay_alu instid0(VALU_DEP_1) | instskip(NEXT) | instid1(VALU_DEP_1)
	v_add_nc_u64_e32 v[12:13], v[12:13], v[14:15]
	v_sub_nc_u64_e32 v[14:15], s[2:3], v[12:13]
	v_cmp_gt_i64_e32 vcc_lo, s[8:9], v[12:13]
	s_delay_alu instid0(VALU_DEP_2)
	v_dual_cndmask_b32 v13, v15, v13 :: v_dual_cndmask_b32 v12, v14, v12
.LBB28_34:                              ;   in Loop: Header=BB28_35 Depth=1
	v_mul_u64_e32 v[10:11], s[8:9], v[10:11]
	v_add_nc_u64_e32 v[2:3], s[16:17], v[2:3]
	s_delay_alu instid0(VALU_DEP_1) | instskip(SKIP_1) | instid1(VALU_DEP_3)
	v_cmp_le_i64_e32 vcc_lo, s[14:15], v[2:3]
	s_or_b32 s25, vcc_lo, s25
	v_lshl_add_u64 v[10:11], v[10:11], 2, s[4:5]
	s_delay_alu instid0(VALU_DEP_1)
	v_lshl_add_u64 v[10:11], v[12:13], 2, v[10:11]
	global_load_b32 v9, v[10:11], off
	s_wait_loadcnt 0x0
	global_store_b32 v[0:1], v9, off
	s_wait_xcnt 0x0
	v_add_nc_u64_e32 v[0:1], v[0:1], v[6:7]
	s_and_not1_b32 exec_lo, exec_lo, s25
	s_cbranch_execz .LBB28_44
.LBB28_35:                              ; =>This Inner Loop Header: Depth=1
	v_or_b32_e32 v9, s13, v3
                                        ; implicit-def: $vgpr10_vgpr11
	s_mov_b32 s0, exec_lo
	s_delay_alu instid0(VALU_DEP_1)
	v_cmpx_ne_u64_e32 0, v[8:9]
	s_xor_b32 s21, exec_lo, s0
	s_cbranch_execnz .LBB28_38
; %bb.36:                               ;   in Loop: Header=BB28_35 Depth=1
	s_and_not1_saveexec_b32 s0, s21
	s_cbranch_execnz .LBB28_39
.LBB28_37:                              ;   in Loop: Header=BB28_35 Depth=1
	s_or_b32 exec_lo, exec_lo, s0
	v_mov_b64_e32 v[12:13], 0
	s_and_not1_b32 vcc_lo, exec_lo, s33
	s_cbranch_vccnz .LBB28_34
	s_branch .LBB28_40
.LBB28_38:                              ;   in Loop: Header=BB28_35 Depth=1
	s_mov_b32 s7, s6
	v_dual_mov_b32 v15, v8 :: v_dual_ashrrev_i32 v10, 31, v3
	s_add_nc_u64 s[22:23], s[12:13], s[6:7]
	v_mov_b32_e32 v25, v8
	s_xor_b64 s[22:23], s[22:23], s[6:7]
	s_delay_alu instid0(VALU_DEP_2) | instskip(SKIP_3) | instid1(VALU_DEP_1)
	v_mov_b32_e32 v11, v10
	s_cvt_f32_u32 s0, s22
	s_cvt_f32_u32 s7, s23
	s_sub_nc_u64 s[28:29], 0, s[22:23]
	v_add_nc_u64_e32 v[12:13], v[2:3], v[10:11]
	s_delay_alu instid0(SALU_CYCLE_1) | instskip(SKIP_1) | instid1(SALU_CYCLE_2)
	s_fmamk_f32 s0, s7, 0x4f800000, s0
	v_mov_b32_e32 v21, v8
	v_s_rcp_f32 s0, s0
	s_delay_alu instid0(VALU_DEP_2) | instskip(NEXT) | instid1(VALU_DEP_3)
	v_xor_b32_e32 v14, v12, v10
	v_xor_b32_e32 v20, v13, v10
	;; [unrolled: 1-line block ×3, first 2 shown]
	s_delay_alu instid0(TRANS32_DEP_1) | instskip(NEXT) | instid1(SALU_CYCLE_3)
	s_mul_f32 s0, s0, 0x5f7ffffc
	s_mul_f32 s7, s0, 0x2f800000
	s_delay_alu instid0(SALU_CYCLE_3) | instskip(NEXT) | instid1(SALU_CYCLE_3)
	s_trunc_f32 s7, s7
	s_fmamk_f32 s0, s7, 0xcf800000, s0
	s_cvt_u32_f32 s27, s7
	s_delay_alu instid0(SALU_CYCLE_2) | instskip(NEXT) | instid1(SALU_CYCLE_3)
	s_cvt_u32_f32 s26, s0
	s_mul_u64 s[30:31], s[28:29], s[26:27]
	s_delay_alu instid0(SALU_CYCLE_1)
	s_mul_hi_u32 s35, s26, s31
	s_mul_i32 s34, s26, s31
	s_mul_hi_u32 s0, s26, s30
	s_mul_i32 s36, s27, s30
	s_add_nc_u64 s[34:35], s[0:1], s[34:35]
	s_mul_hi_u32 s7, s27, s30
	s_mul_hi_u32 s37, s27, s31
	s_add_co_u32 s0, s34, s36
	s_add_co_ci_u32 s0, s35, s7
	s_mul_i32 s30, s27, s31
	s_add_co_ci_u32 s31, s37, 0
	s_delay_alu instid0(SALU_CYCLE_1) | instskip(NEXT) | instid1(SALU_CYCLE_1)
	s_add_nc_u64 s[30:31], s[0:1], s[30:31]
	s_add_co_u32 s26, s26, s30
	s_cselect_b32 s0, -1, 0
	s_delay_alu instid0(SALU_CYCLE_1) | instskip(SKIP_1) | instid1(SALU_CYCLE_1)
	s_cmp_lg_u32 s0, 0
	s_add_co_ci_u32 s27, s27, s31
	s_mul_u64 s[28:29], s[28:29], s[26:27]
	s_delay_alu instid0(SALU_CYCLE_1)
	s_mul_hi_u32 s31, s26, s29
	s_mul_i32 s30, s26, s29
	s_mul_hi_u32 s0, s26, s28
	s_mul_i32 s34, s27, s28
	s_add_nc_u64 s[30:31], s[0:1], s[30:31]
	s_mul_hi_u32 s7, s27, s28
	s_mul_hi_u32 s35, s27, s29
	s_add_co_u32 s0, s30, s34
	s_add_co_ci_u32 s0, s31, s7
	s_mul_i32 s28, s27, s29
	s_add_co_ci_u32 s29, s35, 0
	s_delay_alu instid0(SALU_CYCLE_1) | instskip(NEXT) | instid1(SALU_CYCLE_1)
	s_add_nc_u64 s[28:29], s[0:1], s[28:29]
	s_add_co_u32 s26, s26, s28
	s_cselect_b32 s0, -1, 0
	v_mul_hi_u32 v24, v14, s26
	s_cmp_lg_u32 s0, 0
	s_add_co_ci_u32 s0, s27, s29
	s_and_b64 s[28:29], s[26:27], s[18:19]
	v_mul_u64_e32 v[18:19], s[0:1], v[14:15]
	v_mul_u64_e32 v[12:13], s[28:29], v[20:21]
	;; [unrolled: 1-line block ×3, first 2 shown]
	s_delay_alu instid0(VALU_DEP_3) | instskip(NEXT) | instid1(VALU_DEP_1)
	v_add_nc_u64_e32 v[18:19], v[24:25], v[18:19]
	v_add_co_u32 v9, vcc_lo, v18, v12
	s_delay_alu instid0(VALU_DEP_2) | instskip(NEXT) | instid1(VALU_DEP_4)
	v_add_co_ci_u32_e32 v24, vcc_lo, v19, v13, vcc_lo
	v_add_co_ci_u32_e32 v23, vcc_lo, 0, v23, vcc_lo
	s_delay_alu instid0(VALU_DEP_1) | instskip(NEXT) | instid1(VALU_DEP_1)
	v_add_nc_u64_e32 v[12:13], v[24:25], v[22:23]
	v_mul_u64_e32 v[18:19], s[22:23], v[12:13]
	s_delay_alu instid0(VALU_DEP_1) | instskip(NEXT) | instid1(VALU_DEP_2)
	v_sub_nc_u32_e32 v9, v20, v19
	v_sub_co_u32 v11, vcc_lo, v14, v18
	s_delay_alu instid0(VALU_DEP_1) | instskip(NEXT) | instid1(VALU_DEP_3)
	v_sub_co_ci_u32_e64 v17, null, v20, v19, vcc_lo
	v_subrev_co_ci_u32_e64 v9, null, s23, v9, vcc_lo
	s_delay_alu instid0(VALU_DEP_3) | instskip(SKIP_1) | instid1(VALU_DEP_3)
	v_sub_co_u32 v14, s0, v11, s22
	v_add_nc_u64_e32 v[18:19], 1, v[12:13]
	v_subrev_co_ci_u32_e64 v9, null, 0, v9, s0
	s_delay_alu instid0(VALU_DEP_3) | instskip(SKIP_1) | instid1(VALU_DEP_3)
	v_cmp_le_u32_e32 vcc_lo, s22, v14
	v_cndmask_b32_e64 v14, 0, -1, vcc_lo
	v_cmp_le_u32_e32 vcc_lo, s23, v9
	v_cndmask_b32_e64 v15, 0, -1, vcc_lo
	;; [unrolled: 2-line block ×4, first 2 shown]
	v_cmp_eq_u32_e32 vcc_lo, s23, v9
	v_cndmask_b32_e32 v9, v15, v14, vcc_lo
	v_cmp_eq_u32_e32 vcc_lo, s23, v17
	v_add_nc_u64_e32 v[14:15], 2, v[12:13]
	v_cndmask_b32_e32 v11, v20, v11, vcc_lo
	s_delay_alu instid0(VALU_DEP_4) | instskip(NEXT) | instid1(VALU_DEP_2)
	v_cmp_ne_u32_e32 vcc_lo, 0, v9
	v_cmp_ne_u32_e64 s0, 0, v11
	s_delay_alu instid0(VALU_DEP_4) | instskip(NEXT) | instid1(VALU_DEP_1)
	v_dual_cndmask_b32 v9, v19, v15, vcc_lo :: v_dual_cndmask_b32 v11, v18, v14, vcc_lo
	v_dual_cndmask_b32 v12, v12, v11, s0 :: v_dual_mov_b32 v11, v10
	s_delay_alu instid0(VALU_DEP_1) | instskip(NEXT) | instid1(VALU_DEP_1)
	v_dual_cndmask_b32 v9, v13, v9, s0 :: v_dual_bitop2_b32 v12, v12, v10 bitop3:0x14
	v_xor_b32_e32 v13, v9, v10
	s_delay_alu instid0(VALU_DEP_1)
	v_sub_nc_u64_e32 v[10:11], v[12:13], v[10:11]
	s_and_not1_saveexec_b32 s0, s21
	s_cbranch_execz .LBB28_37
.LBB28_39:                              ;   in Loop: Header=BB28_35 Depth=1
	v_mul_hi_u32 v9, v2, v16
	s_delay_alu instid0(VALU_DEP_1) | instskip(NEXT) | instid1(VALU_DEP_1)
	v_mul_lo_u32 v10, v9, s12
	v_dual_add_nc_u32 v11, 1, v9 :: v_dual_sub_nc_u32 v10, v2, v10
	s_delay_alu instid0(VALU_DEP_1) | instskip(SKIP_1) | instid1(VALU_DEP_2)
	v_subrev_nc_u32_e32 v12, s12, v10
	v_cmp_le_u32_e32 vcc_lo, s12, v10
	v_dual_cndmask_b32 v10, v10, v12 :: v_dual_cndmask_b32 v9, v9, v11
	s_delay_alu instid0(VALU_DEP_1) | instskip(NEXT) | instid1(VALU_DEP_2)
	v_cmp_le_u32_e32 vcc_lo, s12, v10
	v_add_nc_u32_e32 v11, 1, v9
	s_delay_alu instid0(VALU_DEP_1)
	v_dual_cndmask_b32 v10, v9, v11 :: v_dual_mov_b32 v11, v8
	s_or_b32 exec_lo, exec_lo, s0
	v_mov_b64_e32 v[12:13], 0
	s_and_not1_b32 vcc_lo, exec_lo, s33
	s_cbranch_vccnz .LBB28_34
.LBB28_40:                              ;   in Loop: Header=BB28_35 Depth=1
	v_add_nc_u64_e32 v[12:13], s[10:11], v[2:3]
                                        ; implicit-def: $vgpr14_vgpr15
	s_mov_b32 s0, exec_lo
	s_delay_alu instid0(VALU_DEP_1) | instskip(NEXT) | instid1(VALU_DEP_1)
	v_mad_nc_u64_u32 v[12:13], v4, v10, v[12:13]
	v_mad_u32 v9, v5, v10, v13
	s_delay_alu instid0(VALU_DEP_1) | instskip(NEXT) | instid1(VALU_DEP_1)
	v_mad_u32 v13, v4, v11, v9
	v_or_b32_e32 v9, s3, v13
	s_delay_alu instid0(VALU_DEP_1)
	v_cmpx_ne_u64_e32 0, v[8:9]
	s_xor_b32 s7, exec_lo, s0
	s_cbranch_execz .LBB28_42
; %bb.41:                               ;   in Loop: Header=BB28_35 Depth=1
	s_mov_b32 s21, s20
	v_dual_mov_b32 v19, v8 :: v_dual_ashrrev_i32 v14, 31, v13
	s_add_nc_u64 s[22:23], s[2:3], s[20:21]
	s_delay_alu instid0(SALU_CYCLE_1) | instskip(NEXT) | instid1(VALU_DEP_1)
	s_xor_b64 s[22:23], s[22:23], s[20:21]
	v_mov_b32_e32 v15, v14
	s_cvt_f32_u32 s0, s22
	s_cvt_f32_u32 s21, s23
	s_sub_nc_u64 s[28:29], 0, s[22:23]
	s_delay_alu instid0(VALU_DEP_1) | instskip(NEXT) | instid1(SALU_CYCLE_1)
	v_add_nc_u64_e32 v[12:13], v[12:13], v[14:15]
	s_fmamk_f32 s0, s21, 0x4f800000, s0
	v_mov_b32_e32 v23, v8
	s_delay_alu instid0(SALU_CYCLE_2) | instskip(NEXT) | instid1(VALU_DEP_2)
	v_s_rcp_f32 s0, s0
	v_xor_b32_e32 v18, v12, v14
	s_delay_alu instid0(VALU_DEP_3) | instskip(NEXT) | instid1(TRANS32_DEP_1)
	v_dual_mov_b32 v27, v8 :: v_dual_bitop2_b32 v22, v13, v14 bitop3:0x14
	s_mul_f32 s0, s0, 0x5f7ffffc
	s_delay_alu instid0(SALU_CYCLE_3) | instskip(NEXT) | instid1(SALU_CYCLE_3)
	s_mul_f32 s21, s0, 0x2f800000
	s_trunc_f32 s21, s21
	s_delay_alu instid0(SALU_CYCLE_3) | instskip(SKIP_1) | instid1(SALU_CYCLE_2)
	s_fmamk_f32 s0, s21, 0xcf800000, s0
	s_cvt_u32_f32 s27, s21
	s_cvt_u32_f32 s26, s0
	s_delay_alu instid0(SALU_CYCLE_3) | instskip(NEXT) | instid1(SALU_CYCLE_1)
	s_mul_u64 s[30:31], s[28:29], s[26:27]
	s_mul_hi_u32 s35, s26, s31
	s_mul_i32 s34, s26, s31
	s_mul_hi_u32 s0, s26, s30
	s_mul_i32 s36, s27, s30
	s_add_nc_u64 s[34:35], s[0:1], s[34:35]
	s_mul_hi_u32 s21, s27, s30
	s_mul_hi_u32 s37, s27, s31
	s_add_co_u32 s0, s34, s36
	s_add_co_ci_u32 s0, s35, s21
	s_mul_i32 s30, s27, s31
	s_add_co_ci_u32 s31, s37, 0
	s_delay_alu instid0(SALU_CYCLE_1) | instskip(NEXT) | instid1(SALU_CYCLE_1)
	s_add_nc_u64 s[30:31], s[0:1], s[30:31]
	s_add_co_u32 s26, s26, s30
	s_cselect_b32 s0, -1, 0
	s_delay_alu instid0(SALU_CYCLE_1) | instskip(SKIP_1) | instid1(SALU_CYCLE_1)
	s_cmp_lg_u32 s0, 0
	s_add_co_ci_u32 s27, s27, s31
	s_mul_u64 s[28:29], s[28:29], s[26:27]
	s_delay_alu instid0(SALU_CYCLE_1)
	s_mul_hi_u32 s31, s26, s29
	s_mul_i32 s30, s26, s29
	s_mul_hi_u32 s0, s26, s28
	s_mul_i32 s34, s27, s28
	s_add_nc_u64 s[30:31], s[0:1], s[30:31]
	s_mul_hi_u32 s21, s27, s28
	s_mul_hi_u32 s35, s27, s29
	s_add_co_u32 s0, s30, s34
	s_add_co_ci_u32 s0, s31, s21
	s_mul_i32 s28, s27, s29
	s_add_co_ci_u32 s29, s35, 0
	s_delay_alu instid0(SALU_CYCLE_1) | instskip(NEXT) | instid1(SALU_CYCLE_1)
	s_add_nc_u64 s[28:29], s[0:1], s[28:29]
	s_add_co_u32 s26, s26, s28
	s_cselect_b32 s0, -1, 0
	v_mul_hi_u32 v26, v18, s26
	s_cmp_lg_u32 s0, 0
	s_add_co_ci_u32 s0, s27, s29
	s_and_b64 s[28:29], s[26:27], s[18:19]
	v_mul_u64_e32 v[20:21], s[0:1], v[18:19]
	v_mul_u64_e32 v[12:13], s[28:29], v[22:23]
	;; [unrolled: 1-line block ×3, first 2 shown]
	s_delay_alu instid0(VALU_DEP_3) | instskip(NEXT) | instid1(VALU_DEP_1)
	v_add_nc_u64_e32 v[20:21], v[26:27], v[20:21]
	v_add_co_u32 v9, vcc_lo, v20, v12
	s_delay_alu instid0(VALU_DEP_2) | instskip(NEXT) | instid1(VALU_DEP_4)
	v_add_co_ci_u32_e32 v26, vcc_lo, v21, v13, vcc_lo
	v_add_co_ci_u32_e32 v25, vcc_lo, 0, v25, vcc_lo
	s_delay_alu instid0(VALU_DEP_1) | instskip(NEXT) | instid1(VALU_DEP_1)
	v_add_nc_u64_e32 v[12:13], v[26:27], v[24:25]
	v_mul_u64_e32 v[12:13], s[22:23], v[12:13]
	s_delay_alu instid0(VALU_DEP_1) | instskip(NEXT) | instid1(VALU_DEP_2)
	v_sub_nc_u32_e32 v9, v22, v13
	v_sub_co_u32 v12, vcc_lo, v18, v12
	s_delay_alu instid0(VALU_DEP_1) | instskip(NEXT) | instid1(VALU_DEP_3)
	v_sub_co_ci_u32_e64 v13, null, v22, v13, vcc_lo
	v_subrev_co_ci_u32_e64 v9, null, s23, v9, vcc_lo
	s_delay_alu instid0(VALU_DEP_3) | instskip(SKIP_1) | instid1(VALU_DEP_3)
	v_sub_co_u32 v17, vcc_lo, v12, s22
	v_cmp_le_u32_e64 s0, s22, v12
	v_subrev_co_ci_u32_e64 v18, null, 0, v9, vcc_lo
	v_subrev_co_ci_u32_e64 v9, null, s23, v9, vcc_lo
	s_delay_alu instid0(VALU_DEP_3) | instskip(SKIP_2) | instid1(VALU_DEP_2)
	v_cndmask_b32_e64 v19, 0, -1, s0
	v_cmp_le_u32_e64 s0, s22, v17
	v_cmp_le_u32_e32 vcc_lo, s23, v13
	v_cndmask_b32_e64 v20, 0, -1, s0
	v_cmp_le_u32_e64 s0, s23, v18
	v_cndmask_b32_e64 v22, 0, -1, vcc_lo
	v_cmp_eq_u32_e32 vcc_lo, s23, v18
	s_delay_alu instid0(VALU_DEP_3) | instskip(SKIP_1) | instid1(VALU_DEP_1)
	v_cndmask_b32_e64 v21, 0, -1, s0
	v_cmp_eq_u32_e64 s0, s23, v13
	v_dual_cndmask_b32 v20, v21, v20, vcc_lo :: v_dual_cndmask_b32 v19, v22, v19, s0
	v_sub_co_u32 v21, vcc_lo, v17, s22
	s_delay_alu instid0(VALU_DEP_1) | instskip(NEXT) | instid1(VALU_DEP_3)
	v_subrev_co_ci_u32_e64 v9, null, 0, v9, vcc_lo
	v_cmp_ne_u32_e32 vcc_lo, 0, v20
	s_delay_alu instid0(VALU_DEP_2) | instskip(NEXT) | instid1(VALU_DEP_4)
	v_cndmask_b32_e32 v9, v18, v9, vcc_lo
	v_cndmask_b32_e32 v17, v17, v21, vcc_lo
	v_cmp_ne_u32_e32 vcc_lo, 0, v19
	s_delay_alu instid0(VALU_DEP_2) | instskip(NEXT) | instid1(VALU_DEP_1)
	v_cndmask_b32_e32 v12, v12, v17, vcc_lo
	v_dual_cndmask_b32 v9, v13, v9, vcc_lo :: v_dual_bitop2_b32 v12, v12, v14 bitop3:0x14
	s_delay_alu instid0(VALU_DEP_1) | instskip(NEXT) | instid1(VALU_DEP_1)
	v_xor_b32_e32 v13, v9, v14
	v_sub_nc_u64_e32 v[14:15], v[12:13], v[14:15]
                                        ; implicit-def: $vgpr12_vgpr13
.LBB28_42:                              ;   in Loop: Header=BB28_35 Depth=1
	s_and_not1_saveexec_b32 s0, s7
	s_cbranch_execz .LBB28_33
; %bb.43:                               ;   in Loop: Header=BB28_35 Depth=1
	v_cvt_f32_u32_e32 v9, s2
	v_mov_b32_e32 v15, v8
	s_delay_alu instid0(VALU_DEP_2) | instskip(SKIP_1) | instid1(TRANS32_DEP_1)
	v_rcp_iflag_f32_e32 v9, v9
	v_nop
	v_mul_f32_e32 v9, 0x4f7ffffe, v9
	s_delay_alu instid0(VALU_DEP_1) | instskip(NEXT) | instid1(VALU_DEP_1)
	v_cvt_u32_f32_e32 v9, v9
	v_mul_lo_u32 v13, s24, v9
	s_delay_alu instid0(VALU_DEP_1) | instskip(NEXT) | instid1(VALU_DEP_1)
	v_mul_hi_u32 v13, v9, v13
	v_add_nc_u32_e32 v9, v9, v13
	s_delay_alu instid0(VALU_DEP_1) | instskip(NEXT) | instid1(VALU_DEP_1)
	v_mul_hi_u32 v9, v12, v9
	v_mul_lo_u32 v9, v9, s2
	s_delay_alu instid0(VALU_DEP_1) | instskip(NEXT) | instid1(VALU_DEP_1)
	v_sub_nc_u32_e32 v9, v12, v9
	v_subrev_nc_u32_e32 v12, s2, v9
	v_cmp_le_u32_e32 vcc_lo, s2, v9
	s_delay_alu instid0(VALU_DEP_2) | instskip(NEXT) | instid1(VALU_DEP_1)
	v_cndmask_b32_e32 v9, v9, v12, vcc_lo
	v_subrev_nc_u32_e32 v12, s2, v9
	v_cmp_le_u32_e32 vcc_lo, s2, v9
	s_delay_alu instid0(VALU_DEP_2)
	v_cndmask_b32_e32 v14, v9, v12, vcc_lo
	s_branch .LBB28_33
.LBB28_44:
	s_endpgm
	.section	.rodata,"a",@progbits
	.p2align	6, 0x0
	.amdhsa_kernel _ZN2at6native12_GLOBAL__N_121reflection_pad1d_flatIiEEvPKT_PS3_lllll
		.amdhsa_group_segment_fixed_size 0
		.amdhsa_private_segment_fixed_size 0
		.amdhsa_kernarg_size 312
		.amdhsa_user_sgpr_count 2
		.amdhsa_user_sgpr_dispatch_ptr 0
		.amdhsa_user_sgpr_queue_ptr 0
		.amdhsa_user_sgpr_kernarg_segment_ptr 1
		.amdhsa_user_sgpr_dispatch_id 0
		.amdhsa_user_sgpr_kernarg_preload_length 0
		.amdhsa_user_sgpr_kernarg_preload_offset 0
		.amdhsa_user_sgpr_private_segment_size 0
		.amdhsa_wavefront_size32 1
		.amdhsa_uses_dynamic_stack 0
		.amdhsa_enable_private_segment 0
		.amdhsa_system_sgpr_workgroup_id_x 1
		.amdhsa_system_sgpr_workgroup_id_y 0
		.amdhsa_system_sgpr_workgroup_id_z 0
		.amdhsa_system_sgpr_workgroup_info 0
		.amdhsa_system_vgpr_workitem_id 0
		.amdhsa_next_free_vgpr 38
		.amdhsa_next_free_sgpr 60
		.amdhsa_named_barrier_count 0
		.amdhsa_reserve_vcc 1
		.amdhsa_float_round_mode_32 0
		.amdhsa_float_round_mode_16_64 0
		.amdhsa_float_denorm_mode_32 3
		.amdhsa_float_denorm_mode_16_64 3
		.amdhsa_fp16_overflow 0
		.amdhsa_memory_ordered 1
		.amdhsa_forward_progress 1
		.amdhsa_inst_pref_size 49
		.amdhsa_round_robin_scheduling 0
		.amdhsa_exception_fp_ieee_invalid_op 0
		.amdhsa_exception_fp_denorm_src 0
		.amdhsa_exception_fp_ieee_div_zero 0
		.amdhsa_exception_fp_ieee_overflow 0
		.amdhsa_exception_fp_ieee_underflow 0
		.amdhsa_exception_fp_ieee_inexact 0
		.amdhsa_exception_int_div_zero 0
	.end_amdhsa_kernel
	.section	.text._ZN2at6native12_GLOBAL__N_121reflection_pad1d_flatIiEEvPKT_PS3_lllll,"axG",@progbits,_ZN2at6native12_GLOBAL__N_121reflection_pad1d_flatIiEEvPKT_PS3_lllll,comdat
.Lfunc_end28:
	.size	_ZN2at6native12_GLOBAL__N_121reflection_pad1d_flatIiEEvPKT_PS3_lllll, .Lfunc_end28-_ZN2at6native12_GLOBAL__N_121reflection_pad1d_flatIiEEvPKT_PS3_lllll
                                        ; -- End function
	.set _ZN2at6native12_GLOBAL__N_121reflection_pad1d_flatIiEEvPKT_PS3_lllll.num_vgpr, 38
	.set _ZN2at6native12_GLOBAL__N_121reflection_pad1d_flatIiEEvPKT_PS3_lllll.num_agpr, 0
	.set _ZN2at6native12_GLOBAL__N_121reflection_pad1d_flatIiEEvPKT_PS3_lllll.numbered_sgpr, 60
	.set _ZN2at6native12_GLOBAL__N_121reflection_pad1d_flatIiEEvPKT_PS3_lllll.num_named_barrier, 0
	.set _ZN2at6native12_GLOBAL__N_121reflection_pad1d_flatIiEEvPKT_PS3_lllll.private_seg_size, 0
	.set _ZN2at6native12_GLOBAL__N_121reflection_pad1d_flatIiEEvPKT_PS3_lllll.uses_vcc, 1
	.set _ZN2at6native12_GLOBAL__N_121reflection_pad1d_flatIiEEvPKT_PS3_lllll.uses_flat_scratch, 0
	.set _ZN2at6native12_GLOBAL__N_121reflection_pad1d_flatIiEEvPKT_PS3_lllll.has_dyn_sized_stack, 0
	.set _ZN2at6native12_GLOBAL__N_121reflection_pad1d_flatIiEEvPKT_PS3_lllll.has_recursion, 0
	.set _ZN2at6native12_GLOBAL__N_121reflection_pad1d_flatIiEEvPKT_PS3_lllll.has_indirect_call, 0
	.section	.AMDGPU.csdata,"",@progbits
; Kernel info:
; codeLenInByte = 6268
; TotalNumSgprs: 62
; NumVgprs: 38
; ScratchSize: 0
; MemoryBound: 0
; FloatMode: 240
; IeeeMode: 1
; LDSByteSize: 0 bytes/workgroup (compile time only)
; SGPRBlocks: 0
; VGPRBlocks: 2
; NumSGPRsForWavesPerEU: 62
; NumVGPRsForWavesPerEU: 38
; NamedBarCnt: 0
; Occupancy: 16
; WaveLimiterHint : 0
; COMPUTE_PGM_RSRC2:SCRATCH_EN: 0
; COMPUTE_PGM_RSRC2:USER_SGPR: 2
; COMPUTE_PGM_RSRC2:TRAP_HANDLER: 0
; COMPUTE_PGM_RSRC2:TGID_X_EN: 1
; COMPUTE_PGM_RSRC2:TGID_Y_EN: 0
; COMPUTE_PGM_RSRC2:TGID_Z_EN: 0
; COMPUTE_PGM_RSRC2:TIDIG_COMP_CNT: 0
	.section	.text._ZN2at6native12_GLOBAL__N_127reflection_pad1d_out_kernelIlEEvPKT_PS3_lll,"axG",@progbits,_ZN2at6native12_GLOBAL__N_127reflection_pad1d_out_kernelIlEEvPKT_PS3_lll,comdat
	.globl	_ZN2at6native12_GLOBAL__N_127reflection_pad1d_out_kernelIlEEvPKT_PS3_lll ; -- Begin function _ZN2at6native12_GLOBAL__N_127reflection_pad1d_out_kernelIlEEvPKT_PS3_lll
	.p2align	8
	.type	_ZN2at6native12_GLOBAL__N_127reflection_pad1d_out_kernelIlEEvPKT_PS3_lll,@function
_ZN2at6native12_GLOBAL__N_127reflection_pad1d_out_kernelIlEEvPKT_PS3_lll: ; @_ZN2at6native12_GLOBAL__N_127reflection_pad1d_out_kernelIlEEvPKT_PS3_lll
; %bb.0:
	s_clause 0x2
	s_load_b32 s13, s[0:1], 0x34
	s_load_b64 s[2:3], s[0:1], 0x20
	s_load_b256 s[4:11], s[0:1], 0x0
	s_bfe_u32 s12, ttmp6, 0x4000c
	s_and_b32 s14, ttmp6, 15
	s_add_co_i32 s15, s12, 1
	s_getreg_b32 s12, hwreg(HW_REG_IB_STS2, 6, 4)
	s_mul_i32 s15, ttmp9, s15
	v_mov_b32_e32 v1, 0
	s_add_co_i32 s14, s14, s15
	s_mov_b32 s16, exec_lo
	s_wait_kmcnt 0x0
	s_and_b32 s13, s13, 0xffff
	s_cmp_eq_u32 s12, 0
	s_cselect_b32 s14, ttmp9, s14
	s_delay_alu instid0(SALU_CYCLE_1)
	v_mad_nc_u64_u32 v[0:1], s13, s14, v[0:1]
	s_add_nc_u64 s[14:15], s[10:11], s[8:9]
	s_mov_b32 s13, 0
	s_add_nc_u64 s[2:3], s[14:15], s[2:3]
	s_delay_alu instid0(VALU_DEP_1) | instid1(SALU_CYCLE_1)
	v_cmpx_gt_i64_e64 s[2:3], v[0:1]
	s_cbranch_execz .LBB29_2
; %bb.1:
	v_sub_nc_u64_e64 v[2:3], v[0:1], s[14:15]
	v_max_i64 v[4:5], s[10:11], 0
	s_sub_nc_u64 s[16:17], 0, s[10:11]
	v_sub_nc_u64_e64 v[8:9], v[0:1], s[10:11]
	s_add_nc_u64 s[10:11], s[14:15], s[10:11]
	s_add_nc_u64 s[0:1], s[0:1], 40
	s_lshr_b32 s14, ttmp7, 16
	v_add_nc_u64_e32 v[6:7], 1, v[2:3]
	v_not_b32_e32 v3, v3
	v_not_b32_e32 v2, v2
	v_sub_nc_u64_e32 v[10:11], 0, v[8:9]
	s_load_b32 s0, s[0:1], 0x4
	s_wait_xcnt 0x0
	s_bfe_u32 s1, ttmp6, 0x40010
	s_bfe_u32 s15, ttmp6, 0x40004
	v_max_i64 v[2:3], v[6:7], v[2:3]
	v_max_i64 v[6:7], s[16:17], 0
	s_add_co_i32 s1, s1, 1
	v_max_i64 v[8:9], v[8:9], v[10:11]
	s_bfe_u32 s16, ttmp6, 0x40008
	v_not_b32_e32 v4, v4
	v_not_b32_e32 v5, v5
	s_delay_alu instid0(VALU_DEP_1)
	v_add_nc_u64_e32 v[4:5], s[10:11], v[4:5]
	s_bfe_u32 s11, ttmp6, 0x40014
	s_and_b32 s10, ttmp7, 0xffff
	s_add_co_i32 s11, s11, 1
	s_mul_i32 s1, s10, s1
	s_mul_i32 s11, s14, s11
	s_add_co_i32 s15, s15, s1
	v_add_nc_u64_e32 v[2:3], v[0:1], v[2:3]
	v_add_nc_u64_e32 v[4:5], v[4:5], v[6:7]
	s_add_co_i32 s16, s16, s11
	s_cmp_eq_u32 s12, 0
	s_cselect_b32 s1, s14, s16
	s_wait_kmcnt 0x0
	s_mul_i32 s0, s0, s1
	s_delay_alu instid0(VALU_DEP_1) | instskip(SKIP_1) | instid1(SALU_CYCLE_1)
	v_sub_nc_u64_e32 v[2:3], v[4:5], v[2:3]
	s_cselect_b32 s1, s10, s15
	s_add_co_i32 s12, s0, s1
	s_delay_alu instid0(SALU_CYCLE_1) | instskip(NEXT) | instid1(VALU_DEP_1)
	s_mul_u64 s[0:1], s[8:9], s[12:13]
	v_lshl_add_u64 v[2:3], v[2:3], 3, s[4:5]
	s_delay_alu instid0(VALU_DEP_1) | instskip(NEXT) | instid1(VALU_DEP_1)
	v_lshl_add_u64 v[2:3], v[8:9], 3, v[2:3]
	v_lshl_add_u64 v[2:3], s[0:1], 3, v[2:3]
	s_mul_u64 s[0:1], s[2:3], s[12:13]
	s_delay_alu instid0(SALU_CYCLE_1) | instskip(SKIP_2) | instid1(SALU_CYCLE_1)
	s_lshl_b64 s[0:1], s[0:1], 3
	global_load_b64 v[2:3], v[2:3], off
	s_add_nc_u64 s[0:1], s[6:7], s[0:1]
	v_lshl_add_u64 v[0:1], v[0:1], 3, s[0:1]
	s_wait_loadcnt 0x0
	global_store_b64 v[0:1], v[2:3], off
.LBB29_2:
	s_endpgm
	.section	.rodata,"a",@progbits
	.p2align	6, 0x0
	.amdhsa_kernel _ZN2at6native12_GLOBAL__N_127reflection_pad1d_out_kernelIlEEvPKT_PS3_lll
		.amdhsa_group_segment_fixed_size 0
		.amdhsa_private_segment_fixed_size 0
		.amdhsa_kernarg_size 296
		.amdhsa_user_sgpr_count 2
		.amdhsa_user_sgpr_dispatch_ptr 0
		.amdhsa_user_sgpr_queue_ptr 0
		.amdhsa_user_sgpr_kernarg_segment_ptr 1
		.amdhsa_user_sgpr_dispatch_id 0
		.amdhsa_user_sgpr_kernarg_preload_length 0
		.amdhsa_user_sgpr_kernarg_preload_offset 0
		.amdhsa_user_sgpr_private_segment_size 0
		.amdhsa_wavefront_size32 1
		.amdhsa_uses_dynamic_stack 0
		.amdhsa_enable_private_segment 0
		.amdhsa_system_sgpr_workgroup_id_x 1
		.amdhsa_system_sgpr_workgroup_id_y 1
		.amdhsa_system_sgpr_workgroup_id_z 1
		.amdhsa_system_sgpr_workgroup_info 0
		.amdhsa_system_vgpr_workitem_id 0
		.amdhsa_next_free_vgpr 12
		.amdhsa_next_free_sgpr 18
		.amdhsa_named_barrier_count 0
		.amdhsa_reserve_vcc 0
		.amdhsa_float_round_mode_32 0
		.amdhsa_float_round_mode_16_64 0
		.amdhsa_float_denorm_mode_32 3
		.amdhsa_float_denorm_mode_16_64 3
		.amdhsa_fp16_overflow 0
		.amdhsa_memory_ordered 1
		.amdhsa_forward_progress 1
		.amdhsa_inst_pref_size 4
		.amdhsa_round_robin_scheduling 0
		.amdhsa_exception_fp_ieee_invalid_op 0
		.amdhsa_exception_fp_denorm_src 0
		.amdhsa_exception_fp_ieee_div_zero 0
		.amdhsa_exception_fp_ieee_overflow 0
		.amdhsa_exception_fp_ieee_underflow 0
		.amdhsa_exception_fp_ieee_inexact 0
		.amdhsa_exception_int_div_zero 0
	.end_amdhsa_kernel
	.section	.text._ZN2at6native12_GLOBAL__N_127reflection_pad1d_out_kernelIlEEvPKT_PS3_lll,"axG",@progbits,_ZN2at6native12_GLOBAL__N_127reflection_pad1d_out_kernelIlEEvPKT_PS3_lll,comdat
.Lfunc_end29:
	.size	_ZN2at6native12_GLOBAL__N_127reflection_pad1d_out_kernelIlEEvPKT_PS3_lll, .Lfunc_end29-_ZN2at6native12_GLOBAL__N_127reflection_pad1d_out_kernelIlEEvPKT_PS3_lll
                                        ; -- End function
	.set _ZN2at6native12_GLOBAL__N_127reflection_pad1d_out_kernelIlEEvPKT_PS3_lll.num_vgpr, 12
	.set _ZN2at6native12_GLOBAL__N_127reflection_pad1d_out_kernelIlEEvPKT_PS3_lll.num_agpr, 0
	.set _ZN2at6native12_GLOBAL__N_127reflection_pad1d_out_kernelIlEEvPKT_PS3_lll.numbered_sgpr, 18
	.set _ZN2at6native12_GLOBAL__N_127reflection_pad1d_out_kernelIlEEvPKT_PS3_lll.num_named_barrier, 0
	.set _ZN2at6native12_GLOBAL__N_127reflection_pad1d_out_kernelIlEEvPKT_PS3_lll.private_seg_size, 0
	.set _ZN2at6native12_GLOBAL__N_127reflection_pad1d_out_kernelIlEEvPKT_PS3_lll.uses_vcc, 0
	.set _ZN2at6native12_GLOBAL__N_127reflection_pad1d_out_kernelIlEEvPKT_PS3_lll.uses_flat_scratch, 0
	.set _ZN2at6native12_GLOBAL__N_127reflection_pad1d_out_kernelIlEEvPKT_PS3_lll.has_dyn_sized_stack, 0
	.set _ZN2at6native12_GLOBAL__N_127reflection_pad1d_out_kernelIlEEvPKT_PS3_lll.has_recursion, 0
	.set _ZN2at6native12_GLOBAL__N_127reflection_pad1d_out_kernelIlEEvPKT_PS3_lll.has_indirect_call, 0
	.section	.AMDGPU.csdata,"",@progbits
; Kernel info:
; codeLenInByte = 428
; TotalNumSgprs: 18
; NumVgprs: 12
; ScratchSize: 0
; MemoryBound: 0
; FloatMode: 240
; IeeeMode: 1
; LDSByteSize: 0 bytes/workgroup (compile time only)
; SGPRBlocks: 0
; VGPRBlocks: 0
; NumSGPRsForWavesPerEU: 18
; NumVGPRsForWavesPerEU: 12
; NamedBarCnt: 0
; Occupancy: 16
; WaveLimiterHint : 0
; COMPUTE_PGM_RSRC2:SCRATCH_EN: 0
; COMPUTE_PGM_RSRC2:USER_SGPR: 2
; COMPUTE_PGM_RSRC2:TRAP_HANDLER: 0
; COMPUTE_PGM_RSRC2:TGID_X_EN: 1
; COMPUTE_PGM_RSRC2:TGID_Y_EN: 1
; COMPUTE_PGM_RSRC2:TGID_Z_EN: 1
; COMPUTE_PGM_RSRC2:TIDIG_COMP_CNT: 0
	.section	.text._ZN2at6native12_GLOBAL__N_121reflection_pad1d_flatIlEEvPKT_PS3_lllll,"axG",@progbits,_ZN2at6native12_GLOBAL__N_121reflection_pad1d_flatIlEEvPKT_PS3_lllll,comdat
	.globl	_ZN2at6native12_GLOBAL__N_121reflection_pad1d_flatIlEEvPKT_PS3_lllll ; -- Begin function _ZN2at6native12_GLOBAL__N_121reflection_pad1d_flatIlEEvPKT_PS3_lllll
	.p2align	8
	.type	_ZN2at6native12_GLOBAL__N_121reflection_pad1d_flatIlEEvPKT_PS3_lllll,@function
_ZN2at6native12_GLOBAL__N_121reflection_pad1d_flatIlEEvPKT_PS3_lllll: ; @_ZN2at6native12_GLOBAL__N_121reflection_pad1d_flatIlEEvPKT_PS3_lllll
; %bb.0:
	s_clause 0x1
	s_load_b32 s2, s[0:1], 0x44
	s_load_b128 s[12:15], s[0:1], 0x28
	s_bfe_u32 s3, ttmp6, 0x4000c
	v_mov_b32_e32 v2, 0
	s_add_co_i32 s3, s3, 1
	s_and_b32 s4, ttmp6, 15
	s_mul_i32 s3, ttmp9, s3
	s_getreg_b32 s5, hwreg(HW_REG_IB_STS2, 6, 4)
	v_mov_b32_e32 v1, v2
	s_add_co_i32 s4, s4, s3
	s_wait_kmcnt 0x0
	s_and_b32 s2, s2, 0xffff
	s_cmp_eq_u32 s5, 0
	s_mul_u64 s[14:15], s[14:15], s[12:13]
	s_cselect_b32 s3, ttmp9, s4
	s_mov_b32 s4, exec_lo
	v_mad_nc_u64_u32 v[0:1], s2, s3, v[0:1]
	s_mov_b32 s3, 0
	s_delay_alu instid0(VALU_DEP_1)
	v_cmpx_gt_i64_e64 s[14:15], v[0:1]
	s_cbranch_execz .LBB30_13
; %bb.1:
	v_cvt_f32_u32_e32 v3, s12
	s_load_b256 s[4:11], s[0:1], 0x0
	s_wait_xcnt 0x0
	s_add_nc_u64 s[0:1], s[0:1], 56
	s_sub_co_i32 s16, 0, s12
	s_load_b32 s0, s[0:1], 0x0
	v_rcp_iflag_f32_e32 v3, v3
	s_wait_xcnt 0x0
	s_mov_b32 s1, s3
	s_mov_b64 s[18:19], 0xffffffff
	s_ashr_i32 s24, s13, 31
	s_mov_b32 s30, 0
	v_nop
	v_mul_f32_e32 v3, 0x4f7ffffe, v3
	s_delay_alu instid0(VALU_DEP_1) | instskip(SKIP_2) | instid1(VALU_DEP_1)
	v_cvt_u32_f32_e32 v3, v3
	s_wait_kmcnt 0x0
	s_lshl_b64 s[20:21], s[8:9], 1
	v_mul_lo_u32 v4, s16, v3
	s_add_nc_u64 s[20:21], s[20:21], -2
	s_sub_nc_u64 s[16:17], 0, s[12:13]
	s_sub_nc_u64 s[10:11], 0, s[10:11]
	s_ashr_i32 s26, s21, 31
	s_delay_alu instid0(VALU_DEP_1)
	v_mul_hi_u32 v6, v3, v4
	v_lshl_add_u64 v[4:5], v[0:1], 3, s[6:7]
	s_mul_u64 s[6:7], s[2:3], s[0:1]
	v_cmp_gt_i64_e64 s1, s[20:21], 0
	s_lshl_b64 s[22:23], s[6:7], 3
	v_add_nc_u32_e32 v12, v3, v6
	s_branch .LBB30_4
.LBB30_2:                               ;   in Loop: Header=BB30_4 Depth=1
	s_or_b32 exec_lo, exec_lo, s0
	s_delay_alu instid0(VALU_DEP_1) | instskip(NEXT) | instid1(VALU_DEP_1)
	v_ashrrev_i32_e32 v3, 31, v11
	v_and_b32_e32 v9, s21, v3
	v_and_b32_e32 v8, s20, v3
	s_delay_alu instid0(VALU_DEP_1) | instskip(NEXT) | instid1(VALU_DEP_1)
	v_add_nc_u64_e32 v[8:9], v[8:9], v[10:11]
	v_sub_nc_u64_e32 v[10:11], s[20:21], v[8:9]
	v_cmp_gt_i64_e32 vcc_lo, s[8:9], v[8:9]
	s_delay_alu instid0(VALU_DEP_2)
	v_dual_cndmask_b32 v9, v11, v9 :: v_dual_cndmask_b32 v8, v10, v8
.LBB30_3:                               ;   in Loop: Header=BB30_4 Depth=1
	v_mul_u64_e32 v[6:7], s[8:9], v[6:7]
	v_add_nc_u64_e32 v[0:1], s[6:7], v[0:1]
	s_delay_alu instid0(VALU_DEP_1) | instskip(SKIP_1) | instid1(VALU_DEP_3)
	v_cmp_le_i64_e32 vcc_lo, s[14:15], v[0:1]
	s_or_b32 s30, vcc_lo, s30
	v_lshl_add_u64 v[6:7], v[6:7], 3, s[4:5]
	s_delay_alu instid0(VALU_DEP_1)
	v_lshl_add_u64 v[6:7], v[8:9], 3, v[6:7]
	global_load_b64 v[6:7], v[6:7], off
	s_wait_loadcnt 0x0
	global_store_b64 v[4:5], v[6:7], off
	s_wait_xcnt 0x0
	v_add_nc_u64_e32 v[4:5], s[22:23], v[4:5]
	s_and_not1_b32 exec_lo, exec_lo, s30
	s_cbranch_execz .LBB30_13
.LBB30_4:                               ; =>This Inner Loop Header: Depth=1
	v_or_b32_e32 v3, s13, v1
                                        ; implicit-def: $vgpr6_vgpr7
	s_mov_b32 s0, exec_lo
	s_delay_alu instid0(VALU_DEP_1)
	v_cmpx_ne_u64_e32 0, v[2:3]
	s_xor_b32 s27, exec_lo, s0
	s_cbranch_execnz .LBB30_7
; %bb.5:                                ;   in Loop: Header=BB30_4 Depth=1
	s_and_not1_saveexec_b32 s0, s27
	s_cbranch_execnz .LBB30_8
.LBB30_6:                               ;   in Loop: Header=BB30_4 Depth=1
	s_or_b32 exec_lo, exec_lo, s0
	v_mov_b64_e32 v[8:9], 0
	s_and_not1_b32 vcc_lo, exec_lo, s1
	s_cbranch_vccnz .LBB30_3
	s_branch .LBB30_9
.LBB30_7:                               ;   in Loop: Header=BB30_4 Depth=1
	s_mov_b32 s25, s24
	v_dual_mov_b32 v11, v2 :: v_dual_ashrrev_i32 v6, 31, v1
	s_add_nc_u64 s[28:29], s[12:13], s[24:25]
	s_delay_alu instid0(SALU_CYCLE_1) | instskip(NEXT) | instid1(VALU_DEP_1)
	s_xor_b64 s[28:29], s[28:29], s[24:25]
	v_mov_b32_e32 v7, v6
	s_cvt_f32_u32 s0, s28
	s_cvt_f32_u32 s2, s29
	s_sub_nc_u64 s[36:37], 0, s[28:29]
	s_delay_alu instid0(VALU_DEP_1) | instskip(NEXT) | instid1(SALU_CYCLE_1)
	v_add_nc_u64_e32 v[8:9], v[0:1], v[6:7]
	s_fmamk_f32 s0, s2, 0x4f800000, s0
	v_mov_b32_e32 v17, v2
	s_delay_alu instid0(SALU_CYCLE_2) | instskip(NEXT) | instid1(VALU_DEP_2)
	v_s_rcp_f32 s0, s0
	v_xor_b32_e32 v10, v8, v6
	s_delay_alu instid0(VALU_DEP_3) | instskip(NEXT) | instid1(TRANS32_DEP_1)
	v_dual_mov_b32 v21, v2 :: v_dual_bitop2_b32 v16, v9, v6 bitop3:0x14
	s_mul_f32 s0, s0, 0x5f7ffffc
	s_delay_alu instid0(SALU_CYCLE_3) | instskip(NEXT) | instid1(SALU_CYCLE_3)
	s_mul_f32 s2, s0, 0x2f800000
	s_trunc_f32 s2, s2
	s_delay_alu instid0(SALU_CYCLE_3) | instskip(SKIP_1) | instid1(SALU_CYCLE_2)
	s_fmamk_f32 s0, s2, 0xcf800000, s0
	s_cvt_u32_f32 s35, s2
	s_cvt_u32_f32 s34, s0
	s_delay_alu instid0(SALU_CYCLE_3) | instskip(NEXT) | instid1(SALU_CYCLE_1)
	s_mul_u64 s[38:39], s[36:37], s[34:35]
	s_mul_hi_u32 s41, s34, s39
	s_mul_i32 s40, s34, s39
	s_mul_hi_u32 s2, s34, s38
	s_mul_i32 s25, s35, s38
	s_add_nc_u64 s[40:41], s[2:3], s[40:41]
	s_mul_hi_u32 s0, s35, s38
	s_mul_hi_u32 s31, s35, s39
	s_add_co_u32 s2, s40, s25
	s_add_co_ci_u32 s2, s41, s0
	s_mul_i32 s38, s35, s39
	s_add_co_ci_u32 s39, s31, 0
	s_delay_alu instid0(SALU_CYCLE_1) | instskip(NEXT) | instid1(SALU_CYCLE_1)
	s_add_nc_u64 s[38:39], s[2:3], s[38:39]
	s_add_co_u32 s34, s34, s38
	s_cselect_b32 s0, -1, 0
	s_delay_alu instid0(SALU_CYCLE_1) | instskip(SKIP_1) | instid1(SALU_CYCLE_1)
	s_cmp_lg_u32 s0, 0
	s_add_co_ci_u32 s35, s35, s39
	s_mul_u64 s[36:37], s[36:37], s[34:35]
	s_delay_alu instid0(SALU_CYCLE_1)
	s_mul_hi_u32 s39, s34, s37
	s_mul_i32 s38, s34, s37
	s_mul_hi_u32 s2, s34, s36
	s_mul_i32 s25, s35, s36
	s_add_nc_u64 s[38:39], s[2:3], s[38:39]
	s_mul_hi_u32 s0, s35, s36
	s_mul_hi_u32 s31, s35, s37
	s_add_co_u32 s2, s38, s25
	s_add_co_ci_u32 s2, s39, s0
	s_mul_i32 s36, s35, s37
	s_add_co_ci_u32 s37, s31, 0
	s_delay_alu instid0(SALU_CYCLE_1) | instskip(NEXT) | instid1(SALU_CYCLE_1)
	s_add_nc_u64 s[36:37], s[2:3], s[36:37]
	s_add_co_u32 s0, s34, s36
	s_cselect_b32 s2, -1, 0
	v_mul_hi_u32 v20, v10, s0
	s_cmp_lg_u32 s2, 0
	s_add_co_ci_u32 s2, s35, s37
	s_and_b64 s[34:35], s[0:1], s[18:19]
	v_mul_u64_e32 v[14:15], s[2:3], v[10:11]
	v_mul_u64_e32 v[8:9], s[34:35], v[16:17]
	;; [unrolled: 1-line block ×3, first 2 shown]
	s_delay_alu instid0(VALU_DEP_3) | instskip(NEXT) | instid1(VALU_DEP_1)
	v_add_nc_u64_e32 v[14:15], v[20:21], v[14:15]
	v_add_co_u32 v3, vcc_lo, v14, v8
	s_delay_alu instid0(VALU_DEP_2) | instskip(NEXT) | instid1(VALU_DEP_4)
	v_add_co_ci_u32_e32 v20, vcc_lo, v15, v9, vcc_lo
	v_add_co_ci_u32_e32 v19, vcc_lo, 0, v19, vcc_lo
	s_delay_alu instid0(VALU_DEP_1) | instskip(NEXT) | instid1(VALU_DEP_1)
	v_add_nc_u64_e32 v[8:9], v[20:21], v[18:19]
	v_mul_u64_e32 v[14:15], s[28:29], v[8:9]
	s_delay_alu instid0(VALU_DEP_1) | instskip(NEXT) | instid1(VALU_DEP_2)
	v_sub_nc_u32_e32 v3, v16, v15
	v_sub_co_u32 v7, vcc_lo, v10, v14
	s_delay_alu instid0(VALU_DEP_1) | instskip(NEXT) | instid1(VALU_DEP_3)
	v_sub_co_ci_u32_e64 v13, null, v16, v15, vcc_lo
	v_subrev_co_ci_u32_e64 v3, null, s29, v3, vcc_lo
	s_delay_alu instid0(VALU_DEP_3) | instskip(SKIP_1) | instid1(VALU_DEP_3)
	v_sub_co_u32 v10, s0, v7, s28
	v_add_nc_u64_e32 v[14:15], 1, v[8:9]
	v_subrev_co_ci_u32_e64 v3, null, 0, v3, s0
	s_delay_alu instid0(VALU_DEP_3) | instskip(SKIP_1) | instid1(VALU_DEP_3)
	v_cmp_le_u32_e32 vcc_lo, s28, v10
	v_cndmask_b32_e64 v10, 0, -1, vcc_lo
	v_cmp_le_u32_e32 vcc_lo, s29, v3
	v_cndmask_b32_e64 v11, 0, -1, vcc_lo
	;; [unrolled: 2-line block ×4, first 2 shown]
	v_cmp_eq_u32_e32 vcc_lo, s29, v3
	v_cndmask_b32_e32 v3, v11, v10, vcc_lo
	v_cmp_eq_u32_e32 vcc_lo, s29, v13
	v_add_nc_u64_e32 v[10:11], 2, v[8:9]
	v_cndmask_b32_e32 v7, v16, v7, vcc_lo
	s_delay_alu instid0(VALU_DEP_4) | instskip(NEXT) | instid1(VALU_DEP_2)
	v_cmp_ne_u32_e32 vcc_lo, 0, v3
	v_cmp_ne_u32_e64 s0, 0, v7
	s_delay_alu instid0(VALU_DEP_4) | instskip(NEXT) | instid1(VALU_DEP_1)
	v_dual_cndmask_b32 v3, v15, v11, vcc_lo :: v_dual_cndmask_b32 v7, v14, v10, vcc_lo
	v_dual_cndmask_b32 v3, v9, v3, s0 :: v_dual_bitop2_b32 v6, s24, v6 bitop3:0x14
	s_delay_alu instid0(VALU_DEP_1) | instskip(NEXT) | instid1(VALU_DEP_2)
	v_dual_cndmask_b32 v8, v8, v7, s0 :: v_dual_mov_b32 v7, v6
	v_xor_b32_e32 v9, v3, v6
	s_delay_alu instid0(VALU_DEP_2) | instskip(NEXT) | instid1(VALU_DEP_1)
	v_xor_b32_e32 v8, v8, v6
	v_sub_nc_u64_e32 v[6:7], v[8:9], v[6:7]
	s_and_not1_saveexec_b32 s0, s27
	s_cbranch_execz .LBB30_6
.LBB30_8:                               ;   in Loop: Header=BB30_4 Depth=1
	v_mul_hi_u32 v3, v0, v12
	s_delay_alu instid0(VALU_DEP_1) | instskip(NEXT) | instid1(VALU_DEP_1)
	v_mul_lo_u32 v6, v3, s12
	v_dual_add_nc_u32 v7, 1, v3 :: v_dual_sub_nc_u32 v6, v0, v6
	s_delay_alu instid0(VALU_DEP_1) | instskip(SKIP_1) | instid1(VALU_DEP_2)
	v_subrev_nc_u32_e32 v8, s12, v6
	v_cmp_le_u32_e32 vcc_lo, s12, v6
	v_dual_cndmask_b32 v6, v6, v8 :: v_dual_cndmask_b32 v3, v3, v7
	s_delay_alu instid0(VALU_DEP_1) | instskip(NEXT) | instid1(VALU_DEP_2)
	v_cmp_le_u32_e32 vcc_lo, s12, v6
	v_add_nc_u32_e32 v7, 1, v3
	s_delay_alu instid0(VALU_DEP_1)
	v_dual_cndmask_b32 v6, v3, v7 :: v_dual_mov_b32 v7, v2
	s_or_b32 exec_lo, exec_lo, s0
	v_mov_b64_e32 v[8:9], 0
	s_and_not1_b32 vcc_lo, exec_lo, s1
	s_cbranch_vccnz .LBB30_3
.LBB30_9:                               ;   in Loop: Header=BB30_4 Depth=1
	v_add_nc_u64_e32 v[8:9], s[10:11], v[0:1]
                                        ; implicit-def: $vgpr10_vgpr11
	s_mov_b32 s0, exec_lo
	s_delay_alu instid0(VALU_DEP_1) | instskip(NEXT) | instid1(VALU_DEP_1)
	v_mad_nc_u64_u32 v[8:9], s16, v6, v[8:9]
	v_mad_u32 v3, s17, v6, v9
	s_delay_alu instid0(VALU_DEP_1) | instskip(NEXT) | instid1(VALU_DEP_1)
	v_mad_u32 v9, s16, v7, v3
	v_or_b32_e32 v3, s21, v9
	s_delay_alu instid0(VALU_DEP_1)
	v_cmpx_ne_u64_e32 0, v[2:3]
	s_xor_b32 s25, exec_lo, s0
	s_cbranch_execz .LBB30_11
; %bb.10:                               ;   in Loop: Header=BB30_4 Depth=1
	s_mov_b32 s27, s26
	v_dual_mov_b32 v15, v2 :: v_dual_ashrrev_i32 v10, 31, v9
	s_add_nc_u64 s[28:29], s[20:21], s[26:27]
	v_mov_b32_e32 v23, v2
	s_xor_b64 s[28:29], s[28:29], s[26:27]
	s_delay_alu instid0(VALU_DEP_2) | instskip(SKIP_3) | instid1(VALU_DEP_1)
	v_mov_b32_e32 v11, v10
	s_cvt_f32_u32 s0, s28
	s_cvt_f32_u32 s2, s29
	s_sub_nc_u64 s[36:37], 0, s[28:29]
	v_add_nc_u64_e32 v[8:9], v[8:9], v[10:11]
	s_delay_alu instid0(SALU_CYCLE_1) | instskip(SKIP_1) | instid1(SALU_CYCLE_2)
	s_fmamk_f32 s0, s2, 0x4f800000, s0
	v_mov_b32_e32 v19, v2
	v_s_rcp_f32 s0, s0
	s_delay_alu instid0(VALU_DEP_2) | instskip(NEXT) | instid1(VALU_DEP_3)
	v_xor_b32_e32 v14, v8, v10
	v_xor_b32_e32 v18, v9, v10
	s_delay_alu instid0(TRANS32_DEP_1) | instskip(NEXT) | instid1(SALU_CYCLE_3)
	s_mul_f32 s0, s0, 0x5f7ffffc
	s_mul_f32 s2, s0, 0x2f800000
	s_delay_alu instid0(SALU_CYCLE_3) | instskip(NEXT) | instid1(SALU_CYCLE_3)
	s_trunc_f32 s2, s2
	s_fmamk_f32 s0, s2, 0xcf800000, s0
	s_cvt_u32_f32 s35, s2
	s_delay_alu instid0(SALU_CYCLE_2) | instskip(NEXT) | instid1(SALU_CYCLE_3)
	s_cvt_u32_f32 s34, s0
	s_mul_u64 s[38:39], s[36:37], s[34:35]
	s_delay_alu instid0(SALU_CYCLE_1)
	s_mul_hi_u32 s41, s34, s39
	s_mul_i32 s40, s34, s39
	s_mul_hi_u32 s2, s34, s38
	s_mul_i32 s27, s35, s38
	s_add_nc_u64 s[40:41], s[2:3], s[40:41]
	s_mul_hi_u32 s0, s35, s38
	s_mul_hi_u32 s31, s35, s39
	s_add_co_u32 s2, s40, s27
	s_add_co_ci_u32 s2, s41, s0
	s_mul_i32 s38, s35, s39
	s_add_co_ci_u32 s39, s31, 0
	s_delay_alu instid0(SALU_CYCLE_1) | instskip(NEXT) | instid1(SALU_CYCLE_1)
	s_add_nc_u64 s[38:39], s[2:3], s[38:39]
	s_add_co_u32 s34, s34, s38
	s_cselect_b32 s0, -1, 0
	s_delay_alu instid0(SALU_CYCLE_1) | instskip(SKIP_1) | instid1(SALU_CYCLE_1)
	s_cmp_lg_u32 s0, 0
	s_add_co_ci_u32 s35, s35, s39
	s_mul_u64 s[36:37], s[36:37], s[34:35]
	s_delay_alu instid0(SALU_CYCLE_1)
	s_mul_hi_u32 s39, s34, s37
	s_mul_i32 s38, s34, s37
	s_mul_hi_u32 s2, s34, s36
	s_mul_i32 s27, s35, s36
	s_add_nc_u64 s[38:39], s[2:3], s[38:39]
	s_mul_hi_u32 s0, s35, s36
	s_mul_hi_u32 s31, s35, s37
	s_add_co_u32 s2, s38, s27
	s_add_co_ci_u32 s2, s39, s0
	s_mul_i32 s36, s35, s37
	s_add_co_ci_u32 s37, s31, 0
	s_delay_alu instid0(SALU_CYCLE_1) | instskip(NEXT) | instid1(SALU_CYCLE_1)
	s_add_nc_u64 s[36:37], s[2:3], s[36:37]
	s_add_co_u32 s0, s34, s36
	s_cselect_b32 s2, -1, 0
	v_mul_hi_u32 v22, v14, s0
	s_cmp_lg_u32 s2, 0
	s_add_co_ci_u32 s2, s35, s37
	s_and_b64 s[34:35], s[0:1], s[18:19]
	v_mul_u64_e32 v[16:17], s[2:3], v[14:15]
	v_mul_u64_e32 v[8:9], s[34:35], v[18:19]
	;; [unrolled: 1-line block ×3, first 2 shown]
	s_delay_alu instid0(VALU_DEP_3) | instskip(NEXT) | instid1(VALU_DEP_1)
	v_add_nc_u64_e32 v[16:17], v[22:23], v[16:17]
	v_add_co_u32 v3, vcc_lo, v16, v8
	s_delay_alu instid0(VALU_DEP_2) | instskip(NEXT) | instid1(VALU_DEP_4)
	v_add_co_ci_u32_e32 v22, vcc_lo, v17, v9, vcc_lo
	v_add_co_ci_u32_e32 v21, vcc_lo, 0, v21, vcc_lo
	s_delay_alu instid0(VALU_DEP_1) | instskip(NEXT) | instid1(VALU_DEP_1)
	v_add_nc_u64_e32 v[8:9], v[22:23], v[20:21]
	v_mul_u64_e32 v[8:9], s[28:29], v[8:9]
	s_delay_alu instid0(VALU_DEP_1) | instskip(NEXT) | instid1(VALU_DEP_1)
	v_sub_co_u32 v8, vcc_lo, v14, v8
	v_cmp_le_u32_e64 s0, s28, v8
	s_delay_alu instid0(VALU_DEP_1) | instskip(NEXT) | instid1(VALU_DEP_4)
	v_cndmask_b32_e64 v15, 0, -1, s0
	v_sub_nc_u32_e32 v3, v18, v9
	v_sub_co_ci_u32_e64 v9, null, v18, v9, vcc_lo
	s_delay_alu instid0(VALU_DEP_2) | instskip(SKIP_1) | instid1(VALU_DEP_1)
	v_subrev_co_ci_u32_e64 v3, null, s29, v3, vcc_lo
	v_sub_co_u32 v13, vcc_lo, v8, s28
	v_subrev_co_ci_u32_e64 v14, null, 0, v3, vcc_lo
	s_delay_alu instid0(VALU_DEP_2) | instskip(SKIP_2) | instid1(VALU_DEP_3)
	v_cmp_le_u32_e64 s0, s28, v13
	v_subrev_co_ci_u32_e64 v3, null, s29, v3, vcc_lo
	v_cmp_le_u32_e32 vcc_lo, s29, v9
	v_cndmask_b32_e64 v16, 0, -1, s0
	v_cmp_le_u32_e64 s0, s29, v14
	v_cndmask_b32_e64 v18, 0, -1, vcc_lo
	v_cmp_eq_u32_e32 vcc_lo, s29, v14
	s_delay_alu instid0(VALU_DEP_3) | instskip(SKIP_1) | instid1(VALU_DEP_2)
	v_cndmask_b32_e64 v17, 0, -1, s0
	v_cmp_eq_u32_e64 s0, s29, v9
	v_cndmask_b32_e32 v16, v17, v16, vcc_lo
	v_sub_co_u32 v17, vcc_lo, v13, s28
	s_delay_alu instid0(VALU_DEP_1) | instskip(NEXT) | instid1(VALU_DEP_3)
	v_subrev_co_ci_u32_e64 v3, null, 0, v3, vcc_lo
	v_cmp_ne_u32_e32 vcc_lo, 0, v16
	v_cndmask_b32_e64 v15, v18, v15, s0
	s_delay_alu instid0(VALU_DEP_3) | instskip(NEXT) | instid1(VALU_DEP_2)
	v_dual_cndmask_b32 v3, v14, v3, vcc_lo :: v_dual_cndmask_b32 v13, v13, v17, vcc_lo
	v_cmp_ne_u32_e32 vcc_lo, 0, v15
	s_delay_alu instid0(VALU_DEP_2) | instskip(NEXT) | instid1(VALU_DEP_1)
	v_dual_cndmask_b32 v3, v9, v3 :: v_dual_cndmask_b32 v8, v8, v13
	v_xor_b32_e32 v9, v3, v10
	s_delay_alu instid0(VALU_DEP_2) | instskip(NEXT) | instid1(VALU_DEP_1)
	v_xor_b32_e32 v8, v8, v10
	v_sub_nc_u64_e32 v[10:11], v[8:9], v[10:11]
                                        ; implicit-def: $vgpr8_vgpr9
.LBB30_11:                              ;   in Loop: Header=BB30_4 Depth=1
	s_and_not1_saveexec_b32 s0, s25
	s_cbranch_execz .LBB30_2
; %bb.12:                               ;   in Loop: Header=BB30_4 Depth=1
	v_cvt_f32_u32_e32 v3, s20
	s_sub_co_i32 s2, 0, s20
	v_mov_b32_e32 v11, v2
	s_delay_alu instid0(VALU_DEP_2) | instskip(SKIP_1) | instid1(TRANS32_DEP_1)
	v_rcp_iflag_f32_e32 v3, v3
	v_nop
	v_mul_f32_e32 v3, 0x4f7ffffe, v3
	s_delay_alu instid0(VALU_DEP_1) | instskip(NEXT) | instid1(VALU_DEP_1)
	v_cvt_u32_f32_e32 v3, v3
	v_mul_lo_u32 v9, s2, v3
	s_delay_alu instid0(VALU_DEP_1) | instskip(NEXT) | instid1(VALU_DEP_1)
	v_mul_hi_u32 v9, v3, v9
	v_add_nc_u32_e32 v3, v3, v9
	s_delay_alu instid0(VALU_DEP_1) | instskip(NEXT) | instid1(VALU_DEP_1)
	v_mul_hi_u32 v3, v8, v3
	v_mul_lo_u32 v3, v3, s20
	s_delay_alu instid0(VALU_DEP_1) | instskip(NEXT) | instid1(VALU_DEP_1)
	v_sub_nc_u32_e32 v3, v8, v3
	v_subrev_nc_u32_e32 v8, s20, v3
	v_cmp_le_u32_e32 vcc_lo, s20, v3
	s_delay_alu instid0(VALU_DEP_2) | instskip(NEXT) | instid1(VALU_DEP_1)
	v_cndmask_b32_e32 v3, v3, v8, vcc_lo
	v_subrev_nc_u32_e32 v8, s20, v3
	v_cmp_le_u32_e32 vcc_lo, s20, v3
	s_delay_alu instid0(VALU_DEP_2)
	v_cndmask_b32_e32 v10, v3, v8, vcc_lo
	s_branch .LBB30_2
.LBB30_13:
	s_endpgm
	.section	.rodata,"a",@progbits
	.p2align	6, 0x0
	.amdhsa_kernel _ZN2at6native12_GLOBAL__N_121reflection_pad1d_flatIlEEvPKT_PS3_lllll
		.amdhsa_group_segment_fixed_size 0
		.amdhsa_private_segment_fixed_size 0
		.amdhsa_kernarg_size 312
		.amdhsa_user_sgpr_count 2
		.amdhsa_user_sgpr_dispatch_ptr 0
		.amdhsa_user_sgpr_queue_ptr 0
		.amdhsa_user_sgpr_kernarg_segment_ptr 1
		.amdhsa_user_sgpr_dispatch_id 0
		.amdhsa_user_sgpr_kernarg_preload_length 0
		.amdhsa_user_sgpr_kernarg_preload_offset 0
		.amdhsa_user_sgpr_private_segment_size 0
		.amdhsa_wavefront_size32 1
		.amdhsa_uses_dynamic_stack 0
		.amdhsa_enable_private_segment 0
		.amdhsa_system_sgpr_workgroup_id_x 1
		.amdhsa_system_sgpr_workgroup_id_y 0
		.amdhsa_system_sgpr_workgroup_id_z 0
		.amdhsa_system_sgpr_workgroup_info 0
		.amdhsa_system_vgpr_workitem_id 0
		.amdhsa_next_free_vgpr 24
		.amdhsa_next_free_sgpr 42
		.amdhsa_named_barrier_count 0
		.amdhsa_reserve_vcc 1
		.amdhsa_float_round_mode_32 0
		.amdhsa_float_round_mode_16_64 0
		.amdhsa_float_denorm_mode_32 3
		.amdhsa_float_denorm_mode_16_64 3
		.amdhsa_fp16_overflow 0
		.amdhsa_memory_ordered 1
		.amdhsa_forward_progress 1
		.amdhsa_inst_pref_size 15
		.amdhsa_round_robin_scheduling 0
		.amdhsa_exception_fp_ieee_invalid_op 0
		.amdhsa_exception_fp_denorm_src 0
		.amdhsa_exception_fp_ieee_div_zero 0
		.amdhsa_exception_fp_ieee_overflow 0
		.amdhsa_exception_fp_ieee_underflow 0
		.amdhsa_exception_fp_ieee_inexact 0
		.amdhsa_exception_int_div_zero 0
	.end_amdhsa_kernel
	.section	.text._ZN2at6native12_GLOBAL__N_121reflection_pad1d_flatIlEEvPKT_PS3_lllll,"axG",@progbits,_ZN2at6native12_GLOBAL__N_121reflection_pad1d_flatIlEEvPKT_PS3_lllll,comdat
.Lfunc_end30:
	.size	_ZN2at6native12_GLOBAL__N_121reflection_pad1d_flatIlEEvPKT_PS3_lllll, .Lfunc_end30-_ZN2at6native12_GLOBAL__N_121reflection_pad1d_flatIlEEvPKT_PS3_lllll
                                        ; -- End function
	.set _ZN2at6native12_GLOBAL__N_121reflection_pad1d_flatIlEEvPKT_PS3_lllll.num_vgpr, 24
	.set _ZN2at6native12_GLOBAL__N_121reflection_pad1d_flatIlEEvPKT_PS3_lllll.num_agpr, 0
	.set _ZN2at6native12_GLOBAL__N_121reflection_pad1d_flatIlEEvPKT_PS3_lllll.numbered_sgpr, 42
	.set _ZN2at6native12_GLOBAL__N_121reflection_pad1d_flatIlEEvPKT_PS3_lllll.num_named_barrier, 0
	.set _ZN2at6native12_GLOBAL__N_121reflection_pad1d_flatIlEEvPKT_PS3_lllll.private_seg_size, 0
	.set _ZN2at6native12_GLOBAL__N_121reflection_pad1d_flatIlEEvPKT_PS3_lllll.uses_vcc, 1
	.set _ZN2at6native12_GLOBAL__N_121reflection_pad1d_flatIlEEvPKT_PS3_lllll.uses_flat_scratch, 0
	.set _ZN2at6native12_GLOBAL__N_121reflection_pad1d_flatIlEEvPKT_PS3_lllll.has_dyn_sized_stack, 0
	.set _ZN2at6native12_GLOBAL__N_121reflection_pad1d_flatIlEEvPKT_PS3_lllll.has_recursion, 0
	.set _ZN2at6native12_GLOBAL__N_121reflection_pad1d_flatIlEEvPKT_PS3_lllll.has_indirect_call, 0
	.section	.AMDGPU.csdata,"",@progbits
; Kernel info:
; codeLenInByte = 1896
; TotalNumSgprs: 44
; NumVgprs: 24
; ScratchSize: 0
; MemoryBound: 0
; FloatMode: 240
; IeeeMode: 1
; LDSByteSize: 0 bytes/workgroup (compile time only)
; SGPRBlocks: 0
; VGPRBlocks: 1
; NumSGPRsForWavesPerEU: 44
; NumVGPRsForWavesPerEU: 24
; NamedBarCnt: 0
; Occupancy: 16
; WaveLimiterHint : 0
; COMPUTE_PGM_RSRC2:SCRATCH_EN: 0
; COMPUTE_PGM_RSRC2:USER_SGPR: 2
; COMPUTE_PGM_RSRC2:TRAP_HANDLER: 0
; COMPUTE_PGM_RSRC2:TGID_X_EN: 1
; COMPUTE_PGM_RSRC2:TGID_Y_EN: 0
; COMPUTE_PGM_RSRC2:TGID_Z_EN: 0
; COMPUTE_PGM_RSRC2:TIDIG_COMP_CNT: 0
	.section	.text._ZN2at6native12_GLOBAL__N_127reflection_pad1d_out_kernelIsEEvPKT_PS3_lll,"axG",@progbits,_ZN2at6native12_GLOBAL__N_127reflection_pad1d_out_kernelIsEEvPKT_PS3_lll,comdat
	.globl	_ZN2at6native12_GLOBAL__N_127reflection_pad1d_out_kernelIsEEvPKT_PS3_lll ; -- Begin function _ZN2at6native12_GLOBAL__N_127reflection_pad1d_out_kernelIsEEvPKT_PS3_lll
	.p2align	8
	.type	_ZN2at6native12_GLOBAL__N_127reflection_pad1d_out_kernelIsEEvPKT_PS3_lll,@function
_ZN2at6native12_GLOBAL__N_127reflection_pad1d_out_kernelIsEEvPKT_PS3_lll: ; @_ZN2at6native12_GLOBAL__N_127reflection_pad1d_out_kernelIsEEvPKT_PS3_lll
; %bb.0:
	s_clause 0x2
	s_load_b32 s13, s[0:1], 0x34
	s_load_b64 s[2:3], s[0:1], 0x20
	s_load_b256 s[4:11], s[0:1], 0x0
	s_bfe_u32 s12, ttmp6, 0x4000c
	s_and_b32 s14, ttmp6, 15
	s_add_co_i32 s15, s12, 1
	s_getreg_b32 s12, hwreg(HW_REG_IB_STS2, 6, 4)
	s_mul_i32 s15, ttmp9, s15
	v_mov_b32_e32 v1, 0
	s_add_co_i32 s14, s14, s15
	s_mov_b32 s16, exec_lo
	s_wait_kmcnt 0x0
	s_and_b32 s13, s13, 0xffff
	s_cmp_eq_u32 s12, 0
	s_cselect_b32 s14, ttmp9, s14
	s_delay_alu instid0(SALU_CYCLE_1)
	v_mad_nc_u64_u32 v[0:1], s13, s14, v[0:1]
	s_add_nc_u64 s[14:15], s[10:11], s[8:9]
	s_mov_b32 s13, 0
	s_add_nc_u64 s[2:3], s[14:15], s[2:3]
	s_delay_alu instid0(VALU_DEP_1) | instid1(SALU_CYCLE_1)
	v_cmpx_gt_i64_e64 s[2:3], v[0:1]
	s_cbranch_execz .LBB31_2
; %bb.1:
	v_sub_nc_u64_e64 v[2:3], v[0:1], s[14:15]
	v_max_i64 v[4:5], s[10:11], 0
	s_sub_nc_u64 s[16:17], 0, s[10:11]
	v_sub_nc_u64_e64 v[8:9], v[0:1], s[10:11]
	s_add_nc_u64 s[10:11], s[14:15], s[10:11]
	s_add_nc_u64 s[0:1], s[0:1], 40
	s_lshr_b32 s14, ttmp7, 16
	v_add_nc_u64_e32 v[6:7], 1, v[2:3]
	v_not_b32_e32 v3, v3
	v_not_b32_e32 v2, v2
	v_sub_nc_u64_e32 v[10:11], 0, v[8:9]
	s_load_b32 s0, s[0:1], 0x4
	s_wait_xcnt 0x0
	s_bfe_u32 s1, ttmp6, 0x40010
	s_bfe_u32 s15, ttmp6, 0x40004
	v_max_i64 v[2:3], v[6:7], v[2:3]
	v_max_i64 v[6:7], s[16:17], 0
	s_add_co_i32 s1, s1, 1
	v_max_i64 v[8:9], v[8:9], v[10:11]
	s_bfe_u32 s16, ttmp6, 0x40008
	v_not_b32_e32 v4, v4
	v_not_b32_e32 v5, v5
	s_delay_alu instid0(VALU_DEP_1)
	v_add_nc_u64_e32 v[4:5], s[10:11], v[4:5]
	s_bfe_u32 s11, ttmp6, 0x40014
	s_and_b32 s10, ttmp7, 0xffff
	s_add_co_i32 s11, s11, 1
	s_mul_i32 s1, s10, s1
	s_mul_i32 s11, s14, s11
	s_add_co_i32 s15, s15, s1
	v_add_nc_u64_e32 v[2:3], v[0:1], v[2:3]
	v_add_nc_u64_e32 v[4:5], v[4:5], v[6:7]
	s_add_co_i32 s16, s16, s11
	s_cmp_eq_u32 s12, 0
	s_cselect_b32 s1, s14, s16
	s_wait_kmcnt 0x0
	s_mul_i32 s0, s0, s1
	s_delay_alu instid0(VALU_DEP_1) | instskip(SKIP_1) | instid1(SALU_CYCLE_1)
	v_sub_nc_u64_e32 v[2:3], v[4:5], v[2:3]
	s_cselect_b32 s1, s10, s15
	s_add_co_i32 s12, s0, s1
	s_delay_alu instid0(SALU_CYCLE_1) | instskip(NEXT) | instid1(VALU_DEP_1)
	s_mul_u64 s[0:1], s[8:9], s[12:13]
	v_lshl_add_u64 v[2:3], v[2:3], 1, s[4:5]
	s_delay_alu instid0(VALU_DEP_1) | instskip(NEXT) | instid1(VALU_DEP_1)
	v_lshl_add_u64 v[2:3], v[8:9], 1, v[2:3]
	v_lshl_add_u64 v[2:3], s[0:1], 1, v[2:3]
	s_mul_u64 s[0:1], s[2:3], s[12:13]
	s_delay_alu instid0(SALU_CYCLE_1) | instskip(SKIP_2) | instid1(SALU_CYCLE_1)
	s_lshl_b64 s[0:1], s[0:1], 1
	global_load_u16 v2, v[2:3], off
	s_add_nc_u64 s[0:1], s[6:7], s[0:1]
	v_lshl_add_u64 v[0:1], v[0:1], 1, s[0:1]
	s_wait_loadcnt 0x0
	global_store_b16 v[0:1], v2, off
.LBB31_2:
	s_endpgm
	.section	.rodata,"a",@progbits
	.p2align	6, 0x0
	.amdhsa_kernel _ZN2at6native12_GLOBAL__N_127reflection_pad1d_out_kernelIsEEvPKT_PS3_lll
		.amdhsa_group_segment_fixed_size 0
		.amdhsa_private_segment_fixed_size 0
		.amdhsa_kernarg_size 296
		.amdhsa_user_sgpr_count 2
		.amdhsa_user_sgpr_dispatch_ptr 0
		.amdhsa_user_sgpr_queue_ptr 0
		.amdhsa_user_sgpr_kernarg_segment_ptr 1
		.amdhsa_user_sgpr_dispatch_id 0
		.amdhsa_user_sgpr_kernarg_preload_length 0
		.amdhsa_user_sgpr_kernarg_preload_offset 0
		.amdhsa_user_sgpr_private_segment_size 0
		.amdhsa_wavefront_size32 1
		.amdhsa_uses_dynamic_stack 0
		.amdhsa_enable_private_segment 0
		.amdhsa_system_sgpr_workgroup_id_x 1
		.amdhsa_system_sgpr_workgroup_id_y 1
		.amdhsa_system_sgpr_workgroup_id_z 1
		.amdhsa_system_sgpr_workgroup_info 0
		.amdhsa_system_vgpr_workitem_id 0
		.amdhsa_next_free_vgpr 12
		.amdhsa_next_free_sgpr 18
		.amdhsa_named_barrier_count 0
		.amdhsa_reserve_vcc 0
		.amdhsa_float_round_mode_32 0
		.amdhsa_float_round_mode_16_64 0
		.amdhsa_float_denorm_mode_32 3
		.amdhsa_float_denorm_mode_16_64 3
		.amdhsa_fp16_overflow 0
		.amdhsa_memory_ordered 1
		.amdhsa_forward_progress 1
		.amdhsa_inst_pref_size 4
		.amdhsa_round_robin_scheduling 0
		.amdhsa_exception_fp_ieee_invalid_op 0
		.amdhsa_exception_fp_denorm_src 0
		.amdhsa_exception_fp_ieee_div_zero 0
		.amdhsa_exception_fp_ieee_overflow 0
		.amdhsa_exception_fp_ieee_underflow 0
		.amdhsa_exception_fp_ieee_inexact 0
		.amdhsa_exception_int_div_zero 0
	.end_amdhsa_kernel
	.section	.text._ZN2at6native12_GLOBAL__N_127reflection_pad1d_out_kernelIsEEvPKT_PS3_lll,"axG",@progbits,_ZN2at6native12_GLOBAL__N_127reflection_pad1d_out_kernelIsEEvPKT_PS3_lll,comdat
.Lfunc_end31:
	.size	_ZN2at6native12_GLOBAL__N_127reflection_pad1d_out_kernelIsEEvPKT_PS3_lll, .Lfunc_end31-_ZN2at6native12_GLOBAL__N_127reflection_pad1d_out_kernelIsEEvPKT_PS3_lll
                                        ; -- End function
	.set _ZN2at6native12_GLOBAL__N_127reflection_pad1d_out_kernelIsEEvPKT_PS3_lll.num_vgpr, 12
	.set _ZN2at6native12_GLOBAL__N_127reflection_pad1d_out_kernelIsEEvPKT_PS3_lll.num_agpr, 0
	.set _ZN2at6native12_GLOBAL__N_127reflection_pad1d_out_kernelIsEEvPKT_PS3_lll.numbered_sgpr, 18
	.set _ZN2at6native12_GLOBAL__N_127reflection_pad1d_out_kernelIsEEvPKT_PS3_lll.num_named_barrier, 0
	.set _ZN2at6native12_GLOBAL__N_127reflection_pad1d_out_kernelIsEEvPKT_PS3_lll.private_seg_size, 0
	.set _ZN2at6native12_GLOBAL__N_127reflection_pad1d_out_kernelIsEEvPKT_PS3_lll.uses_vcc, 0
	.set _ZN2at6native12_GLOBAL__N_127reflection_pad1d_out_kernelIsEEvPKT_PS3_lll.uses_flat_scratch, 0
	.set _ZN2at6native12_GLOBAL__N_127reflection_pad1d_out_kernelIsEEvPKT_PS3_lll.has_dyn_sized_stack, 0
	.set _ZN2at6native12_GLOBAL__N_127reflection_pad1d_out_kernelIsEEvPKT_PS3_lll.has_recursion, 0
	.set _ZN2at6native12_GLOBAL__N_127reflection_pad1d_out_kernelIsEEvPKT_PS3_lll.has_indirect_call, 0
	.section	.AMDGPU.csdata,"",@progbits
; Kernel info:
; codeLenInByte = 428
; TotalNumSgprs: 18
; NumVgprs: 12
; ScratchSize: 0
; MemoryBound: 0
; FloatMode: 240
; IeeeMode: 1
; LDSByteSize: 0 bytes/workgroup (compile time only)
; SGPRBlocks: 0
; VGPRBlocks: 0
; NumSGPRsForWavesPerEU: 18
; NumVGPRsForWavesPerEU: 12
; NamedBarCnt: 0
; Occupancy: 16
; WaveLimiterHint : 0
; COMPUTE_PGM_RSRC2:SCRATCH_EN: 0
; COMPUTE_PGM_RSRC2:USER_SGPR: 2
; COMPUTE_PGM_RSRC2:TRAP_HANDLER: 0
; COMPUTE_PGM_RSRC2:TGID_X_EN: 1
; COMPUTE_PGM_RSRC2:TGID_Y_EN: 1
; COMPUTE_PGM_RSRC2:TGID_Z_EN: 1
; COMPUTE_PGM_RSRC2:TIDIG_COMP_CNT: 0
	.section	.text._ZN2at6native12_GLOBAL__N_121reflection_pad1d_flatIsEEvPKT_PS3_lllll,"axG",@progbits,_ZN2at6native12_GLOBAL__N_121reflection_pad1d_flatIsEEvPKT_PS3_lllll,comdat
	.globl	_ZN2at6native12_GLOBAL__N_121reflection_pad1d_flatIsEEvPKT_PS3_lllll ; -- Begin function _ZN2at6native12_GLOBAL__N_121reflection_pad1d_flatIsEEvPKT_PS3_lllll
	.p2align	8
	.type	_ZN2at6native12_GLOBAL__N_121reflection_pad1d_flatIsEEvPKT_PS3_lllll,@function
_ZN2at6native12_GLOBAL__N_121reflection_pad1d_flatIsEEvPKT_PS3_lllll: ; @_ZN2at6native12_GLOBAL__N_121reflection_pad1d_flatIsEEvPKT_PS3_lllll
; %bb.0:
	s_clause 0x1
	s_load_b32 s2, s[0:1], 0x44
	s_load_b128 s[12:15], s[0:1], 0x28
	s_bfe_u32 s3, ttmp6, 0x4000c
	s_and_b32 s4, ttmp6, 15
	s_add_co_i32 s3, s3, 1
	s_getreg_b32 s5, hwreg(HW_REG_IB_STS2, 6, 4)
	s_mul_i32 s3, ttmp9, s3
	v_mov_b32_e32 v1, 0
	s_add_co_i32 s4, s4, s3
	s_mov_b32 s41, 0
	s_wait_kmcnt 0x0
	s_and_b32 s40, s2, 0xffff
	s_cmp_eq_u32 s5, 0
	s_mul_u64 s[14:15], s[14:15], s[12:13]
	s_cselect_b32 s34, ttmp9, s4
	s_mov_b32 s2, exec_lo
	v_mad_nc_u64_u32 v[2:3], s40, s34, v[0:1]
	s_delay_alu instid0(VALU_DEP_1)
	v_cmpx_gt_i64_e64 s[14:15], v[2:3]
	s_cbranch_execz .LBB32_64
; %bb.1:
	s_add_nc_u64 s[2:3], s[0:1], 56
	s_mov_b32 s35, s41
	s_load_b32 s36, s[2:3], 0x0
	s_mov_b32 s37, s41
	s_wait_kmcnt 0x0
	s_add_nc_u64 s[2:3], s[34:35], s[36:37]
	s_mul_u64 s[16:17], s[40:41], s[36:37]
	v_mad_nc_u64_u32 v[10:11], s2, s40, v[0:1]
	v_mov_b32_e32 v5, s41
	s_delay_alu instid0(VALU_DEP_2) | instskip(NEXT) | instid1(VALU_DEP_1)
	v_mad_u32 v11, s3, s40, v11
	v_max_i64 v[6:7], s[14:15], v[10:11]
	v_cmp_gt_i64_e32 vcc_lo, s[14:15], v[10:11]
	v_cndmask_b32_e64 v4, 0, 1, vcc_lo
	s_delay_alu instid0(VALU_DEP_1) | instskip(NEXT) | instid1(VALU_DEP_1)
	v_add_nc_u64_e32 v[8:9], v[10:11], v[4:5]
	v_sub_nc_u64_e32 v[6:7], v[6:7], v[8:9]
	s_delay_alu instid0(VALU_DEP_1) | instskip(NEXT) | instid1(VALU_DEP_1)
	v_dual_mov_b32 v8, v1 :: v_dual_bitop2_b32 v9, s17, v7 bitop3:0x54
	v_cmp_ne_u64_e32 vcc_lo, 0, v[8:9]
                                        ; implicit-def: $vgpr8_vgpr9
	s_and_saveexec_b32 s2, vcc_lo
	s_delay_alu instid0(SALU_CYCLE_1)
	s_xor_b32 s3, exec_lo, s2
	s_cbranch_execz .LBB32_3
; %bb.2:
	s_cvt_f32_u32 s2, s16
	s_cvt_f32_u32 s4, s17
	s_sub_nc_u64 s[6:7], 0, s[16:17]
	s_mov_b32 s11, 0
	v_dual_mov_b32 v9, 0 :: v_dual_mov_b32 v8, v6
	s_fmamk_f32 s2, s4, 0x4f800000, s2
	s_delay_alu instid0(SALU_CYCLE_3) | instskip(NEXT) | instid1(TRANS32_DEP_1)
	v_s_rcp_f32 s2, s2
	s_mul_f32 s2, s2, 0x5f7ffffc
	s_delay_alu instid0(SALU_CYCLE_3) | instskip(NEXT) | instid1(SALU_CYCLE_3)
	s_mul_f32 s4, s2, 0x2f800000
	s_trunc_f32 s4, s4
	s_delay_alu instid0(SALU_CYCLE_3) | instskip(SKIP_1) | instid1(SALU_CYCLE_2)
	s_fmamk_f32 s2, s4, 0xcf800000, s2
	s_cvt_u32_f32 s5, s4
	s_cvt_u32_f32 s4, s2
	s_delay_alu instid0(SALU_CYCLE_3) | instskip(NEXT) | instid1(SALU_CYCLE_1)
	s_mul_u64 s[8:9], s[6:7], s[4:5]
	s_mul_hi_u32 s19, s4, s9
	s_mul_i32 s18, s4, s9
	s_mul_hi_u32 s10, s4, s8
	s_mul_i32 s20, s5, s8
	s_add_nc_u64 s[18:19], s[10:11], s[18:19]
	s_mul_hi_u32 s2, s5, s8
	s_mul_hi_u32 s21, s5, s9
	s_mul_i32 s8, s5, s9
	s_add_co_u32 s9, s18, s20
	s_add_co_ci_u32 s10, s19, s2
	s_add_co_ci_u32 s9, s21, 0
	s_delay_alu instid0(SALU_CYCLE_1) | instskip(NEXT) | instid1(SALU_CYCLE_1)
	s_add_nc_u64 s[8:9], s[10:11], s[8:9]
	s_add_co_u32 s4, s4, s8
	s_cselect_b32 s2, -1, 0
	s_delay_alu instid0(SALU_CYCLE_1) | instskip(SKIP_1) | instid1(SALU_CYCLE_1)
	s_cmp_lg_u32 s2, 0
	s_add_co_ci_u32 s5, s5, s9
	s_mul_u64 s[6:7], s[6:7], s[4:5]
	s_delay_alu instid0(SALU_CYCLE_1)
	s_mul_hi_u32 s9, s4, s7
	s_mul_i32 s8, s4, s7
	s_mul_hi_u32 s10, s4, s6
	s_mul_i32 s18, s5, s6
	s_add_nc_u64 s[8:9], s[10:11], s[8:9]
	s_mul_hi_u32 s2, s5, s6
	s_mul_hi_u32 s19, s5, s7
	s_mul_i32 s6, s5, s7
	s_add_co_u32 s7, s8, s18
	s_add_co_ci_u32 s10, s9, s2
	s_add_co_ci_u32 s7, s19, 0
	s_delay_alu instid0(SALU_CYCLE_1) | instskip(NEXT) | instid1(SALU_CYCLE_1)
	s_add_nc_u64 s[6:7], s[10:11], s[6:7]
	s_add_co_u32 s2, s4, s6
	s_cselect_b32 s4, -1, 0
	s_delay_alu instid0(SALU_CYCLE_1)
	s_cmp_lg_u32 s4, 0
	s_add_co_ci_u32 s10, s5, s7
	s_mov_b64 s[4:5], 0xffffffff
	v_mul_u64_e32 v[12:13], s[10:11], v[8:9]
	v_mul_hi_u32 v8, v6, s2
	s_and_b64 s[4:5], s[2:3], s[4:5]
	s_delay_alu instid0(VALU_DEP_1) | instskip(SKIP_1) | instid1(VALU_DEP_1)
	v_add_nc_u64_e32 v[12:13], v[8:9], v[12:13]
	v_mov_b32_e32 v8, v7
	v_mul_u64_e32 v[14:15], s[4:5], v[8:9]
	v_mul_u64_e32 v[16:17], s[10:11], v[8:9]
	s_delay_alu instid0(VALU_DEP_2) | instskip(NEXT) | instid1(VALU_DEP_3)
	v_add_co_u32 v8, vcc_lo, v12, v14
	v_add_co_ci_u32_e32 v8, vcc_lo, v13, v15, vcc_lo
	s_delay_alu instid0(VALU_DEP_3) | instskip(NEXT) | instid1(VALU_DEP_1)
	v_add_co_ci_u32_e32 v17, vcc_lo, 0, v17, vcc_lo
	v_add_nc_u64_e32 v[8:9], v[8:9], v[16:17]
	s_delay_alu instid0(VALU_DEP_1) | instskip(NEXT) | instid1(VALU_DEP_1)
	v_mul_u64_e32 v[12:13], s[16:17], v[8:9]
	v_sub_nc_u32_e32 v14, v7, v13
	s_delay_alu instid0(VALU_DEP_2) | instskip(NEXT) | instid1(VALU_DEP_1)
	v_sub_co_u32 v6, vcc_lo, v6, v12
	v_sub_co_ci_u32_e64 v13, null, v7, v13, vcc_lo
	s_delay_alu instid0(VALU_DEP_3) | instskip(NEXT) | instid1(VALU_DEP_3)
	v_subrev_co_ci_u32_e64 v12, null, s17, v14, vcc_lo
	v_sub_co_u32 v16, s2, v6, s16
	v_cmp_le_u32_e32 vcc_lo, s16, v6
	s_delay_alu instid0(VALU_DEP_3) | instskip(NEXT) | instid1(VALU_DEP_3)
	v_subrev_co_ci_u32_e64 v12, null, 0, v12, s2
	v_cmp_le_u32_e64 s2, s16, v16
	v_add_nc_u64_e32 v[14:15], 2, v[8:9]
	v_cndmask_b32_e64 v18, 0, -1, vcc_lo
	s_delay_alu instid0(VALU_DEP_4) | instskip(SKIP_3) | instid1(VALU_DEP_1)
	v_cmp_eq_u32_e32 vcc_lo, s17, v12
	v_add_nc_u64_e32 v[6:7], 1, v[8:9]
	v_cndmask_b32_e64 v16, 0, -1, s2
	v_cmp_le_u32_e64 s2, s17, v12
	v_cndmask_b32_e64 v17, 0, -1, s2
	v_cmp_eq_u32_e64 s2, s17, v13
	s_delay_alu instid0(VALU_DEP_2) | instskip(SKIP_2) | instid1(VALU_DEP_3)
	v_cndmask_b32_e32 v12, v17, v16, vcc_lo
	v_cmp_le_u32_e32 vcc_lo, s17, v13
	v_cndmask_b32_e64 v16, 0, -1, vcc_lo
	v_cmp_ne_u32_e32 vcc_lo, 0, v12
	s_delay_alu instid0(VALU_DEP_2) | instskip(SKIP_1) | instid1(VALU_DEP_2)
	v_dual_cndmask_b32 v7, v7, v15, vcc_lo :: v_dual_cndmask_b32 v12, v16, v18, s2
	v_cndmask_b32_e32 v6, v6, v14, vcc_lo
	v_cmp_ne_u32_e32 vcc_lo, 0, v12
	s_delay_alu instid0(VALU_DEP_2)
	v_dual_cndmask_b32 v9, v9, v7 :: v_dual_cndmask_b32 v8, v8, v6
                                        ; implicit-def: $vgpr6_vgpr7
.LBB32_3:
	s_and_not1_saveexec_b32 s2, s3
	s_cbranch_execz .LBB32_5
; %bb.4:
	v_cvt_f32_u32_e32 v7, s16
	s_sub_co_i32 s3, 0, s16
	s_delay_alu instid0(VALU_DEP_1) | instskip(SKIP_1) | instid1(TRANS32_DEP_1)
	v_rcp_iflag_f32_e32 v7, v7
	v_nop
	v_mul_f32_e32 v7, 0x4f7ffffe, v7
	s_delay_alu instid0(VALU_DEP_1) | instskip(NEXT) | instid1(VALU_DEP_1)
	v_cvt_u32_f32_e32 v7, v7
	v_mul_lo_u32 v8, s3, v7
	s_delay_alu instid0(VALU_DEP_1) | instskip(NEXT) | instid1(VALU_DEP_1)
	v_mul_hi_u32 v8, v7, v8
	v_add_nc_u32_e32 v7, v7, v8
	s_delay_alu instid0(VALU_DEP_1) | instskip(NEXT) | instid1(VALU_DEP_1)
	v_mul_hi_u32 v7, v6, v7
	v_mul_lo_u32 v8, v7, s16
	s_delay_alu instid0(VALU_DEP_1) | instskip(NEXT) | instid1(VALU_DEP_1)
	v_dual_sub_nc_u32 v6, v6, v8 :: v_dual_add_nc_u32 v8, 1, v7
	v_subrev_nc_u32_e32 v9, s16, v6
	v_cmp_le_u32_e32 vcc_lo, s16, v6
	s_delay_alu instid0(VALU_DEP_2) | instskip(NEXT) | instid1(VALU_DEP_4)
	v_dual_cndmask_b32 v6, v6, v9 :: v_dual_mov_b32 v9, 0
	v_cndmask_b32_e32 v7, v7, v8, vcc_lo
	s_delay_alu instid0(VALU_DEP_2) | instskip(NEXT) | instid1(VALU_DEP_2)
	v_cmp_le_u32_e32 vcc_lo, s16, v6
	v_add_nc_u32_e32 v8, 1, v7
	s_delay_alu instid0(VALU_DEP_1)
	v_cndmask_b32_e32 v8, v7, v8, vcc_lo
.LBB32_5:
	s_or_b32 exec_lo, exec_lo, s2
	s_load_b256 s[4:11], s[0:1], 0x0
	s_delay_alu instid0(VALU_DEP_1) | instskip(SKIP_1) | instid1(VALU_DEP_1)
	v_add_nc_u64_e32 v[4:5], v[8:9], v[4:5]
	s_sub_nc_u64 s[20:21], 0, s[12:13]
                                        ; implicit-def: $vgpr6_vgpr7
	v_add_nc_u64_e32 v[20:21], 1, v[4:5]
                                        ; implicit-def: $vgpr4_vgpr5
	s_wait_kmcnt 0x0
	s_lshl_b64 s[0:1], s[8:9], 1
	s_delay_alu instid0(SALU_CYCLE_1)
	s_add_nc_u64 s[18:19], s[0:1], -2
	s_mov_b32 s0, 0
	v_cmp_lt_i64_e64 s57, s[18:19], 1
	v_cmp_gt_i64_e64 s33, s[18:19], 0
	s_mov_b32 s1, exec_lo
	v_cmpx_lt_u64_e32 3, v[20:21]
	s_xor_b32 s56, exec_lo, s1
	s_cbranch_execnz .LBB32_8
; %bb.6:
	s_and_not1_saveexec_b32 s1, s56
	s_cbranch_execnz .LBB32_51
.LBB32_7:
	s_or_b32 exec_lo, exec_lo, s1
	s_delay_alu instid0(SALU_CYCLE_1)
	s_and_b32 exec_lo, exec_lo, s0
	s_cbranch_execnz .LBB32_52
	s_branch .LBB32_64
.LBB32_8:
	s_lshl_b64 s[0:1], s[36:37], 1
	s_mul_u64 s[2:3], s[36:37], 3
	s_add_nc_u64 s[0:1], s[0:1], s[34:35]
	s_add_nc_u64 s[2:3], s[2:3], s[34:35]
	v_mad_nc_u64_u32 v[8:9], s16, 3, v[2:3]
	v_mad_nc_u64_u32 v[12:13], s0, s40, v[0:1]
	;; [unrolled: 1-line block ×5, first 2 shown]
	v_dual_mov_b32 v23, v21 :: v_dual_bitop2_b32 v22, -4, v20 bitop3:0x40
	v_sub_nc_u64_e64 v[30:31], v[10:11], s[10:11]
	v_mov_b32_e32 v32, 0
	v_sub_nc_u64_e64 v[0:1], v[2:3], s[10:11]
	v_lshl_add_u64 v[24:25], v[2:3], 1, s[6:7]
	v_mad_u32 v9, s17, 3, v9
	v_mad_u32 v13, s1, s40, v13
	;; [unrolled: 1-line block ×3, first 2 shown]
	v_lshl_add_u32 v7, s17, 1, v7
	v_add_nc_u32_e32 v5, s17, v5
	v_mov_b64_e32 v[34:35], v[22:23]
	s_lshl_b64 s[36:37], s[16:17], 2
	s_xor_b32 s58, s57, -1
	s_mov_b32 s22, s18
	s_mov_b32 s23, s19
	;; [unrolled: 1-line block ×3, first 2 shown]
	v_mov_b64_e32 v[10:11], v[8:9]
	v_sub_nc_u64_e64 v[26:27], v[12:13], s[10:11]
	v_sub_nc_u64_e64 v[28:29], v[14:15], s[10:11]
	v_mov_b64_e32 v[8:9], v[6:7]
	v_mov_b64_e32 v[6:7], v[4:5]
	;; [unrolled: 1-line block ×3, first 2 shown]
	s_mov_b32 s25, s19
	s_mov_b32 s26, s18
	;; [unrolled: 1-line block ×15, first 2 shown]
	s_mul_u64 s[46:47], s[16:17], 6
	s_lshl_b64 s[48:49], s[16:17], 3
	s_lshl_b64 s[40:41], s[16:17], 1
	s_mov_b64 s[50:51], 0xffffffff
	s_mov_b32 s3, 0
	s_ashr_i32 s52, s13, 31
	s_mov_b32 s59, 0
	s_branch .LBB32_11
.LBB32_9:                               ;   in Loop: Header=BB32_11 Depth=1
	s_or_b32 exec_lo, exec_lo, s0
.LBB32_10:                              ;   in Loop: Header=BB32_11 Depth=1
	s_delay_alu instid0(VALU_DEP_1) | instskip(SKIP_3) | instid1(VALU_DEP_4)
	v_dual_ashrrev_i32 v33, 31, v19 :: v_dual_ashrrev_i32 v46, 31, v17
	v_mul_u64_e32 v[36:37], s[8:9], v[36:37]
	v_ashrrev_i32_e32 v48, 31, v13
	v_mul_u64_e32 v[38:39], s[28:29], v[38:39]
	v_and_b32_e32 v45, s27, v33
	v_dual_ashrrev_i32 v33, 31, v15 :: v_dual_bitop2_b32 v44, s26, v33 bitop3:0x40
	v_and_b32_e32 v47, s25, v46
	v_and_b32_e32 v46, s24, v46
	;; [unrolled: 1-line block ×3, first 2 shown]
	s_delay_alu instid0(VALU_DEP_4)
	v_add_nc_u64_e32 v[18:19], v[44:45], v[18:19]
	v_mul_u64_e32 v[40:41], s[30:31], v[40:41]
	v_mul_u64_e32 v[42:43], s[34:35], v[42:43]
	v_add_nc_u64_e32 v[16:17], v[46:47], v[16:17]
	v_and_b32_e32 v51, s23, v33
	v_and_b32_e32 v50, s22, v33
	v_add_nc_u64_e32 v[34:35], -4, v[34:35]
	v_sub_nc_u64_e32 v[46:47], s[26:27], v[18:19]
	v_cmp_gt_i64_e64 s0, s[34:35], v[18:19]
	v_and_b32_e32 v48, s18, v48
	v_add_nc_u64_e32 v[14:15], v[50:51], v[14:15]
	v_sub_nc_u64_e32 v[50:51], s[24:25], v[16:17]
	v_cmp_gt_i64_e64 s2, s[30:31], v[16:17]
	v_add_nc_u64_e32 v[10:11], s[44:45], v[10:11]
	v_add_nc_u64_e32 v[12:13], v[48:49], v[12:13]
	;; [unrolled: 1-line block ×4, first 2 shown]
	v_sub_nc_u64_e32 v[48:49], s[22:23], v[14:15]
	v_cmp_gt_i64_e64 s1, s[28:29], v[14:15]
	v_add_nc_u64_e32 v[4:5], s[36:37], v[4:5]
	v_add_nc_u64_e32 v[0:1], s[36:37], v[0:1]
	v_sub_nc_u64_e32 v[44:45], s[18:19], v[12:13]
	v_cmp_gt_i64_e32 vcc_lo, s[8:9], v[12:13]
	v_add_nc_u64_e32 v[26:27], s[36:37], v[26:27]
	v_add_nc_u64_e32 v[28:29], s[36:37], v[28:29]
	v_lshl_add_u64 v[38:39], v[38:39], 1, s[4:5]
	v_add_nc_u64_e32 v[30:31], s[36:37], v[30:31]
	v_dual_cndmask_b32 v33, v44, v12 :: v_dual_cndmask_b32 v44, v45, v13
	v_dual_cndmask_b32 v12, v46, v18, s0 :: v_dual_cndmask_b32 v13, v47, v19, s0
	v_dual_cndmask_b32 v18, v48, v14, s1 :: v_dual_cndmask_b32 v45, v49, v15, s1
	;; [unrolled: 1-line block ×3, first 2 shown]
	s_delay_alu instid0(VALU_DEP_4)
	v_cndmask_b32_e64 v15, v44, 0, s57
	v_cndmask_b32_e64 v14, v33, 0, s57
	v_lshl_add_u64 v[16:17], v[36:37], 1, s[4:5]
	v_cndmask_b32_e64 v37, v45, 0, s57
	v_cndmask_b32_e64 v36, v18, 0, s57
	v_cndmask_b32_e64 v19, v19, 0, s57
	v_cndmask_b32_e64 v18, v46, 0, s57
	v_lshl_add_u64 v[14:15], v[14:15], 1, v[16:17]
	v_lshl_add_u64 v[16:17], v[40:41], 1, s[4:5]
	v_cndmask_b32_e64 v13, v13, 0, s57
	v_cndmask_b32_e64 v12, v12, 0, s57
	v_lshl_add_u64 v[40:41], v[42:43], 1, s[4:5]
	global_load_u16 v33, v[14:15], off
	v_lshl_add_u64 v[36:37], v[36:37], 1, v[38:39]
	s_wait_xcnt 0x0
	v_lshl_add_u64 v[14:15], v[18:19], 1, v[16:17]
	v_cmp_eq_u64_e32 vcc_lo, 0, v[34:35]
	v_lshl_add_u64 v[12:13], v[12:13], 1, v[40:41]
	s_clause 0x2
	global_load_u16 v18, v[36:37], off
	global_load_u16 v19, v[14:15], off
	;; [unrolled: 1-line block ×3, first 2 shown]
	s_wait_xcnt 0x0
	v_add_nc_u64_e32 v[12:13], s[40:41], v[24:25]
	v_add_nc_u64_e32 v[14:15], s[36:37], v[24:25]
	;; [unrolled: 1-line block ×3, first 2 shown]
	s_or_b32 s59, vcc_lo, s59
	s_wait_loadcnt 0x3
	global_store_b16 v[24:25], v33, off
	s_wait_xcnt 0x0
	v_add_nc_u64_e32 v[24:25], s[48:49], v[24:25]
	s_wait_loadcnt 0x2
	global_store_b16 v[12:13], v18, off
	s_wait_loadcnt 0x1
	global_store_b16 v[14:15], v19, off
	;; [unrolled: 2-line block ×3, first 2 shown]
	s_wait_xcnt 0x0
	s_and_not1_b32 exec_lo, exec_lo, s59
	s_cbranch_execz .LBB32_50
.LBB32_11:                              ; =>This Inner Loop Header: Depth=1
	v_or_b32_e32 v33, s13, v5
                                        ; implicit-def: $vgpr36_vgpr37
	s_mov_b32 s0, exec_lo
	s_delay_alu instid0(VALU_DEP_1)
	v_cmpx_ne_u64_e32 0, v[32:33]
	s_xor_b32 s1, exec_lo, s0
	s_cbranch_execz .LBB32_13
; %bb.12:                               ;   in Loop: Header=BB32_11 Depth=1
	s_mov_b32 s53, s52
	v_dual_mov_b32 v17, v32 :: v_dual_ashrrev_i32 v12, 31, v5
	s_add_nc_u64 s[54:55], s[12:13], s[52:53]
	v_mov_b32_e32 v41, v32
	s_xor_b64 s[54:55], s[54:55], s[52:53]
	s_delay_alu instid0(VALU_DEP_2) | instskip(SKIP_3) | instid1(VALU_DEP_1)
	v_mov_b32_e32 v13, v12
	s_cvt_f32_u32 s0, s54
	s_cvt_f32_u32 s2, s55
	s_sub_nc_u64 s[62:63], 0, s[54:55]
	v_add_nc_u64_e32 v[14:15], v[4:5], v[12:13]
	s_delay_alu instid0(SALU_CYCLE_1) | instskip(SKIP_1) | instid1(SALU_CYCLE_2)
	s_fmamk_f32 s0, s2, 0x4f800000, s0
	v_mov_b32_e32 v37, v32
	v_s_rcp_f32 s0, s0
	s_delay_alu instid0(VALU_DEP_2) | instskip(NEXT) | instid1(VALU_DEP_3)
	v_xor_b32_e32 v16, v14, v12
	v_xor_b32_e32 v36, v15, v12
	s_delay_alu instid0(TRANS32_DEP_1) | instskip(NEXT) | instid1(SALU_CYCLE_3)
	s_mul_f32 s0, s0, 0x5f7ffffc
	s_mul_f32 s2, s0, 0x2f800000
	s_delay_alu instid0(SALU_CYCLE_3) | instskip(NEXT) | instid1(SALU_CYCLE_3)
	s_trunc_f32 s2, s2
	s_fmamk_f32 s0, s2, 0xcf800000, s0
	s_cvt_u32_f32 s61, s2
	s_delay_alu instid0(SALU_CYCLE_2) | instskip(NEXT) | instid1(SALU_CYCLE_3)
	s_cvt_u32_f32 s60, s0
	s_mul_u64 s[64:65], s[62:63], s[60:61]
	s_delay_alu instid0(SALU_CYCLE_1)
	s_mul_hi_u32 s67, s60, s65
	s_mul_i32 s66, s60, s65
	s_mul_hi_u32 s2, s60, s64
	s_mul_i32 s53, s61, s64
	s_add_nc_u64 s[66:67], s[2:3], s[66:67]
	s_mul_hi_u32 s0, s61, s64
	s_mul_hi_u32 s68, s61, s65
	s_add_co_u32 s2, s66, s53
	s_add_co_ci_u32 s2, s67, s0
	s_mul_i32 s64, s61, s65
	s_add_co_ci_u32 s65, s68, 0
	s_delay_alu instid0(SALU_CYCLE_1) | instskip(NEXT) | instid1(SALU_CYCLE_1)
	s_add_nc_u64 s[64:65], s[2:3], s[64:65]
	s_add_co_u32 s60, s60, s64
	s_cselect_b32 s0, -1, 0
	s_delay_alu instid0(SALU_CYCLE_1) | instskip(SKIP_1) | instid1(SALU_CYCLE_1)
	s_cmp_lg_u32 s0, 0
	s_add_co_ci_u32 s61, s61, s65
	s_mul_u64 s[62:63], s[62:63], s[60:61]
	s_delay_alu instid0(SALU_CYCLE_1)
	s_mul_hi_u32 s65, s60, s63
	s_mul_i32 s64, s60, s63
	s_mul_hi_u32 s2, s60, s62
	s_mul_i32 s53, s61, s62
	s_add_nc_u64 s[64:65], s[2:3], s[64:65]
	s_mul_hi_u32 s0, s61, s62
	s_mul_hi_u32 s66, s61, s63
	s_add_co_u32 s2, s64, s53
	s_add_co_ci_u32 s2, s65, s0
	s_mul_i32 s62, s61, s63
	s_add_co_ci_u32 s63, s66, 0
	s_delay_alu instid0(SALU_CYCLE_1) | instskip(NEXT) | instid1(SALU_CYCLE_1)
	s_add_nc_u64 s[62:63], s[2:3], s[62:63]
	s_add_co_u32 s0, s60, s62
	s_cselect_b32 s2, -1, 0
	v_mul_hi_u32 v40, v16, s0
	s_cmp_lg_u32 s2, 0
	s_add_co_ci_u32 s2, s61, s63
	s_and_b64 s[60:61], s[0:1], s[50:51]
	v_mul_u64_e32 v[18:19], s[2:3], v[16:17]
	v_mul_u64_e32 v[14:15], s[60:61], v[36:37]
	;; [unrolled: 1-line block ×3, first 2 shown]
	s_delay_alu instid0(VALU_DEP_3) | instskip(NEXT) | instid1(VALU_DEP_1)
	v_add_nc_u64_e32 v[18:19], v[40:41], v[18:19]
	v_add_co_u32 v13, vcc_lo, v18, v14
	s_delay_alu instid0(VALU_DEP_2) | instskip(NEXT) | instid1(VALU_DEP_4)
	v_add_co_ci_u32_e32 v40, vcc_lo, v19, v15, vcc_lo
	v_add_co_ci_u32_e32 v39, vcc_lo, 0, v39, vcc_lo
	s_delay_alu instid0(VALU_DEP_1) | instskip(NEXT) | instid1(VALU_DEP_1)
	v_add_nc_u64_e32 v[14:15], v[40:41], v[38:39]
	v_mul_u64_e32 v[18:19], s[54:55], v[14:15]
	s_delay_alu instid0(VALU_DEP_1) | instskip(NEXT) | instid1(VALU_DEP_2)
	v_sub_nc_u32_e32 v13, v36, v19
	v_sub_co_u32 v16, vcc_lo, v16, v18
	s_delay_alu instid0(VALU_DEP_1) | instskip(NEXT) | instid1(VALU_DEP_3)
	v_sub_co_ci_u32_e64 v33, null, v36, v19, vcc_lo
	v_subrev_co_ci_u32_e64 v13, null, s55, v13, vcc_lo
	s_delay_alu instid0(VALU_DEP_3) | instskip(NEXT) | instid1(VALU_DEP_1)
	v_sub_co_u32 v17, s0, v16, s54
	v_subrev_co_ci_u32_e64 v13, null, 0, v13, s0
	s_delay_alu instid0(VALU_DEP_2) | instskip(SKIP_1) | instid1(VALU_DEP_3)
	v_cmp_le_u32_e32 vcc_lo, s54, v17
	v_cndmask_b32_e64 v17, 0, -1, vcc_lo
	v_cmp_le_u32_e32 vcc_lo, s55, v13
	v_cndmask_b32_e64 v18, 0, -1, vcc_lo
	;; [unrolled: 2-line block ×4, first 2 shown]
	v_cmp_eq_u32_e32 vcc_lo, s55, v13
	v_cndmask_b32_e32 v13, v18, v17, vcc_lo
	v_cmp_eq_u32_e32 vcc_lo, s55, v33
	v_add_nc_u64_e32 v[16:17], 2, v[14:15]
	v_add_nc_u64_e32 v[18:19], 1, v[14:15]
	v_cndmask_b32_e32 v33, v37, v36, vcc_lo
	v_cmp_ne_u32_e32 vcc_lo, 0, v13
	s_delay_alu instid0(VALU_DEP_2) | instskip(NEXT) | instid1(VALU_DEP_4)
	v_cmp_ne_u32_e64 s0, 0, v33
	v_dual_cndmask_b32 v13, v19, v17 :: v_dual_cndmask_b32 v16, v18, v16
	s_delay_alu instid0(VALU_DEP_1) | instskip(NEXT) | instid1(VALU_DEP_1)
	v_dual_cndmask_b32 v15, v15, v13, s0 :: v_dual_bitop2_b32 v12, s52, v12 bitop3:0x14
	v_dual_cndmask_b32 v14, v14, v16, s0 :: v_dual_mov_b32 v13, v12
	s_delay_alu instid0(VALU_DEP_2) | instskip(NEXT) | instid1(VALU_DEP_2)
	v_xor_b32_e32 v15, v15, v12
	v_xor_b32_e32 v14, v14, v12
	s_delay_alu instid0(VALU_DEP_1)
	v_sub_nc_u64_e32 v[36:37], v[14:15], v[12:13]
.LBB32_13:                              ;   in Loop: Header=BB32_11 Depth=1
	s_or_saveexec_b32 s0, s1
	v_cvt_f32_u32_e32 v12, s12
	s_delay_alu instid0(VALU_DEP_1)
	v_rcp_iflag_f32_e32 v12, v12
	s_xor_b32 exec_lo, exec_lo, s0
	s_cbranch_execz .LBB32_15
; %bb.14:                               ;   in Loop: Header=BB32_11 Depth=1
	v_nop
	s_delay_alu instid0(TRANS32_DEP_1) | instskip(SKIP_2) | instid1(VALU_DEP_2)
	v_mul_f32_e32 v13, 0x4f7ffffe, v12
	s_sub_co_i32 s1, 0, s12
	v_mov_b32_e32 v37, v32
	v_cvt_u32_f32_e32 v13, v13
	s_delay_alu instid0(VALU_DEP_1) | instskip(NEXT) | instid1(VALU_DEP_1)
	v_mul_lo_u32 v14, s1, v13
	v_mul_hi_u32 v14, v13, v14
	s_delay_alu instid0(VALU_DEP_1) | instskip(NEXT) | instid1(VALU_DEP_1)
	v_add_nc_u32_e32 v13, v13, v14
	v_mul_hi_u32 v13, v4, v13
	s_delay_alu instid0(VALU_DEP_1) | instskip(NEXT) | instid1(VALU_DEP_1)
	v_mul_lo_u32 v14, v13, s12
	v_dual_add_nc_u32 v15, 1, v13 :: v_dual_sub_nc_u32 v14, v4, v14
	s_delay_alu instid0(VALU_DEP_1) | instskip(SKIP_1) | instid1(VALU_DEP_2)
	v_subrev_nc_u32_e32 v16, s12, v14
	v_cmp_le_u32_e32 vcc_lo, s12, v14
	v_dual_cndmask_b32 v14, v14, v16 :: v_dual_cndmask_b32 v13, v13, v15
	s_delay_alu instid0(VALU_DEP_1) | instskip(NEXT) | instid1(VALU_DEP_2)
	v_cmp_le_u32_e32 vcc_lo, s12, v14
	v_add_nc_u32_e32 v15, 1, v13
	s_delay_alu instid0(VALU_DEP_1)
	v_cndmask_b32_e32 v36, v13, v15, vcc_lo
.LBB32_15:                              ;   in Loop: Header=BB32_11 Depth=1
	s_or_b32 exec_lo, exec_lo, s0
	v_or_b32_e32 v33, s13, v7
                                        ; implicit-def: $vgpr38_vgpr39
	s_mov_b32 s0, exec_lo
	s_delay_alu instid0(VALU_DEP_1)
	v_cmpx_ne_u64_e32 0, v[32:33]
	s_xor_b32 s1, exec_lo, s0
	s_cbranch_execz .LBB32_17
; %bb.16:                               ;   in Loop: Header=BB32_11 Depth=1
	s_mov_b32 s53, s52
	v_dual_mov_b32 v19, v32 :: v_dual_ashrrev_i32 v14, 31, v7
	s_add_nc_u64 s[54:55], s[12:13], s[52:53]
	v_mov_b32_e32 v45, v32
	s_xor_b64 s[54:55], s[54:55], s[52:53]
	s_delay_alu instid0(VALU_DEP_2) | instskip(SKIP_3) | instid1(VALU_DEP_1)
	v_mov_b32_e32 v15, v14
	s_cvt_f32_u32 s0, s54
	s_cvt_f32_u32 s2, s55
	s_sub_nc_u64 s[62:63], 0, s[54:55]
	v_add_nc_u64_e32 v[16:17], v[6:7], v[14:15]
	s_delay_alu instid0(SALU_CYCLE_1) | instskip(SKIP_1) | instid1(SALU_CYCLE_2)
	s_fmamk_f32 s0, s2, 0x4f800000, s0
	v_mov_b32_e32 v41, v32
	v_s_rcp_f32 s0, s0
	s_delay_alu instid0(VALU_DEP_2) | instskip(NEXT) | instid1(VALU_DEP_3)
	v_xor_b32_e32 v18, v16, v14
	v_xor_b32_e32 v40, v17, v14
	;; [unrolled: 1-line block ×3, first 2 shown]
	s_delay_alu instid0(TRANS32_DEP_1) | instskip(NEXT) | instid1(SALU_CYCLE_3)
	s_mul_f32 s0, s0, 0x5f7ffffc
	s_mul_f32 s2, s0, 0x2f800000
	s_delay_alu instid0(SALU_CYCLE_3) | instskip(NEXT) | instid1(SALU_CYCLE_3)
	s_trunc_f32 s2, s2
	s_fmamk_f32 s0, s2, 0xcf800000, s0
	s_cvt_u32_f32 s61, s2
	s_delay_alu instid0(SALU_CYCLE_2) | instskip(NEXT) | instid1(SALU_CYCLE_3)
	s_cvt_u32_f32 s60, s0
	s_mul_u64 s[64:65], s[62:63], s[60:61]
	s_delay_alu instid0(SALU_CYCLE_1)
	s_mul_hi_u32 s67, s60, s65
	s_mul_i32 s66, s60, s65
	s_mul_hi_u32 s2, s60, s64
	s_mul_i32 s53, s61, s64
	s_add_nc_u64 s[66:67], s[2:3], s[66:67]
	s_mul_hi_u32 s0, s61, s64
	s_mul_hi_u32 s68, s61, s65
	s_add_co_u32 s2, s66, s53
	s_add_co_ci_u32 s2, s67, s0
	s_mul_i32 s64, s61, s65
	s_add_co_ci_u32 s65, s68, 0
	s_delay_alu instid0(SALU_CYCLE_1) | instskip(NEXT) | instid1(SALU_CYCLE_1)
	s_add_nc_u64 s[64:65], s[2:3], s[64:65]
	s_add_co_u32 s60, s60, s64
	s_cselect_b32 s0, -1, 0
	s_delay_alu instid0(SALU_CYCLE_1) | instskip(SKIP_1) | instid1(SALU_CYCLE_1)
	s_cmp_lg_u32 s0, 0
	s_add_co_ci_u32 s61, s61, s65
	s_mul_u64 s[62:63], s[62:63], s[60:61]
	s_delay_alu instid0(SALU_CYCLE_1)
	s_mul_hi_u32 s65, s60, s63
	s_mul_i32 s64, s60, s63
	s_mul_hi_u32 s2, s60, s62
	s_mul_i32 s53, s61, s62
	s_add_nc_u64 s[64:65], s[2:3], s[64:65]
	s_mul_hi_u32 s0, s61, s62
	s_mul_hi_u32 s66, s61, s63
	s_add_co_u32 s2, s64, s53
	s_add_co_ci_u32 s2, s65, s0
	s_mul_i32 s62, s61, s63
	s_add_co_ci_u32 s63, s66, 0
	s_delay_alu instid0(SALU_CYCLE_1) | instskip(NEXT) | instid1(SALU_CYCLE_1)
	s_add_nc_u64 s[62:63], s[2:3], s[62:63]
	s_add_co_u32 s0, s60, s62
	s_cselect_b32 s2, -1, 0
	v_mul_hi_u32 v44, v18, s0
	s_cmp_lg_u32 s2, 0
	s_add_co_ci_u32 s2, s61, s63
	s_and_b64 s[60:61], s[0:1], s[50:51]
	v_mul_u64_e32 v[38:39], s[2:3], v[18:19]
	v_mul_u64_e32 v[16:17], s[60:61], v[40:41]
	;; [unrolled: 1-line block ×3, first 2 shown]
	s_delay_alu instid0(VALU_DEP_3) | instskip(NEXT) | instid1(VALU_DEP_1)
	v_add_nc_u64_e32 v[38:39], v[44:45], v[38:39]
	v_add_co_u32 v13, vcc_lo, v38, v16
	s_delay_alu instid0(VALU_DEP_2) | instskip(NEXT) | instid1(VALU_DEP_4)
	v_add_co_ci_u32_e32 v44, vcc_lo, v39, v17, vcc_lo
	v_add_co_ci_u32_e32 v43, vcc_lo, 0, v43, vcc_lo
	s_delay_alu instid0(VALU_DEP_1) | instskip(NEXT) | instid1(VALU_DEP_1)
	v_add_nc_u64_e32 v[16:17], v[44:45], v[42:43]
	v_mul_u64_e32 v[38:39], s[54:55], v[16:17]
	s_delay_alu instid0(VALU_DEP_1) | instskip(NEXT) | instid1(VALU_DEP_2)
	v_sub_nc_u32_e32 v13, v40, v39
	v_sub_co_u32 v15, vcc_lo, v18, v38
	s_delay_alu instid0(VALU_DEP_1) | instskip(NEXT) | instid1(VALU_DEP_3)
	v_sub_co_ci_u32_e64 v33, null, v40, v39, vcc_lo
	v_subrev_co_ci_u32_e64 v13, null, s55, v13, vcc_lo
	s_delay_alu instid0(VALU_DEP_3) | instskip(SKIP_1) | instid1(VALU_DEP_3)
	v_sub_co_u32 v18, s0, v15, s54
	v_add_nc_u64_e32 v[38:39], 1, v[16:17]
	v_subrev_co_ci_u32_e64 v13, null, 0, v13, s0
	s_delay_alu instid0(VALU_DEP_3) | instskip(SKIP_1) | instid1(VALU_DEP_3)
	v_cmp_le_u32_e32 vcc_lo, s54, v18
	v_cndmask_b32_e64 v18, 0, -1, vcc_lo
	v_cmp_le_u32_e32 vcc_lo, s55, v13
	v_cndmask_b32_e64 v19, 0, -1, vcc_lo
	;; [unrolled: 2-line block ×4, first 2 shown]
	v_cmp_eq_u32_e32 vcc_lo, s55, v13
	v_cndmask_b32_e32 v13, v19, v18, vcc_lo
	v_cmp_eq_u32_e32 vcc_lo, s55, v33
	v_add_nc_u64_e32 v[18:19], 2, v[16:17]
	v_cndmask_b32_e32 v15, v40, v15, vcc_lo
	s_delay_alu instid0(VALU_DEP_4) | instskip(NEXT) | instid1(VALU_DEP_2)
	v_cmp_ne_u32_e32 vcc_lo, 0, v13
	v_cmp_ne_u32_e64 s0, 0, v15
	s_delay_alu instid0(VALU_DEP_4) | instskip(NEXT) | instid1(VALU_DEP_1)
	v_dual_cndmask_b32 v13, v39, v19, vcc_lo :: v_dual_cndmask_b32 v15, v38, v18, vcc_lo
	v_dual_cndmask_b32 v16, v16, v15, s0 :: v_dual_mov_b32 v15, v14
	s_delay_alu instid0(VALU_DEP_1) | instskip(NEXT) | instid1(VALU_DEP_1)
	v_dual_cndmask_b32 v13, v17, v13, s0 :: v_dual_bitop2_b32 v16, v16, v14 bitop3:0x14
	v_xor_b32_e32 v17, v13, v14
	s_delay_alu instid0(VALU_DEP_1)
	v_sub_nc_u64_e32 v[38:39], v[16:17], v[14:15]
.LBB32_17:                              ;   in Loop: Header=BB32_11 Depth=1
	s_and_not1_saveexec_b32 s0, s1
	s_cbranch_execz .LBB32_19
; %bb.18:                               ;   in Loop: Header=BB32_11 Depth=1
	v_mul_f32_e32 v13, 0x4f7ffffe, v12
	s_sub_co_i32 s1, 0, s12
	v_mov_b32_e32 v39, v32
	s_delay_alu instid0(VALU_DEP_2) | instskip(NEXT) | instid1(VALU_DEP_1)
	v_cvt_u32_f32_e32 v13, v13
	v_mul_lo_u32 v14, s1, v13
	s_delay_alu instid0(VALU_DEP_1) | instskip(NEXT) | instid1(VALU_DEP_1)
	v_mul_hi_u32 v14, v13, v14
	v_add_nc_u32_e32 v13, v13, v14
	s_delay_alu instid0(VALU_DEP_1) | instskip(NEXT) | instid1(VALU_DEP_1)
	v_mul_hi_u32 v13, v6, v13
	v_mul_lo_u32 v14, v13, s12
	s_delay_alu instid0(VALU_DEP_1) | instskip(NEXT) | instid1(VALU_DEP_1)
	v_dual_add_nc_u32 v15, 1, v13 :: v_dual_sub_nc_u32 v14, v6, v14
	v_subrev_nc_u32_e32 v16, s12, v14
	v_cmp_le_u32_e32 vcc_lo, s12, v14
	s_delay_alu instid0(VALU_DEP_2) | instskip(NEXT) | instid1(VALU_DEP_1)
	v_dual_cndmask_b32 v14, v14, v16 :: v_dual_cndmask_b32 v13, v13, v15
	v_cmp_le_u32_e32 vcc_lo, s12, v14
	s_delay_alu instid0(VALU_DEP_2) | instskip(NEXT) | instid1(VALU_DEP_1)
	v_add_nc_u32_e32 v15, 1, v13
	v_cndmask_b32_e32 v38, v13, v15, vcc_lo
.LBB32_19:                              ;   in Loop: Header=BB32_11 Depth=1
	s_or_b32 exec_lo, exec_lo, s0
	v_or_b32_e32 v33, s13, v9
                                        ; implicit-def: $vgpr40_vgpr41
	s_mov_b32 s0, exec_lo
	s_delay_alu instid0(VALU_DEP_1)
	v_cmpx_ne_u64_e32 0, v[32:33]
	s_xor_b32 s1, exec_lo, s0
	s_cbranch_execz .LBB32_21
; %bb.20:                               ;   in Loop: Header=BB32_11 Depth=1
	s_mov_b32 s53, s52
	v_dual_mov_b32 v19, v32 :: v_dual_ashrrev_i32 v14, 31, v9
	s_add_nc_u64 s[54:55], s[12:13], s[52:53]
	s_delay_alu instid0(SALU_CYCLE_1) | instskip(NEXT) | instid1(VALU_DEP_1)
	s_xor_b64 s[54:55], s[54:55], s[52:53]
	v_mov_b32_e32 v15, v14
	s_cvt_f32_u32 s0, s54
	s_cvt_f32_u32 s2, s55
	s_sub_nc_u64 s[62:63], 0, s[54:55]
	s_delay_alu instid0(VALU_DEP_1) | instskip(NEXT) | instid1(SALU_CYCLE_1)
	v_add_nc_u64_e32 v[16:17], v[8:9], v[14:15]
	s_fmamk_f32 s0, s2, 0x4f800000, s0
	v_mov_b32_e32 v43, v32
	s_delay_alu instid0(SALU_CYCLE_2) | instskip(NEXT) | instid1(VALU_DEP_2)
	v_s_rcp_f32 s0, s0
	v_xor_b32_e32 v18, v16, v14
	s_delay_alu instid0(VALU_DEP_3) | instskip(NEXT) | instid1(TRANS32_DEP_1)
	v_dual_mov_b32 v47, v32 :: v_dual_bitop2_b32 v42, v17, v14 bitop3:0x14
	s_mul_f32 s0, s0, 0x5f7ffffc
	s_delay_alu instid0(SALU_CYCLE_3) | instskip(NEXT) | instid1(SALU_CYCLE_3)
	s_mul_f32 s2, s0, 0x2f800000
	s_trunc_f32 s2, s2
	s_delay_alu instid0(SALU_CYCLE_3) | instskip(SKIP_1) | instid1(SALU_CYCLE_2)
	s_fmamk_f32 s0, s2, 0xcf800000, s0
	s_cvt_u32_f32 s61, s2
	s_cvt_u32_f32 s60, s0
	s_delay_alu instid0(SALU_CYCLE_3) | instskip(NEXT) | instid1(SALU_CYCLE_1)
	s_mul_u64 s[64:65], s[62:63], s[60:61]
	s_mul_hi_u32 s67, s60, s65
	s_mul_i32 s66, s60, s65
	s_mul_hi_u32 s2, s60, s64
	s_mul_i32 s53, s61, s64
	s_add_nc_u64 s[66:67], s[2:3], s[66:67]
	s_mul_hi_u32 s0, s61, s64
	s_mul_hi_u32 s68, s61, s65
	s_add_co_u32 s2, s66, s53
	s_add_co_ci_u32 s2, s67, s0
	s_mul_i32 s64, s61, s65
	s_add_co_ci_u32 s65, s68, 0
	s_delay_alu instid0(SALU_CYCLE_1) | instskip(NEXT) | instid1(SALU_CYCLE_1)
	s_add_nc_u64 s[64:65], s[2:3], s[64:65]
	s_add_co_u32 s60, s60, s64
	s_cselect_b32 s0, -1, 0
	s_delay_alu instid0(SALU_CYCLE_1) | instskip(SKIP_1) | instid1(SALU_CYCLE_1)
	s_cmp_lg_u32 s0, 0
	s_add_co_ci_u32 s61, s61, s65
	s_mul_u64 s[62:63], s[62:63], s[60:61]
	s_delay_alu instid0(SALU_CYCLE_1)
	s_mul_hi_u32 s65, s60, s63
	s_mul_i32 s64, s60, s63
	s_mul_hi_u32 s2, s60, s62
	s_mul_i32 s53, s61, s62
	s_add_nc_u64 s[64:65], s[2:3], s[64:65]
	s_mul_hi_u32 s0, s61, s62
	s_mul_hi_u32 s66, s61, s63
	s_add_co_u32 s2, s64, s53
	s_add_co_ci_u32 s2, s65, s0
	s_mul_i32 s62, s61, s63
	s_add_co_ci_u32 s63, s66, 0
	s_delay_alu instid0(SALU_CYCLE_1) | instskip(NEXT) | instid1(SALU_CYCLE_1)
	s_add_nc_u64 s[62:63], s[2:3], s[62:63]
	s_add_co_u32 s0, s60, s62
	s_cselect_b32 s2, -1, 0
	v_mul_hi_u32 v46, v18, s0
	s_cmp_lg_u32 s2, 0
	s_add_co_ci_u32 s2, s61, s63
	s_and_b64 s[60:61], s[0:1], s[50:51]
	v_mul_u64_e32 v[40:41], s[2:3], v[18:19]
	v_mul_u64_e32 v[16:17], s[60:61], v[42:43]
	;; [unrolled: 1-line block ×3, first 2 shown]
	s_delay_alu instid0(VALU_DEP_3) | instskip(NEXT) | instid1(VALU_DEP_1)
	v_add_nc_u64_e32 v[40:41], v[46:47], v[40:41]
	v_add_co_u32 v13, vcc_lo, v40, v16
	s_delay_alu instid0(VALU_DEP_2) | instskip(NEXT) | instid1(VALU_DEP_4)
	v_add_co_ci_u32_e32 v46, vcc_lo, v41, v17, vcc_lo
	v_add_co_ci_u32_e32 v45, vcc_lo, 0, v45, vcc_lo
	s_delay_alu instid0(VALU_DEP_1) | instskip(NEXT) | instid1(VALU_DEP_1)
	v_add_nc_u64_e32 v[16:17], v[46:47], v[44:45]
	v_mul_u64_e32 v[40:41], s[54:55], v[16:17]
	s_delay_alu instid0(VALU_DEP_1) | instskip(NEXT) | instid1(VALU_DEP_2)
	v_sub_nc_u32_e32 v13, v42, v41
	v_sub_co_u32 v15, vcc_lo, v18, v40
	s_delay_alu instid0(VALU_DEP_1) | instskip(NEXT) | instid1(VALU_DEP_3)
	v_sub_co_ci_u32_e64 v33, null, v42, v41, vcc_lo
	v_subrev_co_ci_u32_e64 v13, null, s55, v13, vcc_lo
	s_delay_alu instid0(VALU_DEP_3) | instskip(SKIP_1) | instid1(VALU_DEP_3)
	v_sub_co_u32 v18, s0, v15, s54
	v_add_nc_u64_e32 v[40:41], 1, v[16:17]
	v_subrev_co_ci_u32_e64 v13, null, 0, v13, s0
	s_delay_alu instid0(VALU_DEP_3) | instskip(SKIP_1) | instid1(VALU_DEP_3)
	v_cmp_le_u32_e32 vcc_lo, s54, v18
	v_cndmask_b32_e64 v18, 0, -1, vcc_lo
	v_cmp_le_u32_e32 vcc_lo, s55, v13
	v_cndmask_b32_e64 v19, 0, -1, vcc_lo
	;; [unrolled: 2-line block ×4, first 2 shown]
	v_cmp_eq_u32_e32 vcc_lo, s55, v13
	v_cndmask_b32_e32 v13, v19, v18, vcc_lo
	v_cmp_eq_u32_e32 vcc_lo, s55, v33
	v_add_nc_u64_e32 v[18:19], 2, v[16:17]
	v_cndmask_b32_e32 v15, v42, v15, vcc_lo
	s_delay_alu instid0(VALU_DEP_4) | instskip(NEXT) | instid1(VALU_DEP_2)
	v_cmp_ne_u32_e32 vcc_lo, 0, v13
	v_cmp_ne_u32_e64 s0, 0, v15
	s_delay_alu instid0(VALU_DEP_4) | instskip(NEXT) | instid1(VALU_DEP_1)
	v_dual_cndmask_b32 v13, v41, v19, vcc_lo :: v_dual_cndmask_b32 v15, v40, v18, vcc_lo
	v_dual_cndmask_b32 v13, v17, v13, s0 :: v_dual_bitop2_b32 v14, s52, v14 bitop3:0x14
	s_delay_alu instid0(VALU_DEP_1) | instskip(NEXT) | instid1(VALU_DEP_2)
	v_dual_cndmask_b32 v16, v16, v15, s0 :: v_dual_mov_b32 v15, v14
	v_xor_b32_e32 v17, v13, v14
	s_delay_alu instid0(VALU_DEP_2) | instskip(NEXT) | instid1(VALU_DEP_1)
	v_xor_b32_e32 v16, v16, v14
	v_sub_nc_u64_e32 v[40:41], v[16:17], v[14:15]
.LBB32_21:                              ;   in Loop: Header=BB32_11 Depth=1
	s_and_not1_saveexec_b32 s0, s1
	s_cbranch_execz .LBB32_23
; %bb.22:                               ;   in Loop: Header=BB32_11 Depth=1
	v_mul_f32_e32 v13, 0x4f7ffffe, v12
	s_sub_co_i32 s1, 0, s12
	v_mov_b32_e32 v41, v32
	s_delay_alu instid0(VALU_DEP_2) | instskip(NEXT) | instid1(VALU_DEP_1)
	v_cvt_u32_f32_e32 v13, v13
	v_mul_lo_u32 v14, s1, v13
	s_delay_alu instid0(VALU_DEP_1) | instskip(NEXT) | instid1(VALU_DEP_1)
	v_mul_hi_u32 v14, v13, v14
	v_add_nc_u32_e32 v13, v13, v14
	s_delay_alu instid0(VALU_DEP_1) | instskip(NEXT) | instid1(VALU_DEP_1)
	v_mul_hi_u32 v13, v8, v13
	v_mul_lo_u32 v14, v13, s12
	s_delay_alu instid0(VALU_DEP_1) | instskip(NEXT) | instid1(VALU_DEP_1)
	v_dual_add_nc_u32 v15, 1, v13 :: v_dual_sub_nc_u32 v14, v8, v14
	v_subrev_nc_u32_e32 v16, s12, v14
	v_cmp_le_u32_e32 vcc_lo, s12, v14
	s_delay_alu instid0(VALU_DEP_2) | instskip(NEXT) | instid1(VALU_DEP_1)
	v_dual_cndmask_b32 v14, v14, v16 :: v_dual_cndmask_b32 v13, v13, v15
	v_cmp_le_u32_e32 vcc_lo, s12, v14
	s_delay_alu instid0(VALU_DEP_2) | instskip(NEXT) | instid1(VALU_DEP_1)
	v_add_nc_u32_e32 v15, 1, v13
	v_cndmask_b32_e32 v40, v13, v15, vcc_lo
.LBB32_23:                              ;   in Loop: Header=BB32_11 Depth=1
	s_or_b32 exec_lo, exec_lo, s0
	v_or_b32_e32 v33, s13, v11
                                        ; implicit-def: $vgpr42_vgpr43
	s_mov_b32 s0, exec_lo
	s_delay_alu instid0(VALU_DEP_1)
	v_cmpx_ne_u64_e32 0, v[32:33]
	s_xor_b32 s1, exec_lo, s0
	s_cbranch_execnz .LBB32_29
; %bb.24:                               ;   in Loop: Header=BB32_11 Depth=1
	s_and_not1_saveexec_b32 s0, s1
	s_cbranch_execnz .LBB32_30
.LBB32_25:                              ;   in Loop: Header=BB32_11 Depth=1
	s_or_b32 exec_lo, exec_lo, s0
	s_delay_alu instid0(SALU_CYCLE_1)
	s_and_not1_b32 vcc_lo, exec_lo, s58
                                        ; implicit-def: $vgpr12_vgpr13_vgpr14_vgpr15_vgpr16_vgpr17_vgpr18_vgpr19
	s_cbranch_vccz .LBB32_31
.LBB32_26:                              ;   in Loop: Header=BB32_11 Depth=1
	s_and_not1_b32 vcc_lo, exec_lo, s58
	s_cbranch_vccz .LBB32_36
.LBB32_27:                              ;   in Loop: Header=BB32_11 Depth=1
	s_and_not1_b32 vcc_lo, exec_lo, s58
	s_cbranch_vccz .LBB32_41
.LBB32_28:                              ;   in Loop: Header=BB32_11 Depth=1
	s_and_not1_b32 vcc_lo, exec_lo, s58
	s_cbranch_vccnz .LBB32_10
	s_branch .LBB32_46
.LBB32_29:                              ;   in Loop: Header=BB32_11 Depth=1
	s_mov_b32 s53, s52
	v_dual_mov_b32 v17, v32 :: v_dual_ashrrev_i32 v12, 31, v11
	s_add_nc_u64 s[54:55], s[12:13], s[52:53]
	s_delay_alu instid0(SALU_CYCLE_1) | instskip(NEXT) | instid1(VALU_DEP_1)
	s_xor_b64 s[54:55], s[54:55], s[52:53]
	v_mov_b32_e32 v13, v12
	s_cvt_f32_u32 s0, s54
	s_cvt_f32_u32 s2, s55
	s_sub_nc_u64 s[62:63], 0, s[54:55]
	s_delay_alu instid0(VALU_DEP_1) | instskip(NEXT) | instid1(SALU_CYCLE_1)
	v_add_nc_u64_e32 v[14:15], v[10:11], v[12:13]
	s_fmamk_f32 s0, s2, 0x4f800000, s0
	v_mov_b32_e32 v43, v32
	s_delay_alu instid0(SALU_CYCLE_2) | instskip(NEXT) | instid1(VALU_DEP_2)
	v_s_rcp_f32 s0, s0
	v_xor_b32_e32 v16, v14, v12
	s_delay_alu instid0(VALU_DEP_3) | instskip(NEXT) | instid1(TRANS32_DEP_1)
	v_dual_mov_b32 v47, v32 :: v_dual_bitop2_b32 v42, v15, v12 bitop3:0x14
	s_mul_f32 s0, s0, 0x5f7ffffc
	s_delay_alu instid0(SALU_CYCLE_3) | instskip(NEXT) | instid1(SALU_CYCLE_3)
	s_mul_f32 s2, s0, 0x2f800000
	s_trunc_f32 s2, s2
	s_delay_alu instid0(SALU_CYCLE_3) | instskip(SKIP_1) | instid1(SALU_CYCLE_2)
	s_fmamk_f32 s0, s2, 0xcf800000, s0
	s_cvt_u32_f32 s61, s2
	s_cvt_u32_f32 s60, s0
	s_delay_alu instid0(SALU_CYCLE_3) | instskip(NEXT) | instid1(SALU_CYCLE_1)
	s_mul_u64 s[64:65], s[62:63], s[60:61]
	s_mul_hi_u32 s67, s60, s65
	s_mul_i32 s66, s60, s65
	s_mul_hi_u32 s2, s60, s64
	s_mul_i32 s53, s61, s64
	s_add_nc_u64 s[66:67], s[2:3], s[66:67]
	s_mul_hi_u32 s0, s61, s64
	s_mul_hi_u32 s68, s61, s65
	s_add_co_u32 s2, s66, s53
	s_add_co_ci_u32 s2, s67, s0
	s_mul_i32 s64, s61, s65
	s_add_co_ci_u32 s65, s68, 0
	s_delay_alu instid0(SALU_CYCLE_1) | instskip(NEXT) | instid1(SALU_CYCLE_1)
	s_add_nc_u64 s[64:65], s[2:3], s[64:65]
	s_add_co_u32 s60, s60, s64
	s_cselect_b32 s0, -1, 0
	s_delay_alu instid0(SALU_CYCLE_1) | instskip(SKIP_1) | instid1(SALU_CYCLE_1)
	s_cmp_lg_u32 s0, 0
	s_add_co_ci_u32 s61, s61, s65
	s_mul_u64 s[62:63], s[62:63], s[60:61]
	s_delay_alu instid0(SALU_CYCLE_1)
	s_mul_hi_u32 s65, s60, s63
	s_mul_i32 s64, s60, s63
	s_mul_hi_u32 s2, s60, s62
	s_mul_i32 s53, s61, s62
	s_add_nc_u64 s[64:65], s[2:3], s[64:65]
	s_mul_hi_u32 s0, s61, s62
	s_mul_hi_u32 s66, s61, s63
	s_add_co_u32 s2, s64, s53
	s_add_co_ci_u32 s2, s65, s0
	s_mul_i32 s62, s61, s63
	s_add_co_ci_u32 s63, s66, 0
	s_delay_alu instid0(SALU_CYCLE_1) | instskip(NEXT) | instid1(SALU_CYCLE_1)
	s_add_nc_u64 s[62:63], s[2:3], s[62:63]
	s_add_co_u32 s0, s60, s62
	s_cselect_b32 s2, -1, 0
	v_mul_hi_u32 v46, v16, s0
	s_cmp_lg_u32 s2, 0
	s_add_co_ci_u32 s2, s61, s63
	s_and_b64 s[60:61], s[0:1], s[50:51]
	v_mul_u64_e32 v[18:19], s[2:3], v[16:17]
	v_mul_u64_e32 v[14:15], s[60:61], v[42:43]
	;; [unrolled: 1-line block ×3, first 2 shown]
	s_delay_alu instid0(VALU_DEP_3) | instskip(NEXT) | instid1(VALU_DEP_1)
	v_add_nc_u64_e32 v[18:19], v[46:47], v[18:19]
	v_add_co_u32 v13, vcc_lo, v18, v14
	s_delay_alu instid0(VALU_DEP_2) | instskip(NEXT) | instid1(VALU_DEP_4)
	v_add_co_ci_u32_e32 v46, vcc_lo, v19, v15, vcc_lo
	v_add_co_ci_u32_e32 v45, vcc_lo, 0, v45, vcc_lo
	s_delay_alu instid0(VALU_DEP_1) | instskip(NEXT) | instid1(VALU_DEP_1)
	v_add_nc_u64_e32 v[14:15], v[46:47], v[44:45]
	v_mul_u64_e32 v[18:19], s[54:55], v[14:15]
	s_delay_alu instid0(VALU_DEP_1) | instskip(NEXT) | instid1(VALU_DEP_2)
	v_sub_nc_u32_e32 v13, v42, v19
	v_sub_co_u32 v16, vcc_lo, v16, v18
	s_delay_alu instid0(VALU_DEP_1) | instskip(NEXT) | instid1(VALU_DEP_3)
	v_sub_co_ci_u32_e64 v33, null, v42, v19, vcc_lo
	v_subrev_co_ci_u32_e64 v13, null, s55, v13, vcc_lo
	s_delay_alu instid0(VALU_DEP_3) | instskip(NEXT) | instid1(VALU_DEP_1)
	v_sub_co_u32 v17, s0, v16, s54
	v_subrev_co_ci_u32_e64 v13, null, 0, v13, s0
	s_delay_alu instid0(VALU_DEP_2) | instskip(SKIP_1) | instid1(VALU_DEP_3)
	v_cmp_le_u32_e32 vcc_lo, s54, v17
	v_cndmask_b32_e64 v17, 0, -1, vcc_lo
	v_cmp_le_u32_e32 vcc_lo, s55, v13
	v_cndmask_b32_e64 v18, 0, -1, vcc_lo
	;; [unrolled: 2-line block ×4, first 2 shown]
	v_cmp_eq_u32_e32 vcc_lo, s55, v13
	v_cndmask_b32_e32 v13, v18, v17, vcc_lo
	v_cmp_eq_u32_e32 vcc_lo, s55, v33
	v_add_nc_u64_e32 v[16:17], 2, v[14:15]
	v_add_nc_u64_e32 v[18:19], 1, v[14:15]
	v_cndmask_b32_e32 v33, v43, v42, vcc_lo
	v_cmp_ne_u32_e32 vcc_lo, 0, v13
	s_delay_alu instid0(VALU_DEP_2) | instskip(NEXT) | instid1(VALU_DEP_4)
	v_cmp_ne_u32_e64 s0, 0, v33
	v_dual_cndmask_b32 v13, v19, v17 :: v_dual_cndmask_b32 v16, v18, v16
	s_delay_alu instid0(VALU_DEP_1) | instskip(NEXT) | instid1(VALU_DEP_1)
	v_dual_cndmask_b32 v15, v15, v13, s0 :: v_dual_bitop2_b32 v12, s52, v12 bitop3:0x14
	v_dual_cndmask_b32 v14, v14, v16, s0 :: v_dual_mov_b32 v13, v12
	s_delay_alu instid0(VALU_DEP_2) | instskip(NEXT) | instid1(VALU_DEP_2)
	v_xor_b32_e32 v15, v15, v12
	v_xor_b32_e32 v14, v14, v12
	s_delay_alu instid0(VALU_DEP_1)
	v_sub_nc_u64_e32 v[42:43], v[14:15], v[12:13]
                                        ; implicit-def: $vgpr12
	s_and_not1_saveexec_b32 s0, s1
	s_cbranch_execz .LBB32_25
.LBB32_30:                              ;   in Loop: Header=BB32_11 Depth=1
	v_mul_f32_e32 v12, 0x4f7ffffe, v12
	s_sub_co_i32 s1, 0, s12
	v_mov_b32_e32 v43, v32
	s_delay_alu instid0(VALU_DEP_2) | instskip(NEXT) | instid1(VALU_DEP_1)
	v_cvt_u32_f32_e32 v12, v12
	v_mul_lo_u32 v13, s1, v12
	s_delay_alu instid0(VALU_DEP_1) | instskip(NEXT) | instid1(VALU_DEP_1)
	v_mul_hi_u32 v13, v12, v13
	v_add_nc_u32_e32 v12, v12, v13
	s_delay_alu instid0(VALU_DEP_1) | instskip(NEXT) | instid1(VALU_DEP_1)
	v_mul_hi_u32 v12, v10, v12
	v_mul_lo_u32 v13, v12, s12
	s_delay_alu instid0(VALU_DEP_1) | instskip(NEXT) | instid1(VALU_DEP_1)
	v_dual_add_nc_u32 v14, 1, v12 :: v_dual_sub_nc_u32 v13, v10, v13
	v_subrev_nc_u32_e32 v15, s12, v13
	v_cmp_le_u32_e32 vcc_lo, s12, v13
	s_delay_alu instid0(VALU_DEP_2) | instskip(NEXT) | instid1(VALU_DEP_1)
	v_dual_cndmask_b32 v13, v13, v15 :: v_dual_cndmask_b32 v12, v12, v14
	v_cmp_le_u32_e32 vcc_lo, s12, v13
	s_delay_alu instid0(VALU_DEP_2) | instskip(NEXT) | instid1(VALU_DEP_1)
	v_add_nc_u32_e32 v14, 1, v12
	v_cndmask_b32_e32 v42, v12, v14, vcc_lo
	s_or_b32 exec_lo, exec_lo, s0
	s_delay_alu instid0(SALU_CYCLE_1)
	s_and_not1_b32 vcc_lo, exec_lo, s58
                                        ; implicit-def: $vgpr12_vgpr13_vgpr14_vgpr15_vgpr16_vgpr17_vgpr18_vgpr19
	s_cbranch_vccnz .LBB32_26
.LBB32_31:                              ;   in Loop: Header=BB32_11 Depth=1
	v_mad_nc_u64_u32 v[14:15], s20, v36, v[0:1]
	s_mov_b32 s0, exec_lo
	s_delay_alu instid0(VALU_DEP_1) | instskip(NEXT) | instid1(VALU_DEP_1)
	v_mad_u32 v12, s21, v36, v15
	v_mad_u32 v15, s20, v37, v12
                                        ; implicit-def: $vgpr12_vgpr13
	s_delay_alu instid0(VALU_DEP_1) | instskip(NEXT) | instid1(VALU_DEP_1)
	v_or_b32_e32 v33, s19, v15
	v_cmpx_ne_u64_e32 0, v[32:33]
	s_xor_b32 s1, exec_lo, s0
	s_cbranch_execz .LBB32_33
; %bb.32:                               ;   in Loop: Header=BB32_11 Depth=1
	s_ashr_i32 s54, s19, 31
	v_dual_mov_b32 v17, v32 :: v_dual_ashrrev_i32 v12, 31, v15
	s_mov_b32 s55, s54
	v_mov_b32_e32 v49, v32
	s_add_nc_u64 s[60:61], s[18:19], s[54:55]
	s_delay_alu instid0(VALU_DEP_2) | instskip(SKIP_1) | instid1(SALU_CYCLE_1)
	v_mov_b32_e32 v13, v12
	s_xor_b64 s[54:55], s[60:61], s[54:55]
	s_cvt_f32_u32 s0, s54
	s_cvt_f32_u32 s2, s55
	s_sub_nc_u64 s[62:63], 0, s[54:55]
	v_add_nc_u64_e32 v[14:15], v[14:15], v[12:13]
	v_mov_b32_e32 v45, v32
	s_fmamk_f32 s0, s2, 0x4f800000, s0
	s_delay_alu instid0(SALU_CYCLE_3) | instskip(NEXT) | instid1(VALU_DEP_2)
	v_s_rcp_f32 s0, s0
	v_xor_b32_e32 v16, v14, v12
	s_delay_alu instid0(VALU_DEP_3) | instskip(NEXT) | instid1(TRANS32_DEP_1)
	v_xor_b32_e32 v44, v15, v12
	s_mul_f32 s0, s0, 0x5f7ffffc
	s_delay_alu instid0(SALU_CYCLE_3) | instskip(NEXT) | instid1(SALU_CYCLE_3)
	s_mul_f32 s2, s0, 0x2f800000
	s_trunc_f32 s2, s2
	s_delay_alu instid0(SALU_CYCLE_3) | instskip(SKIP_1) | instid1(SALU_CYCLE_2)
	s_fmamk_f32 s0, s2, 0xcf800000, s0
	s_cvt_u32_f32 s61, s2
	s_cvt_u32_f32 s60, s0
	s_delay_alu instid0(SALU_CYCLE_3) | instskip(NEXT) | instid1(SALU_CYCLE_1)
	s_mul_u64 s[64:65], s[62:63], s[60:61]
	s_mul_hi_u32 s67, s60, s65
	s_mul_i32 s66, s60, s65
	s_mul_hi_u32 s2, s60, s64
	s_mul_i32 s53, s61, s64
	s_add_nc_u64 s[66:67], s[2:3], s[66:67]
	s_mul_hi_u32 s0, s61, s64
	s_mul_hi_u32 s68, s61, s65
	s_add_co_u32 s2, s66, s53
	s_add_co_ci_u32 s2, s67, s0
	s_mul_i32 s64, s61, s65
	s_add_co_ci_u32 s65, s68, 0
	s_delay_alu instid0(SALU_CYCLE_1) | instskip(NEXT) | instid1(SALU_CYCLE_1)
	s_add_nc_u64 s[64:65], s[2:3], s[64:65]
	s_add_co_u32 s60, s60, s64
	s_cselect_b32 s0, -1, 0
	s_delay_alu instid0(SALU_CYCLE_1) | instskip(SKIP_1) | instid1(SALU_CYCLE_1)
	s_cmp_lg_u32 s0, 0
	s_add_co_ci_u32 s61, s61, s65
	s_mul_u64 s[62:63], s[62:63], s[60:61]
	s_delay_alu instid0(SALU_CYCLE_1)
	s_mul_hi_u32 s65, s60, s63
	s_mul_i32 s64, s60, s63
	s_mul_hi_u32 s2, s60, s62
	s_mul_i32 s53, s61, s62
	s_add_nc_u64 s[64:65], s[2:3], s[64:65]
	s_mul_hi_u32 s0, s61, s62
	s_mul_hi_u32 s66, s61, s63
	s_add_co_u32 s2, s64, s53
	s_add_co_ci_u32 s2, s65, s0
	s_mul_i32 s62, s61, s63
	s_add_co_ci_u32 s63, s66, 0
	s_delay_alu instid0(SALU_CYCLE_1) | instskip(NEXT) | instid1(SALU_CYCLE_1)
	s_add_nc_u64 s[62:63], s[2:3], s[62:63]
	s_add_co_u32 s0, s60, s62
	s_cselect_b32 s2, -1, 0
	v_mul_hi_u32 v48, v16, s0
	s_cmp_lg_u32 s2, 0
	s_add_co_ci_u32 s2, s61, s63
	s_and_b64 s[60:61], s[0:1], s[50:51]
	v_mul_u64_e32 v[18:19], s[2:3], v[16:17]
	v_mul_u64_e32 v[14:15], s[60:61], v[44:45]
	;; [unrolled: 1-line block ×3, first 2 shown]
	s_delay_alu instid0(VALU_DEP_3) | instskip(NEXT) | instid1(VALU_DEP_1)
	v_add_nc_u64_e32 v[18:19], v[48:49], v[18:19]
	v_add_co_u32 v14, vcc_lo, v18, v14
	s_delay_alu instid0(VALU_DEP_2) | instskip(NEXT) | instid1(VALU_DEP_4)
	v_add_co_ci_u32_e32 v48, vcc_lo, v19, v15, vcc_lo
	v_add_co_ci_u32_e32 v47, vcc_lo, 0, v47, vcc_lo
	s_delay_alu instid0(VALU_DEP_1) | instskip(NEXT) | instid1(VALU_DEP_1)
	v_add_nc_u64_e32 v[14:15], v[48:49], v[46:47]
	v_mul_u64_e32 v[14:15], s[54:55], v[14:15]
	s_delay_alu instid0(VALU_DEP_1) | instskip(NEXT) | instid1(VALU_DEP_2)
	v_sub_nc_u32_e32 v17, v44, v15
	v_sub_co_u32 v14, vcc_lo, v16, v14
	s_delay_alu instid0(VALU_DEP_1) | instskip(NEXT) | instid1(VALU_DEP_3)
	v_sub_co_ci_u32_e64 v15, null, v44, v15, vcc_lo
	v_subrev_co_ci_u32_e64 v16, null, s55, v17, vcc_lo
	s_delay_alu instid0(VALU_DEP_3) | instskip(SKIP_1) | instid1(VALU_DEP_3)
	v_sub_co_u32 v17, vcc_lo, v14, s54
	v_cmp_le_u32_e64 s0, s54, v14
	v_subrev_co_ci_u32_e64 v18, null, 0, v16, vcc_lo
	v_subrev_co_ci_u32_e64 v16, null, s55, v16, vcc_lo
	s_delay_alu instid0(VALU_DEP_3) | instskip(SKIP_2) | instid1(VALU_DEP_2)
	v_cndmask_b32_e64 v19, 0, -1, s0
	v_cmp_le_u32_e64 s0, s54, v17
	v_cmp_le_u32_e32 vcc_lo, s55, v15
	v_cndmask_b32_e64 v33, 0, -1, s0
	v_cmp_le_u32_e64 s0, s55, v18
	v_cndmask_b32_e64 v45, 0, -1, vcc_lo
	v_cmp_eq_u32_e32 vcc_lo, s55, v18
	s_delay_alu instid0(VALU_DEP_3) | instskip(SKIP_1) | instid1(VALU_DEP_2)
	v_cndmask_b32_e64 v44, 0, -1, s0
	v_cmp_eq_u32_e64 s0, s55, v15
	v_cndmask_b32_e32 v33, v44, v33, vcc_lo
	v_sub_co_u32 v44, vcc_lo, v17, s54
	s_delay_alu instid0(VALU_DEP_1) | instskip(NEXT) | instid1(VALU_DEP_3)
	v_subrev_co_ci_u32_e64 v16, null, 0, v16, vcc_lo
	v_cmp_ne_u32_e32 vcc_lo, 0, v33
	s_delay_alu instid0(VALU_DEP_2) | instskip(NEXT) | instid1(VALU_DEP_4)
	v_dual_cndmask_b32 v19, v45, v19, s0 :: v_dual_cndmask_b32 v16, v18, v16, vcc_lo
	v_cndmask_b32_e32 v17, v17, v44, vcc_lo
	s_delay_alu instid0(VALU_DEP_2) | instskip(NEXT) | instid1(VALU_DEP_2)
	v_cmp_ne_u32_e32 vcc_lo, 0, v19
	v_dual_cndmask_b32 v15, v15, v16 :: v_dual_cndmask_b32 v14, v14, v17
	s_delay_alu instid0(VALU_DEP_1) | instskip(NEXT) | instid1(VALU_DEP_2)
	v_xor_b32_e32 v15, v15, v12
	v_xor_b32_e32 v14, v14, v12
	s_delay_alu instid0(VALU_DEP_1)
	v_sub_nc_u64_e32 v[12:13], v[14:15], v[12:13]
                                        ; implicit-def: $vgpr14_vgpr15
.LBB32_33:                              ;   in Loop: Header=BB32_11 Depth=1
	s_and_not1_saveexec_b32 s0, s1
	s_cbranch_execz .LBB32_35
; %bb.34:                               ;   in Loop: Header=BB32_11 Depth=1
	v_cvt_f32_u32_e32 v12, s18
	s_sub_co_i32 s1, 0, s18
	s_delay_alu instid0(VALU_DEP_1) | instskip(SKIP_1) | instid1(TRANS32_DEP_1)
	v_rcp_iflag_f32_e32 v12, v12
	v_nop
	v_mul_f32_e32 v12, 0x4f7ffffe, v12
	s_delay_alu instid0(VALU_DEP_1) | instskip(NEXT) | instid1(VALU_DEP_1)
	v_cvt_u32_f32_e32 v12, v12
	v_mul_lo_u32 v13, s1, v12
	s_delay_alu instid0(VALU_DEP_1) | instskip(NEXT) | instid1(VALU_DEP_1)
	v_mul_hi_u32 v13, v12, v13
	v_add_nc_u32_e32 v12, v12, v13
	s_delay_alu instid0(VALU_DEP_1) | instskip(NEXT) | instid1(VALU_DEP_1)
	v_mul_hi_u32 v12, v14, v12
	v_mul_lo_u32 v12, v12, s18
	s_delay_alu instid0(VALU_DEP_1) | instskip(NEXT) | instid1(VALU_DEP_1)
	v_sub_nc_u32_e32 v12, v14, v12
	v_subrev_nc_u32_e32 v13, s18, v12
	v_cmp_le_u32_e32 vcc_lo, s18, v12
	s_delay_alu instid0(VALU_DEP_2) | instskip(NEXT) | instid1(VALU_DEP_1)
	v_cndmask_b32_e32 v12, v12, v13, vcc_lo
	v_subrev_nc_u32_e32 v13, s18, v12
	v_cmp_le_u32_e32 vcc_lo, s18, v12
	s_delay_alu instid0(VALU_DEP_2)
	v_cndmask_b32_e32 v12, v12, v13, vcc_lo
	v_mov_b32_e32 v13, v32
.LBB32_35:                              ;   in Loop: Header=BB32_11 Depth=1
	s_or_b32 exec_lo, exec_lo, s0
	s_delay_alu instid0(SALU_CYCLE_1)
	s_and_not1_b32 vcc_lo, exec_lo, s58
	s_cbranch_vccnz .LBB32_27
.LBB32_36:                              ;   in Loop: Header=BB32_11 Depth=1
	v_mad_nc_u64_u32 v[44:45], s20, v38, v[30:31]
	s_mov_b32 s0, exec_lo
	s_delay_alu instid0(VALU_DEP_1) | instskip(NEXT) | instid1(VALU_DEP_1)
	v_mad_u32 v14, s21, v38, v45
	v_mad_u32 v45, s20, v39, v14
	s_delay_alu instid0(VALU_DEP_1) | instskip(NEXT) | instid1(VALU_DEP_1)
	v_or_b32_e32 v33, s19, v45
	v_cmpx_ne_u64_e32 0, v[32:33]
	s_xor_b32 s1, exec_lo, s0
	s_cbranch_execz .LBB32_38
; %bb.37:                               ;   in Loop: Header=BB32_11 Depth=1
	s_ashr_i32 s54, s19, 31
	v_dual_mov_b32 v47, v32 :: v_dual_ashrrev_i32 v14, 31, v45
	s_mov_b32 s55, s54
	s_delay_alu instid0(SALU_CYCLE_1) | instskip(NEXT) | instid1(VALU_DEP_1)
	s_add_nc_u64 s[60:61], s[18:19], s[54:55]
	v_mov_b32_e32 v15, v14
	s_xor_b64 s[54:55], s[60:61], s[54:55]
	s_delay_alu instid0(SALU_CYCLE_1)
	s_cvt_f32_u32 s0, s54
	s_cvt_f32_u32 s2, s55
	s_sub_nc_u64 s[62:63], 0, s[54:55]
	v_add_nc_u64_e32 v[44:45], v[44:45], v[14:15]
	v_mov_b32_e32 v51, v32
	s_fmamk_f32 s0, s2, 0x4f800000, s0
	s_delay_alu instid0(SALU_CYCLE_3) | instskip(NEXT) | instid1(VALU_DEP_2)
	v_s_rcp_f32 s0, s0
	v_xor_b32_e32 v46, v44, v14
	s_delay_alu instid0(VALU_DEP_3) | instskip(NEXT) | instid1(TRANS32_DEP_1)
	v_dual_mov_b32 v55, v32 :: v_dual_bitop2_b32 v50, v45, v14 bitop3:0x14
	s_mul_f32 s0, s0, 0x5f7ffffc
	s_delay_alu instid0(SALU_CYCLE_3) | instskip(NEXT) | instid1(SALU_CYCLE_3)
	s_mul_f32 s2, s0, 0x2f800000
	s_trunc_f32 s2, s2
	s_delay_alu instid0(SALU_CYCLE_3) | instskip(SKIP_1) | instid1(SALU_CYCLE_2)
	s_fmamk_f32 s0, s2, 0xcf800000, s0
	s_cvt_u32_f32 s61, s2
	s_cvt_u32_f32 s60, s0
	s_delay_alu instid0(SALU_CYCLE_3) | instskip(NEXT) | instid1(SALU_CYCLE_1)
	s_mul_u64 s[64:65], s[62:63], s[60:61]
	s_mul_hi_u32 s67, s60, s65
	s_mul_i32 s66, s60, s65
	s_mul_hi_u32 s2, s60, s64
	s_mul_i32 s53, s61, s64
	s_add_nc_u64 s[66:67], s[2:3], s[66:67]
	s_mul_hi_u32 s0, s61, s64
	s_mul_hi_u32 s68, s61, s65
	s_add_co_u32 s2, s66, s53
	s_add_co_ci_u32 s2, s67, s0
	s_mul_i32 s64, s61, s65
	s_add_co_ci_u32 s65, s68, 0
	s_delay_alu instid0(SALU_CYCLE_1) | instskip(NEXT) | instid1(SALU_CYCLE_1)
	s_add_nc_u64 s[64:65], s[2:3], s[64:65]
	s_add_co_u32 s60, s60, s64
	s_cselect_b32 s0, -1, 0
	s_delay_alu instid0(SALU_CYCLE_1) | instskip(SKIP_1) | instid1(SALU_CYCLE_1)
	s_cmp_lg_u32 s0, 0
	s_add_co_ci_u32 s61, s61, s65
	s_mul_u64 s[62:63], s[62:63], s[60:61]
	s_delay_alu instid0(SALU_CYCLE_1)
	s_mul_hi_u32 s65, s60, s63
	s_mul_i32 s64, s60, s63
	s_mul_hi_u32 s2, s60, s62
	s_mul_i32 s53, s61, s62
	s_add_nc_u64 s[64:65], s[2:3], s[64:65]
	s_mul_hi_u32 s0, s61, s62
	s_mul_hi_u32 s66, s61, s63
	s_add_co_u32 s2, s64, s53
	s_add_co_ci_u32 s2, s65, s0
	s_mul_i32 s62, s61, s63
	s_add_co_ci_u32 s63, s66, 0
	s_delay_alu instid0(SALU_CYCLE_1) | instskip(NEXT) | instid1(SALU_CYCLE_1)
	s_add_nc_u64 s[62:63], s[2:3], s[62:63]
	s_add_co_u32 s0, s60, s62
	s_cselect_b32 s2, -1, 0
	v_mul_hi_u32 v54, v46, s0
	s_cmp_lg_u32 s2, 0
	s_add_co_ci_u32 s2, s61, s63
	s_and_b64 s[60:61], s[0:1], s[50:51]
	v_mul_u64_e32 v[48:49], s[2:3], v[46:47]
	v_mul_u64_e32 v[44:45], s[60:61], v[50:51]
	;; [unrolled: 1-line block ×3, first 2 shown]
	s_delay_alu instid0(VALU_DEP_3) | instskip(NEXT) | instid1(VALU_DEP_1)
	v_add_nc_u64_e32 v[48:49], v[54:55], v[48:49]
	v_add_co_u32 v33, vcc_lo, v48, v44
	s_delay_alu instid0(VALU_DEP_2) | instskip(NEXT) | instid1(VALU_DEP_4)
	v_add_co_ci_u32_e32 v54, vcc_lo, v49, v45, vcc_lo
	v_add_co_ci_u32_e32 v53, vcc_lo, 0, v53, vcc_lo
	s_delay_alu instid0(VALU_DEP_1) | instskip(NEXT) | instid1(VALU_DEP_1)
	v_add_nc_u64_e32 v[44:45], v[54:55], v[52:53]
	v_mul_u64_e32 v[44:45], s[54:55], v[44:45]
	s_delay_alu instid0(VALU_DEP_1) | instskip(NEXT) | instid1(VALU_DEP_2)
	v_sub_nc_u32_e32 v33, v50, v45
	v_sub_co_u32 v44, vcc_lo, v46, v44
	s_delay_alu instid0(VALU_DEP_1) | instskip(NEXT) | instid1(VALU_DEP_3)
	v_sub_co_ci_u32_e64 v45, null, v50, v45, vcc_lo
	v_subrev_co_ci_u32_e64 v33, null, s55, v33, vcc_lo
	s_delay_alu instid0(VALU_DEP_3) | instskip(SKIP_1) | instid1(VALU_DEP_3)
	v_sub_co_u32 v46, vcc_lo, v44, s54
	v_cmp_le_u32_e64 s0, s54, v44
	v_subrev_co_ci_u32_e64 v47, null, 0, v33, vcc_lo
	v_subrev_co_ci_u32_e64 v33, null, s55, v33, vcc_lo
	s_delay_alu instid0(VALU_DEP_3) | instskip(SKIP_2) | instid1(VALU_DEP_2)
	v_cndmask_b32_e64 v48, 0, -1, s0
	v_cmp_le_u32_e64 s0, s54, v46
	v_cmp_le_u32_e32 vcc_lo, s55, v45
	v_cndmask_b32_e64 v49, 0, -1, s0
	v_cmp_le_u32_e64 s0, s55, v47
	v_cndmask_b32_e64 v51, 0, -1, vcc_lo
	v_cmp_eq_u32_e32 vcc_lo, s55, v47
	s_delay_alu instid0(VALU_DEP_3) | instskip(SKIP_1) | instid1(VALU_DEP_1)
	v_cndmask_b32_e64 v50, 0, -1, s0
	v_cmp_eq_u32_e64 s0, s55, v45
	v_dual_cndmask_b32 v49, v50, v49, vcc_lo :: v_dual_cndmask_b32 v48, v51, v48, s0
	v_sub_co_u32 v50, vcc_lo, v46, s54
	s_delay_alu instid0(VALU_DEP_1) | instskip(NEXT) | instid1(VALU_DEP_3)
	v_subrev_co_ci_u32_e64 v33, null, 0, v33, vcc_lo
	v_cmp_ne_u32_e32 vcc_lo, 0, v49
	s_delay_alu instid0(VALU_DEP_2) | instskip(SKIP_1) | instid1(VALU_DEP_2)
	v_dual_cndmask_b32 v33, v47, v33 :: v_dual_cndmask_b32 v46, v46, v50
	v_cmp_ne_u32_e32 vcc_lo, 0, v48
	v_dual_cndmask_b32 v33, v45, v33 :: v_dual_cndmask_b32 v44, v44, v46
	s_delay_alu instid0(VALU_DEP_1) | instskip(NEXT) | instid1(VALU_DEP_2)
	v_xor_b32_e32 v45, v33, v14
	v_xor_b32_e32 v44, v44, v14
	s_delay_alu instid0(VALU_DEP_1)
	v_sub_nc_u64_e32 v[14:15], v[44:45], v[14:15]
                                        ; implicit-def: $vgpr44_vgpr45
.LBB32_38:                              ;   in Loop: Header=BB32_11 Depth=1
	s_and_not1_saveexec_b32 s0, s1
	s_cbranch_execz .LBB32_40
; %bb.39:                               ;   in Loop: Header=BB32_11 Depth=1
	v_cvt_f32_u32_e32 v14, s18
	s_sub_co_i32 s1, 0, s18
	s_delay_alu instid0(VALU_DEP_1) | instskip(SKIP_1) | instid1(TRANS32_DEP_1)
	v_rcp_iflag_f32_e32 v14, v14
	v_nop
	v_mul_f32_e32 v14, 0x4f7ffffe, v14
	s_delay_alu instid0(VALU_DEP_1) | instskip(NEXT) | instid1(VALU_DEP_1)
	v_cvt_u32_f32_e32 v14, v14
	v_mul_lo_u32 v15, s1, v14
	s_delay_alu instid0(VALU_DEP_1) | instskip(NEXT) | instid1(VALU_DEP_1)
	v_mul_hi_u32 v15, v14, v15
	v_add_nc_u32_e32 v14, v14, v15
	s_delay_alu instid0(VALU_DEP_1) | instskip(NEXT) | instid1(VALU_DEP_1)
	v_mul_hi_u32 v14, v44, v14
	v_mul_lo_u32 v14, v14, s18
	s_delay_alu instid0(VALU_DEP_1) | instskip(NEXT) | instid1(VALU_DEP_1)
	v_sub_nc_u32_e32 v14, v44, v14
	v_subrev_nc_u32_e32 v15, s18, v14
	v_cmp_le_u32_e32 vcc_lo, s18, v14
	s_delay_alu instid0(VALU_DEP_2) | instskip(NEXT) | instid1(VALU_DEP_1)
	v_cndmask_b32_e32 v14, v14, v15, vcc_lo
	v_subrev_nc_u32_e32 v15, s18, v14
	v_cmp_le_u32_e32 vcc_lo, s18, v14
	s_delay_alu instid0(VALU_DEP_2)
	v_dual_cndmask_b32 v14, v14, v15 :: v_dual_mov_b32 v15, v32
.LBB32_40:                              ;   in Loop: Header=BB32_11 Depth=1
	s_or_b32 exec_lo, exec_lo, s0
	s_delay_alu instid0(SALU_CYCLE_1)
	s_and_not1_b32 vcc_lo, exec_lo, s58
	s_cbranch_vccnz .LBB32_28
.LBB32_41:                              ;   in Loop: Header=BB32_11 Depth=1
	v_mad_nc_u64_u32 v[44:45], s20, v40, v[26:27]
	s_mov_b32 s0, exec_lo
	s_delay_alu instid0(VALU_DEP_1) | instskip(NEXT) | instid1(VALU_DEP_1)
	v_mad_u32 v16, s21, v40, v45
	v_mad_u32 v45, s20, v41, v16
	s_delay_alu instid0(VALU_DEP_1) | instskip(NEXT) | instid1(VALU_DEP_1)
	v_or_b32_e32 v33, s19, v45
	v_cmpx_ne_u64_e32 0, v[32:33]
	s_xor_b32 s1, exec_lo, s0
	s_cbranch_execz .LBB32_43
; %bb.42:                               ;   in Loop: Header=BB32_11 Depth=1
	s_ashr_i32 s54, s19, 31
	v_dual_mov_b32 v47, v32 :: v_dual_ashrrev_i32 v16, 31, v45
	s_mov_b32 s55, s54
	v_mov_b32_e32 v51, v32
	s_add_nc_u64 s[60:61], s[18:19], s[54:55]
	s_delay_alu instid0(VALU_DEP_2)
	v_mov_b32_e32 v17, v16
	s_xor_b64 s[54:55], s[60:61], s[54:55]
	v_mov_b32_e32 v55, v32
	s_cvt_f32_u32 s0, s54
	s_cvt_f32_u32 s2, s55
	s_sub_nc_u64 s[62:63], 0, s[54:55]
	v_add_nc_u64_e32 v[44:45], v[44:45], v[16:17]
	s_delay_alu instid0(SALU_CYCLE_1) | instskip(NEXT) | instid1(SALU_CYCLE_3)
	s_fmamk_f32 s0, s2, 0x4f800000, s0
	v_s_rcp_f32 s0, s0
	s_delay_alu instid0(VALU_DEP_1) | instskip(NEXT) | instid1(VALU_DEP_2)
	v_xor_b32_e32 v50, v45, v16
	v_xor_b32_e32 v46, v44, v16
	s_delay_alu instid0(TRANS32_DEP_1) | instskip(NEXT) | instid1(SALU_CYCLE_3)
	s_mul_f32 s0, s0, 0x5f7ffffc
	s_mul_f32 s2, s0, 0x2f800000
	s_delay_alu instid0(SALU_CYCLE_3) | instskip(NEXT) | instid1(SALU_CYCLE_3)
	s_trunc_f32 s2, s2
	s_fmamk_f32 s0, s2, 0xcf800000, s0
	s_cvt_u32_f32 s61, s2
	s_delay_alu instid0(SALU_CYCLE_2) | instskip(NEXT) | instid1(SALU_CYCLE_3)
	s_cvt_u32_f32 s60, s0
	s_mul_u64 s[64:65], s[62:63], s[60:61]
	s_delay_alu instid0(SALU_CYCLE_1)
	s_mul_hi_u32 s67, s60, s65
	s_mul_i32 s66, s60, s65
	s_mul_hi_u32 s2, s60, s64
	s_mul_i32 s53, s61, s64
	s_add_nc_u64 s[66:67], s[2:3], s[66:67]
	s_mul_hi_u32 s0, s61, s64
	s_mul_hi_u32 s68, s61, s65
	s_add_co_u32 s2, s66, s53
	s_add_co_ci_u32 s2, s67, s0
	s_mul_i32 s64, s61, s65
	s_add_co_ci_u32 s65, s68, 0
	s_delay_alu instid0(SALU_CYCLE_1) | instskip(NEXT) | instid1(SALU_CYCLE_1)
	s_add_nc_u64 s[64:65], s[2:3], s[64:65]
	s_add_co_u32 s60, s60, s64
	s_cselect_b32 s0, -1, 0
	s_delay_alu instid0(SALU_CYCLE_1) | instskip(SKIP_1) | instid1(SALU_CYCLE_1)
	s_cmp_lg_u32 s0, 0
	s_add_co_ci_u32 s61, s61, s65
	s_mul_u64 s[62:63], s[62:63], s[60:61]
	s_delay_alu instid0(SALU_CYCLE_1)
	s_mul_hi_u32 s65, s60, s63
	s_mul_i32 s64, s60, s63
	s_mul_hi_u32 s2, s60, s62
	s_mul_i32 s53, s61, s62
	s_add_nc_u64 s[64:65], s[2:3], s[64:65]
	s_mul_hi_u32 s0, s61, s62
	s_mul_hi_u32 s66, s61, s63
	s_add_co_u32 s2, s64, s53
	s_add_co_ci_u32 s2, s65, s0
	s_mul_i32 s62, s61, s63
	s_add_co_ci_u32 s63, s66, 0
	s_delay_alu instid0(SALU_CYCLE_1) | instskip(NEXT) | instid1(SALU_CYCLE_1)
	s_add_nc_u64 s[62:63], s[2:3], s[62:63]
	s_add_co_u32 s0, s60, s62
	s_cselect_b32 s2, -1, 0
	v_mul_hi_u32 v54, v46, s0
	s_cmp_lg_u32 s2, 0
	s_add_co_ci_u32 s2, s61, s63
	s_and_b64 s[60:61], s[0:1], s[50:51]
	v_mul_u64_e32 v[48:49], s[2:3], v[46:47]
	v_mul_u64_e32 v[44:45], s[60:61], v[50:51]
	v_mul_u64_e32 v[52:53], s[2:3], v[50:51]
	s_delay_alu instid0(VALU_DEP_3) | instskip(NEXT) | instid1(VALU_DEP_1)
	v_add_nc_u64_e32 v[48:49], v[54:55], v[48:49]
	v_add_co_u32 v33, vcc_lo, v48, v44
	s_delay_alu instid0(VALU_DEP_2) | instskip(NEXT) | instid1(VALU_DEP_4)
	v_add_co_ci_u32_e32 v54, vcc_lo, v49, v45, vcc_lo
	v_add_co_ci_u32_e32 v53, vcc_lo, 0, v53, vcc_lo
	s_delay_alu instid0(VALU_DEP_1) | instskip(NEXT) | instid1(VALU_DEP_1)
	v_add_nc_u64_e32 v[44:45], v[54:55], v[52:53]
	v_mul_u64_e32 v[44:45], s[54:55], v[44:45]
	s_delay_alu instid0(VALU_DEP_1) | instskip(NEXT) | instid1(VALU_DEP_2)
	v_sub_nc_u32_e32 v33, v50, v45
	v_sub_co_u32 v44, vcc_lo, v46, v44
	s_delay_alu instid0(VALU_DEP_1) | instskip(NEXT) | instid1(VALU_DEP_3)
	v_sub_co_ci_u32_e64 v45, null, v50, v45, vcc_lo
	v_subrev_co_ci_u32_e64 v33, null, s55, v33, vcc_lo
	s_delay_alu instid0(VALU_DEP_3) | instskip(SKIP_1) | instid1(VALU_DEP_3)
	v_sub_co_u32 v46, vcc_lo, v44, s54
	v_cmp_le_u32_e64 s0, s54, v44
	v_subrev_co_ci_u32_e64 v47, null, 0, v33, vcc_lo
	v_subrev_co_ci_u32_e64 v33, null, s55, v33, vcc_lo
	s_delay_alu instid0(VALU_DEP_3) | instskip(SKIP_2) | instid1(VALU_DEP_2)
	v_cndmask_b32_e64 v48, 0, -1, s0
	v_cmp_le_u32_e64 s0, s54, v46
	v_cmp_le_u32_e32 vcc_lo, s55, v45
	v_cndmask_b32_e64 v49, 0, -1, s0
	v_cmp_le_u32_e64 s0, s55, v47
	v_cndmask_b32_e64 v51, 0, -1, vcc_lo
	v_cmp_eq_u32_e32 vcc_lo, s55, v47
	s_delay_alu instid0(VALU_DEP_3) | instskip(SKIP_1) | instid1(VALU_DEP_1)
	v_cndmask_b32_e64 v50, 0, -1, s0
	v_cmp_eq_u32_e64 s0, s55, v45
	v_dual_cndmask_b32 v49, v50, v49, vcc_lo :: v_dual_cndmask_b32 v48, v51, v48, s0
	v_sub_co_u32 v50, vcc_lo, v46, s54
	s_delay_alu instid0(VALU_DEP_1) | instskip(NEXT) | instid1(VALU_DEP_3)
	v_subrev_co_ci_u32_e64 v33, null, 0, v33, vcc_lo
	v_cmp_ne_u32_e32 vcc_lo, 0, v49
	s_delay_alu instid0(VALU_DEP_2) | instskip(SKIP_1) | instid1(VALU_DEP_2)
	v_dual_cndmask_b32 v33, v47, v33 :: v_dual_cndmask_b32 v46, v46, v50
	v_cmp_ne_u32_e32 vcc_lo, 0, v48
	v_dual_cndmask_b32 v33, v45, v33 :: v_dual_cndmask_b32 v44, v44, v46
	s_delay_alu instid0(VALU_DEP_1) | instskip(NEXT) | instid1(VALU_DEP_2)
	v_xor_b32_e32 v45, v33, v16
	v_xor_b32_e32 v44, v44, v16
	s_delay_alu instid0(VALU_DEP_1)
	v_sub_nc_u64_e32 v[16:17], v[44:45], v[16:17]
                                        ; implicit-def: $vgpr44_vgpr45
.LBB32_43:                              ;   in Loop: Header=BB32_11 Depth=1
	s_and_not1_saveexec_b32 s0, s1
	s_cbranch_execz .LBB32_45
; %bb.44:                               ;   in Loop: Header=BB32_11 Depth=1
	v_cvt_f32_u32_e32 v16, s18
	s_sub_co_i32 s1, 0, s18
	s_delay_alu instid0(VALU_DEP_1) | instskip(SKIP_1) | instid1(TRANS32_DEP_1)
	v_rcp_iflag_f32_e32 v16, v16
	v_nop
	v_mul_f32_e32 v16, 0x4f7ffffe, v16
	s_delay_alu instid0(VALU_DEP_1) | instskip(NEXT) | instid1(VALU_DEP_1)
	v_cvt_u32_f32_e32 v16, v16
	v_mul_lo_u32 v17, s1, v16
	s_delay_alu instid0(VALU_DEP_1) | instskip(NEXT) | instid1(VALU_DEP_1)
	v_mul_hi_u32 v17, v16, v17
	v_add_nc_u32_e32 v16, v16, v17
	s_delay_alu instid0(VALU_DEP_1) | instskip(NEXT) | instid1(VALU_DEP_1)
	v_mul_hi_u32 v16, v44, v16
	v_mul_lo_u32 v16, v16, s18
	s_delay_alu instid0(VALU_DEP_1) | instskip(NEXT) | instid1(VALU_DEP_1)
	v_sub_nc_u32_e32 v16, v44, v16
	v_subrev_nc_u32_e32 v17, s18, v16
	v_cmp_le_u32_e32 vcc_lo, s18, v16
	s_delay_alu instid0(VALU_DEP_2) | instskip(NEXT) | instid1(VALU_DEP_1)
	v_cndmask_b32_e32 v16, v16, v17, vcc_lo
	v_subrev_nc_u32_e32 v17, s18, v16
	v_cmp_le_u32_e32 vcc_lo, s18, v16
	s_delay_alu instid0(VALU_DEP_2)
	v_cndmask_b32_e32 v16, v16, v17, vcc_lo
	v_mov_b32_e32 v17, v32
.LBB32_45:                              ;   in Loop: Header=BB32_11 Depth=1
	s_or_b32 exec_lo, exec_lo, s0
	s_delay_alu instid0(SALU_CYCLE_1)
	s_and_not1_b32 vcc_lo, exec_lo, s58
	s_cbranch_vccnz .LBB32_10
.LBB32_46:                              ;   in Loop: Header=BB32_11 Depth=1
	v_mad_nc_u64_u32 v[44:45], s20, v42, v[28:29]
	s_mov_b32 s0, exec_lo
	s_delay_alu instid0(VALU_DEP_1) | instskip(NEXT) | instid1(VALU_DEP_1)
	v_mad_u32 v18, s21, v42, v45
	v_mad_u32 v45, s20, v43, v18
	s_delay_alu instid0(VALU_DEP_1) | instskip(NEXT) | instid1(VALU_DEP_1)
	v_or_b32_e32 v33, s19, v45
	v_cmpx_ne_u64_e32 0, v[32:33]
	s_xor_b32 s1, exec_lo, s0
	s_cbranch_execz .LBB32_48
; %bb.47:                               ;   in Loop: Header=BB32_11 Depth=1
	s_ashr_i32 s54, s19, 31
	v_dual_mov_b32 v47, v32 :: v_dual_ashrrev_i32 v18, 31, v45
	s_mov_b32 s55, s54
	s_delay_alu instid0(SALU_CYCLE_1) | instskip(NEXT) | instid1(VALU_DEP_1)
	s_add_nc_u64 s[60:61], s[18:19], s[54:55]
	v_mov_b32_e32 v19, v18
	s_xor_b64 s[54:55], s[60:61], s[54:55]
	s_delay_alu instid0(SALU_CYCLE_1)
	s_cvt_f32_u32 s0, s54
	s_cvt_f32_u32 s2, s55
	s_sub_nc_u64 s[62:63], 0, s[54:55]
	v_add_nc_u64_e32 v[44:45], v[44:45], v[18:19]
	v_mov_b32_e32 v51, v32
	s_fmamk_f32 s0, s2, 0x4f800000, s0
	s_delay_alu instid0(SALU_CYCLE_3) | instskip(NEXT) | instid1(VALU_DEP_2)
	v_s_rcp_f32 s0, s0
	v_xor_b32_e32 v46, v44, v18
	s_delay_alu instid0(VALU_DEP_3) | instskip(NEXT) | instid1(TRANS32_DEP_1)
	v_dual_mov_b32 v55, v32 :: v_dual_bitop2_b32 v50, v45, v18 bitop3:0x14
	s_mul_f32 s0, s0, 0x5f7ffffc
	s_delay_alu instid0(SALU_CYCLE_3) | instskip(NEXT) | instid1(SALU_CYCLE_3)
	s_mul_f32 s2, s0, 0x2f800000
	s_trunc_f32 s2, s2
	s_delay_alu instid0(SALU_CYCLE_3) | instskip(SKIP_1) | instid1(SALU_CYCLE_2)
	s_fmamk_f32 s0, s2, 0xcf800000, s0
	s_cvt_u32_f32 s61, s2
	s_cvt_u32_f32 s60, s0
	s_delay_alu instid0(SALU_CYCLE_3) | instskip(NEXT) | instid1(SALU_CYCLE_1)
	s_mul_u64 s[64:65], s[62:63], s[60:61]
	s_mul_hi_u32 s67, s60, s65
	s_mul_i32 s66, s60, s65
	s_mul_hi_u32 s2, s60, s64
	s_mul_i32 s53, s61, s64
	s_add_nc_u64 s[66:67], s[2:3], s[66:67]
	s_mul_hi_u32 s0, s61, s64
	s_mul_hi_u32 s68, s61, s65
	s_add_co_u32 s2, s66, s53
	s_add_co_ci_u32 s2, s67, s0
	s_mul_i32 s64, s61, s65
	s_add_co_ci_u32 s65, s68, 0
	s_delay_alu instid0(SALU_CYCLE_1) | instskip(NEXT) | instid1(SALU_CYCLE_1)
	s_add_nc_u64 s[64:65], s[2:3], s[64:65]
	s_add_co_u32 s60, s60, s64
	s_cselect_b32 s0, -1, 0
	s_delay_alu instid0(SALU_CYCLE_1) | instskip(SKIP_1) | instid1(SALU_CYCLE_1)
	s_cmp_lg_u32 s0, 0
	s_add_co_ci_u32 s61, s61, s65
	s_mul_u64 s[62:63], s[62:63], s[60:61]
	s_delay_alu instid0(SALU_CYCLE_1)
	s_mul_hi_u32 s65, s60, s63
	s_mul_i32 s64, s60, s63
	s_mul_hi_u32 s2, s60, s62
	s_mul_i32 s53, s61, s62
	s_add_nc_u64 s[64:65], s[2:3], s[64:65]
	s_mul_hi_u32 s0, s61, s62
	s_mul_hi_u32 s66, s61, s63
	s_add_co_u32 s2, s64, s53
	s_add_co_ci_u32 s2, s65, s0
	s_mul_i32 s62, s61, s63
	s_add_co_ci_u32 s63, s66, 0
	s_delay_alu instid0(SALU_CYCLE_1) | instskip(NEXT) | instid1(SALU_CYCLE_1)
	s_add_nc_u64 s[62:63], s[2:3], s[62:63]
	s_add_co_u32 s0, s60, s62
	s_cselect_b32 s2, -1, 0
	v_mul_hi_u32 v54, v46, s0
	s_cmp_lg_u32 s2, 0
	s_add_co_ci_u32 s2, s61, s63
	s_and_b64 s[60:61], s[0:1], s[50:51]
	v_mul_u64_e32 v[48:49], s[2:3], v[46:47]
	v_mul_u64_e32 v[44:45], s[60:61], v[50:51]
	;; [unrolled: 1-line block ×3, first 2 shown]
	s_delay_alu instid0(VALU_DEP_3) | instskip(NEXT) | instid1(VALU_DEP_1)
	v_add_nc_u64_e32 v[48:49], v[54:55], v[48:49]
	v_add_co_u32 v33, vcc_lo, v48, v44
	s_delay_alu instid0(VALU_DEP_2) | instskip(NEXT) | instid1(VALU_DEP_4)
	v_add_co_ci_u32_e32 v54, vcc_lo, v49, v45, vcc_lo
	v_add_co_ci_u32_e32 v53, vcc_lo, 0, v53, vcc_lo
	s_delay_alu instid0(VALU_DEP_1) | instskip(NEXT) | instid1(VALU_DEP_1)
	v_add_nc_u64_e32 v[44:45], v[54:55], v[52:53]
	v_mul_u64_e32 v[44:45], s[54:55], v[44:45]
	s_delay_alu instid0(VALU_DEP_1) | instskip(NEXT) | instid1(VALU_DEP_2)
	v_sub_nc_u32_e32 v33, v50, v45
	v_sub_co_u32 v44, vcc_lo, v46, v44
	s_delay_alu instid0(VALU_DEP_1) | instskip(NEXT) | instid1(VALU_DEP_3)
	v_sub_co_ci_u32_e64 v45, null, v50, v45, vcc_lo
	v_subrev_co_ci_u32_e64 v33, null, s55, v33, vcc_lo
	s_delay_alu instid0(VALU_DEP_3) | instskip(SKIP_1) | instid1(VALU_DEP_3)
	v_sub_co_u32 v46, vcc_lo, v44, s54
	v_cmp_le_u32_e64 s0, s54, v44
	v_subrev_co_ci_u32_e64 v47, null, 0, v33, vcc_lo
	v_subrev_co_ci_u32_e64 v33, null, s55, v33, vcc_lo
	s_delay_alu instid0(VALU_DEP_3) | instskip(SKIP_2) | instid1(VALU_DEP_2)
	v_cndmask_b32_e64 v48, 0, -1, s0
	v_cmp_le_u32_e64 s0, s54, v46
	v_cmp_le_u32_e32 vcc_lo, s55, v45
	v_cndmask_b32_e64 v49, 0, -1, s0
	v_cmp_le_u32_e64 s0, s55, v47
	v_cndmask_b32_e64 v51, 0, -1, vcc_lo
	v_cmp_eq_u32_e32 vcc_lo, s55, v47
	s_delay_alu instid0(VALU_DEP_3) | instskip(SKIP_1) | instid1(VALU_DEP_1)
	v_cndmask_b32_e64 v50, 0, -1, s0
	v_cmp_eq_u32_e64 s0, s55, v45
	v_dual_cndmask_b32 v49, v50, v49, vcc_lo :: v_dual_cndmask_b32 v48, v51, v48, s0
	v_sub_co_u32 v50, vcc_lo, v46, s54
	s_delay_alu instid0(VALU_DEP_1) | instskip(NEXT) | instid1(VALU_DEP_3)
	v_subrev_co_ci_u32_e64 v33, null, 0, v33, vcc_lo
	v_cmp_ne_u32_e32 vcc_lo, 0, v49
	s_delay_alu instid0(VALU_DEP_2) | instskip(SKIP_1) | instid1(VALU_DEP_2)
	v_dual_cndmask_b32 v33, v47, v33 :: v_dual_cndmask_b32 v46, v46, v50
	v_cmp_ne_u32_e32 vcc_lo, 0, v48
	v_dual_cndmask_b32 v33, v45, v33 :: v_dual_cndmask_b32 v44, v44, v46
	s_delay_alu instid0(VALU_DEP_1) | instskip(NEXT) | instid1(VALU_DEP_2)
	v_xor_b32_e32 v45, v33, v18
	v_xor_b32_e32 v44, v44, v18
	s_delay_alu instid0(VALU_DEP_1)
	v_sub_nc_u64_e32 v[18:19], v[44:45], v[18:19]
                                        ; implicit-def: $vgpr44_vgpr45
.LBB32_48:                              ;   in Loop: Header=BB32_11 Depth=1
	s_and_not1_saveexec_b32 s0, s1
	s_cbranch_execz .LBB32_9
; %bb.49:                               ;   in Loop: Header=BB32_11 Depth=1
	v_cvt_f32_u32_e32 v18, s18
	s_sub_co_i32 s1, 0, s18
	s_delay_alu instid0(VALU_DEP_1) | instskip(SKIP_1) | instid1(TRANS32_DEP_1)
	v_rcp_iflag_f32_e32 v18, v18
	v_nop
	v_mul_f32_e32 v18, 0x4f7ffffe, v18
	s_delay_alu instid0(VALU_DEP_1) | instskip(NEXT) | instid1(VALU_DEP_1)
	v_cvt_u32_f32_e32 v18, v18
	v_mul_lo_u32 v19, s1, v18
	s_delay_alu instid0(VALU_DEP_1) | instskip(NEXT) | instid1(VALU_DEP_1)
	v_mul_hi_u32 v19, v18, v19
	v_add_nc_u32_e32 v18, v18, v19
	s_delay_alu instid0(VALU_DEP_1) | instskip(NEXT) | instid1(VALU_DEP_1)
	v_mul_hi_u32 v18, v44, v18
	v_mul_lo_u32 v18, v18, s18
	s_delay_alu instid0(VALU_DEP_1) | instskip(NEXT) | instid1(VALU_DEP_1)
	v_sub_nc_u32_e32 v18, v44, v18
	v_subrev_nc_u32_e32 v19, s18, v18
	v_cmp_le_u32_e32 vcc_lo, s18, v18
	s_delay_alu instid0(VALU_DEP_2) | instskip(NEXT) | instid1(VALU_DEP_1)
	v_cndmask_b32_e32 v18, v18, v19, vcc_lo
	v_subrev_nc_u32_e32 v19, s18, v18
	v_cmp_le_u32_e32 vcc_lo, s18, v18
	s_delay_alu instid0(VALU_DEP_2)
	v_dual_cndmask_b32 v18, v18, v19 :: v_dual_mov_b32 v19, v32
	s_branch .LBB32_9
.LBB32_50:
	s_or_b32 exec_lo, exec_lo, s59
	v_mad_nc_u64_u32 v[2:3], v22, s16, v[2:3]
	v_cmp_ne_u64_e32 vcc_lo, v[20:21], v[22:23]
	v_mov_b64_e32 v[6:7], s[40:41]
	v_mov_b64_e32 v[4:5], s[20:21]
	s_and_b32 s0, vcc_lo, exec_lo
	s_delay_alu instid0(VALU_DEP_4) | instskip(NEXT) | instid1(VALU_DEP_1)
	v_mad_u32 v0, v23, s16, v3
	v_mad_u32 v3, v22, s17, v0
	s_and_not1_saveexec_b32 s1, s56
	s_cbranch_execz .LBB32_7
.LBB32_51:
	s_lshl_b64 s[2:3], s[16:17], 1
	v_mov_b64_e32 v[4:5], s[20:21]
	v_mov_b64_e32 v[6:7], s[2:3]
	s_or_b32 s0, s0, exec_lo
	s_or_b32 exec_lo, exec_lo, s1
	s_delay_alu instid0(SALU_CYCLE_1)
	s_and_b32 exec_lo, exec_lo, s0
	s_cbranch_execz .LBB32_64
.LBB32_52:
	v_cvt_f32_u32_e32 v0, s12
	s_sub_co_i32 s0, 0, s12
	s_sub_nc_u64 s[2:3], 0, s[10:11]
	s_mov_b32 s1, 0
	s_mov_b64 s[10:11], 0xffffffff
	v_rcp_iflag_f32_e32 v0, v0
	s_ashr_i32 s20, s19, 31
	s_sub_co_i32 s24, 0, s18
	s_mov_b32 s25, 0
	v_nop
	s_delay_alu instid0(TRANS32_DEP_1) | instskip(NEXT) | instid1(VALU_DEP_1)
	v_mul_f32_e32 v0, 0x4f7ffffe, v0
	v_cvt_u32_f32_e32 v9, v0
	s_delay_alu instid0(VALU_DEP_1) | instskip(NEXT) | instid1(VALU_DEP_1)
	v_mul_lo_u32 v0, s0, v9
	v_mul_hi_u32 v10, v9, v0
	v_lshl_add_u64 v[0:1], v[2:3], 1, s[6:7]
	v_mov_b32_e32 v8, 0
	s_ashr_i32 s6, s13, 31
	s_delay_alu instid0(VALU_DEP_3)
	v_add_nc_u32_e32 v16, v9, v10
	s_branch .LBB32_55
.LBB32_53:                              ;   in Loop: Header=BB32_55 Depth=1
	s_or_b32 exec_lo, exec_lo, s0
	s_delay_alu instid0(VALU_DEP_1) | instskip(NEXT) | instid1(VALU_DEP_1)
	v_ashrrev_i32_e32 v9, 31, v15
	v_and_b32_e32 v13, s19, v9
	v_and_b32_e32 v12, s18, v9
	s_delay_alu instid0(VALU_DEP_1) | instskip(NEXT) | instid1(VALU_DEP_1)
	v_add_nc_u64_e32 v[12:13], v[12:13], v[14:15]
	v_sub_nc_u64_e32 v[14:15], s[18:19], v[12:13]
	v_cmp_gt_i64_e32 vcc_lo, s[8:9], v[12:13]
	s_delay_alu instid0(VALU_DEP_2)
	v_dual_cndmask_b32 v13, v15, v13 :: v_dual_cndmask_b32 v12, v14, v12
.LBB32_54:                              ;   in Loop: Header=BB32_55 Depth=1
	v_mul_u64_e32 v[10:11], s[8:9], v[10:11]
	v_add_nc_u64_e32 v[2:3], s[16:17], v[2:3]
	s_delay_alu instid0(VALU_DEP_1) | instskip(SKIP_1) | instid1(VALU_DEP_3)
	v_cmp_le_i64_e32 vcc_lo, s[14:15], v[2:3]
	s_or_b32 s25, vcc_lo, s25
	v_lshl_add_u64 v[10:11], v[10:11], 1, s[4:5]
	s_delay_alu instid0(VALU_DEP_1)
	v_lshl_add_u64 v[10:11], v[12:13], 1, v[10:11]
	global_load_u16 v9, v[10:11], off
	s_wait_loadcnt 0x0
	global_store_b16 v[0:1], v9, off
	s_wait_xcnt 0x0
	v_add_nc_u64_e32 v[0:1], v[0:1], v[6:7]
	s_and_not1_b32 exec_lo, exec_lo, s25
	s_cbranch_execz .LBB32_64
.LBB32_55:                              ; =>This Inner Loop Header: Depth=1
	v_or_b32_e32 v9, s13, v3
                                        ; implicit-def: $vgpr10_vgpr11
	s_mov_b32 s0, exec_lo
	s_delay_alu instid0(VALU_DEP_1)
	v_cmpx_ne_u64_e32 0, v[8:9]
	s_xor_b32 s21, exec_lo, s0
	s_cbranch_execnz .LBB32_58
; %bb.56:                               ;   in Loop: Header=BB32_55 Depth=1
	s_and_not1_saveexec_b32 s0, s21
	s_cbranch_execnz .LBB32_59
.LBB32_57:                              ;   in Loop: Header=BB32_55 Depth=1
	s_or_b32 exec_lo, exec_lo, s0
	v_mov_b64_e32 v[12:13], 0
	s_and_not1_b32 vcc_lo, exec_lo, s33
	s_cbranch_vccnz .LBB32_54
	s_branch .LBB32_60
.LBB32_58:                              ;   in Loop: Header=BB32_55 Depth=1
	s_mov_b32 s7, s6
	v_dual_mov_b32 v15, v8 :: v_dual_ashrrev_i32 v10, 31, v3
	s_add_nc_u64 s[22:23], s[12:13], s[6:7]
	v_mov_b32_e32 v25, v8
	s_xor_b64 s[22:23], s[22:23], s[6:7]
	s_delay_alu instid0(VALU_DEP_2) | instskip(SKIP_3) | instid1(VALU_DEP_1)
	v_mov_b32_e32 v11, v10
	s_cvt_f32_u32 s0, s22
	s_cvt_f32_u32 s7, s23
	s_sub_nc_u64 s[28:29], 0, s[22:23]
	v_add_nc_u64_e32 v[12:13], v[2:3], v[10:11]
	s_delay_alu instid0(SALU_CYCLE_1) | instskip(SKIP_1) | instid1(SALU_CYCLE_2)
	s_fmamk_f32 s0, s7, 0x4f800000, s0
	v_mov_b32_e32 v21, v8
	v_s_rcp_f32 s0, s0
	s_delay_alu instid0(VALU_DEP_2) | instskip(NEXT) | instid1(VALU_DEP_3)
	v_xor_b32_e32 v14, v12, v10
	v_xor_b32_e32 v20, v13, v10
	;; [unrolled: 1-line block ×3, first 2 shown]
	s_delay_alu instid0(TRANS32_DEP_1) | instskip(NEXT) | instid1(SALU_CYCLE_3)
	s_mul_f32 s0, s0, 0x5f7ffffc
	s_mul_f32 s7, s0, 0x2f800000
	s_delay_alu instid0(SALU_CYCLE_3) | instskip(NEXT) | instid1(SALU_CYCLE_3)
	s_trunc_f32 s7, s7
	s_fmamk_f32 s0, s7, 0xcf800000, s0
	s_cvt_u32_f32 s27, s7
	s_delay_alu instid0(SALU_CYCLE_2) | instskip(NEXT) | instid1(SALU_CYCLE_3)
	s_cvt_u32_f32 s26, s0
	s_mul_u64 s[30:31], s[28:29], s[26:27]
	s_delay_alu instid0(SALU_CYCLE_1)
	s_mul_hi_u32 s35, s26, s31
	s_mul_i32 s34, s26, s31
	s_mul_hi_u32 s0, s26, s30
	s_mul_i32 s36, s27, s30
	s_add_nc_u64 s[34:35], s[0:1], s[34:35]
	s_mul_hi_u32 s7, s27, s30
	s_mul_hi_u32 s37, s27, s31
	s_add_co_u32 s0, s34, s36
	s_add_co_ci_u32 s0, s35, s7
	s_mul_i32 s30, s27, s31
	s_add_co_ci_u32 s31, s37, 0
	s_delay_alu instid0(SALU_CYCLE_1) | instskip(NEXT) | instid1(SALU_CYCLE_1)
	s_add_nc_u64 s[30:31], s[0:1], s[30:31]
	s_add_co_u32 s26, s26, s30
	s_cselect_b32 s0, -1, 0
	s_delay_alu instid0(SALU_CYCLE_1) | instskip(SKIP_1) | instid1(SALU_CYCLE_1)
	s_cmp_lg_u32 s0, 0
	s_add_co_ci_u32 s27, s27, s31
	s_mul_u64 s[28:29], s[28:29], s[26:27]
	s_delay_alu instid0(SALU_CYCLE_1)
	s_mul_hi_u32 s31, s26, s29
	s_mul_i32 s30, s26, s29
	s_mul_hi_u32 s0, s26, s28
	s_mul_i32 s34, s27, s28
	s_add_nc_u64 s[30:31], s[0:1], s[30:31]
	s_mul_hi_u32 s7, s27, s28
	s_mul_hi_u32 s35, s27, s29
	s_add_co_u32 s0, s30, s34
	s_add_co_ci_u32 s0, s31, s7
	s_mul_i32 s28, s27, s29
	s_add_co_ci_u32 s29, s35, 0
	s_delay_alu instid0(SALU_CYCLE_1) | instskip(NEXT) | instid1(SALU_CYCLE_1)
	s_add_nc_u64 s[28:29], s[0:1], s[28:29]
	s_add_co_u32 s26, s26, s28
	s_cselect_b32 s0, -1, 0
	v_mul_hi_u32 v24, v14, s26
	s_cmp_lg_u32 s0, 0
	s_add_co_ci_u32 s0, s27, s29
	s_and_b64 s[28:29], s[26:27], s[10:11]
	v_mul_u64_e32 v[18:19], s[0:1], v[14:15]
	v_mul_u64_e32 v[12:13], s[28:29], v[20:21]
	;; [unrolled: 1-line block ×3, first 2 shown]
	s_delay_alu instid0(VALU_DEP_3) | instskip(NEXT) | instid1(VALU_DEP_1)
	v_add_nc_u64_e32 v[18:19], v[24:25], v[18:19]
	v_add_co_u32 v9, vcc_lo, v18, v12
	s_delay_alu instid0(VALU_DEP_2) | instskip(NEXT) | instid1(VALU_DEP_4)
	v_add_co_ci_u32_e32 v24, vcc_lo, v19, v13, vcc_lo
	v_add_co_ci_u32_e32 v23, vcc_lo, 0, v23, vcc_lo
	s_delay_alu instid0(VALU_DEP_1) | instskip(NEXT) | instid1(VALU_DEP_1)
	v_add_nc_u64_e32 v[12:13], v[24:25], v[22:23]
	v_mul_u64_e32 v[18:19], s[22:23], v[12:13]
	s_delay_alu instid0(VALU_DEP_1) | instskip(NEXT) | instid1(VALU_DEP_2)
	v_sub_nc_u32_e32 v9, v20, v19
	v_sub_co_u32 v11, vcc_lo, v14, v18
	s_delay_alu instid0(VALU_DEP_1) | instskip(NEXT) | instid1(VALU_DEP_3)
	v_sub_co_ci_u32_e64 v17, null, v20, v19, vcc_lo
	v_subrev_co_ci_u32_e64 v9, null, s23, v9, vcc_lo
	s_delay_alu instid0(VALU_DEP_3) | instskip(SKIP_1) | instid1(VALU_DEP_3)
	v_sub_co_u32 v14, s0, v11, s22
	v_add_nc_u64_e32 v[18:19], 1, v[12:13]
	v_subrev_co_ci_u32_e64 v9, null, 0, v9, s0
	s_delay_alu instid0(VALU_DEP_3) | instskip(SKIP_1) | instid1(VALU_DEP_3)
	v_cmp_le_u32_e32 vcc_lo, s22, v14
	v_cndmask_b32_e64 v14, 0, -1, vcc_lo
	v_cmp_le_u32_e32 vcc_lo, s23, v9
	v_cndmask_b32_e64 v15, 0, -1, vcc_lo
	;; [unrolled: 2-line block ×4, first 2 shown]
	v_cmp_eq_u32_e32 vcc_lo, s23, v9
	v_cndmask_b32_e32 v9, v15, v14, vcc_lo
	v_cmp_eq_u32_e32 vcc_lo, s23, v17
	v_add_nc_u64_e32 v[14:15], 2, v[12:13]
	v_cndmask_b32_e32 v11, v20, v11, vcc_lo
	s_delay_alu instid0(VALU_DEP_4) | instskip(NEXT) | instid1(VALU_DEP_2)
	v_cmp_ne_u32_e32 vcc_lo, 0, v9
	v_cmp_ne_u32_e64 s0, 0, v11
	s_delay_alu instid0(VALU_DEP_4) | instskip(NEXT) | instid1(VALU_DEP_1)
	v_dual_cndmask_b32 v9, v19, v15, vcc_lo :: v_dual_cndmask_b32 v11, v18, v14, vcc_lo
	v_dual_cndmask_b32 v12, v12, v11, s0 :: v_dual_mov_b32 v11, v10
	s_delay_alu instid0(VALU_DEP_1) | instskip(NEXT) | instid1(VALU_DEP_1)
	v_dual_cndmask_b32 v9, v13, v9, s0 :: v_dual_bitop2_b32 v12, v12, v10 bitop3:0x14
	v_xor_b32_e32 v13, v9, v10
	s_delay_alu instid0(VALU_DEP_1)
	v_sub_nc_u64_e32 v[10:11], v[12:13], v[10:11]
	s_and_not1_saveexec_b32 s0, s21
	s_cbranch_execz .LBB32_57
.LBB32_59:                              ;   in Loop: Header=BB32_55 Depth=1
	v_mul_hi_u32 v9, v2, v16
	s_delay_alu instid0(VALU_DEP_1) | instskip(NEXT) | instid1(VALU_DEP_1)
	v_mul_lo_u32 v10, v9, s12
	v_dual_add_nc_u32 v11, 1, v9 :: v_dual_sub_nc_u32 v10, v2, v10
	s_delay_alu instid0(VALU_DEP_1) | instskip(SKIP_1) | instid1(VALU_DEP_2)
	v_subrev_nc_u32_e32 v12, s12, v10
	v_cmp_le_u32_e32 vcc_lo, s12, v10
	v_dual_cndmask_b32 v10, v10, v12 :: v_dual_cndmask_b32 v9, v9, v11
	s_delay_alu instid0(VALU_DEP_1) | instskip(NEXT) | instid1(VALU_DEP_2)
	v_cmp_le_u32_e32 vcc_lo, s12, v10
	v_add_nc_u32_e32 v11, 1, v9
	s_delay_alu instid0(VALU_DEP_1)
	v_dual_cndmask_b32 v10, v9, v11 :: v_dual_mov_b32 v11, v8
	s_or_b32 exec_lo, exec_lo, s0
	v_mov_b64_e32 v[12:13], 0
	s_and_not1_b32 vcc_lo, exec_lo, s33
	s_cbranch_vccnz .LBB32_54
.LBB32_60:                              ;   in Loop: Header=BB32_55 Depth=1
	v_add_nc_u64_e32 v[12:13], s[2:3], v[2:3]
                                        ; implicit-def: $vgpr14_vgpr15
	s_mov_b32 s0, exec_lo
	s_delay_alu instid0(VALU_DEP_1) | instskip(NEXT) | instid1(VALU_DEP_1)
	v_mad_nc_u64_u32 v[12:13], v4, v10, v[12:13]
	v_mad_u32 v9, v5, v10, v13
	s_delay_alu instid0(VALU_DEP_1) | instskip(NEXT) | instid1(VALU_DEP_1)
	v_mad_u32 v13, v4, v11, v9
	v_or_b32_e32 v9, s19, v13
	s_delay_alu instid0(VALU_DEP_1)
	v_cmpx_ne_u64_e32 0, v[8:9]
	s_xor_b32 s7, exec_lo, s0
	s_cbranch_execz .LBB32_62
; %bb.61:                               ;   in Loop: Header=BB32_55 Depth=1
	s_mov_b32 s21, s20
	v_dual_mov_b32 v19, v8 :: v_dual_ashrrev_i32 v14, 31, v13
	s_add_nc_u64 s[22:23], s[18:19], s[20:21]
	s_delay_alu instid0(SALU_CYCLE_1) | instskip(NEXT) | instid1(VALU_DEP_1)
	s_xor_b64 s[22:23], s[22:23], s[20:21]
	v_mov_b32_e32 v15, v14
	s_cvt_f32_u32 s0, s22
	s_cvt_f32_u32 s21, s23
	s_sub_nc_u64 s[28:29], 0, s[22:23]
	s_delay_alu instid0(VALU_DEP_1) | instskip(NEXT) | instid1(SALU_CYCLE_1)
	v_add_nc_u64_e32 v[12:13], v[12:13], v[14:15]
	s_fmamk_f32 s0, s21, 0x4f800000, s0
	v_mov_b32_e32 v23, v8
	s_delay_alu instid0(SALU_CYCLE_2) | instskip(NEXT) | instid1(VALU_DEP_2)
	v_s_rcp_f32 s0, s0
	v_xor_b32_e32 v18, v12, v14
	s_delay_alu instid0(VALU_DEP_3) | instskip(NEXT) | instid1(TRANS32_DEP_1)
	v_dual_mov_b32 v27, v8 :: v_dual_bitop2_b32 v22, v13, v14 bitop3:0x14
	s_mul_f32 s0, s0, 0x5f7ffffc
	s_delay_alu instid0(SALU_CYCLE_3) | instskip(NEXT) | instid1(SALU_CYCLE_3)
	s_mul_f32 s21, s0, 0x2f800000
	s_trunc_f32 s21, s21
	s_delay_alu instid0(SALU_CYCLE_3) | instskip(SKIP_1) | instid1(SALU_CYCLE_2)
	s_fmamk_f32 s0, s21, 0xcf800000, s0
	s_cvt_u32_f32 s27, s21
	s_cvt_u32_f32 s26, s0
	s_delay_alu instid0(SALU_CYCLE_3) | instskip(NEXT) | instid1(SALU_CYCLE_1)
	s_mul_u64 s[30:31], s[28:29], s[26:27]
	s_mul_hi_u32 s35, s26, s31
	s_mul_i32 s34, s26, s31
	s_mul_hi_u32 s0, s26, s30
	s_mul_i32 s36, s27, s30
	s_add_nc_u64 s[34:35], s[0:1], s[34:35]
	s_mul_hi_u32 s21, s27, s30
	s_mul_hi_u32 s37, s27, s31
	s_add_co_u32 s0, s34, s36
	s_add_co_ci_u32 s0, s35, s21
	s_mul_i32 s30, s27, s31
	s_add_co_ci_u32 s31, s37, 0
	s_delay_alu instid0(SALU_CYCLE_1) | instskip(NEXT) | instid1(SALU_CYCLE_1)
	s_add_nc_u64 s[30:31], s[0:1], s[30:31]
	s_add_co_u32 s26, s26, s30
	s_cselect_b32 s0, -1, 0
	s_delay_alu instid0(SALU_CYCLE_1) | instskip(SKIP_1) | instid1(SALU_CYCLE_1)
	s_cmp_lg_u32 s0, 0
	s_add_co_ci_u32 s27, s27, s31
	s_mul_u64 s[28:29], s[28:29], s[26:27]
	s_delay_alu instid0(SALU_CYCLE_1)
	s_mul_hi_u32 s31, s26, s29
	s_mul_i32 s30, s26, s29
	s_mul_hi_u32 s0, s26, s28
	s_mul_i32 s34, s27, s28
	s_add_nc_u64 s[30:31], s[0:1], s[30:31]
	s_mul_hi_u32 s21, s27, s28
	s_mul_hi_u32 s35, s27, s29
	s_add_co_u32 s0, s30, s34
	s_add_co_ci_u32 s0, s31, s21
	s_mul_i32 s28, s27, s29
	s_add_co_ci_u32 s29, s35, 0
	s_delay_alu instid0(SALU_CYCLE_1) | instskip(NEXT) | instid1(SALU_CYCLE_1)
	s_add_nc_u64 s[28:29], s[0:1], s[28:29]
	s_add_co_u32 s26, s26, s28
	s_cselect_b32 s0, -1, 0
	v_mul_hi_u32 v26, v18, s26
	s_cmp_lg_u32 s0, 0
	s_add_co_ci_u32 s0, s27, s29
	s_and_b64 s[28:29], s[26:27], s[10:11]
	v_mul_u64_e32 v[20:21], s[0:1], v[18:19]
	v_mul_u64_e32 v[12:13], s[28:29], v[22:23]
	;; [unrolled: 1-line block ×3, first 2 shown]
	s_delay_alu instid0(VALU_DEP_3) | instskip(NEXT) | instid1(VALU_DEP_1)
	v_add_nc_u64_e32 v[20:21], v[26:27], v[20:21]
	v_add_co_u32 v9, vcc_lo, v20, v12
	s_delay_alu instid0(VALU_DEP_2) | instskip(NEXT) | instid1(VALU_DEP_4)
	v_add_co_ci_u32_e32 v26, vcc_lo, v21, v13, vcc_lo
	v_add_co_ci_u32_e32 v25, vcc_lo, 0, v25, vcc_lo
	s_delay_alu instid0(VALU_DEP_1) | instskip(NEXT) | instid1(VALU_DEP_1)
	v_add_nc_u64_e32 v[12:13], v[26:27], v[24:25]
	v_mul_u64_e32 v[12:13], s[22:23], v[12:13]
	s_delay_alu instid0(VALU_DEP_1) | instskip(NEXT) | instid1(VALU_DEP_2)
	v_sub_nc_u32_e32 v9, v22, v13
	v_sub_co_u32 v12, vcc_lo, v18, v12
	s_delay_alu instid0(VALU_DEP_1) | instskip(NEXT) | instid1(VALU_DEP_3)
	v_sub_co_ci_u32_e64 v13, null, v22, v13, vcc_lo
	v_subrev_co_ci_u32_e64 v9, null, s23, v9, vcc_lo
	s_delay_alu instid0(VALU_DEP_3) | instskip(SKIP_1) | instid1(VALU_DEP_3)
	v_sub_co_u32 v17, vcc_lo, v12, s22
	v_cmp_le_u32_e64 s0, s22, v12
	v_subrev_co_ci_u32_e64 v18, null, 0, v9, vcc_lo
	v_subrev_co_ci_u32_e64 v9, null, s23, v9, vcc_lo
	s_delay_alu instid0(VALU_DEP_3) | instskip(SKIP_2) | instid1(VALU_DEP_2)
	v_cndmask_b32_e64 v19, 0, -1, s0
	v_cmp_le_u32_e64 s0, s22, v17
	v_cmp_le_u32_e32 vcc_lo, s23, v13
	v_cndmask_b32_e64 v20, 0, -1, s0
	v_cmp_le_u32_e64 s0, s23, v18
	v_cndmask_b32_e64 v22, 0, -1, vcc_lo
	v_cmp_eq_u32_e32 vcc_lo, s23, v18
	s_delay_alu instid0(VALU_DEP_3) | instskip(SKIP_1) | instid1(VALU_DEP_1)
	v_cndmask_b32_e64 v21, 0, -1, s0
	v_cmp_eq_u32_e64 s0, s23, v13
	v_dual_cndmask_b32 v20, v21, v20, vcc_lo :: v_dual_cndmask_b32 v19, v22, v19, s0
	v_sub_co_u32 v21, vcc_lo, v17, s22
	s_delay_alu instid0(VALU_DEP_1) | instskip(NEXT) | instid1(VALU_DEP_3)
	v_subrev_co_ci_u32_e64 v9, null, 0, v9, vcc_lo
	v_cmp_ne_u32_e32 vcc_lo, 0, v20
	s_delay_alu instid0(VALU_DEP_2) | instskip(NEXT) | instid1(VALU_DEP_4)
	v_cndmask_b32_e32 v9, v18, v9, vcc_lo
	v_cndmask_b32_e32 v17, v17, v21, vcc_lo
	v_cmp_ne_u32_e32 vcc_lo, 0, v19
	s_delay_alu instid0(VALU_DEP_2) | instskip(NEXT) | instid1(VALU_DEP_1)
	v_cndmask_b32_e32 v12, v12, v17, vcc_lo
	v_dual_cndmask_b32 v9, v13, v9, vcc_lo :: v_dual_bitop2_b32 v12, v12, v14 bitop3:0x14
	s_delay_alu instid0(VALU_DEP_1) | instskip(NEXT) | instid1(VALU_DEP_1)
	v_xor_b32_e32 v13, v9, v14
	v_sub_nc_u64_e32 v[14:15], v[12:13], v[14:15]
                                        ; implicit-def: $vgpr12_vgpr13
.LBB32_62:                              ;   in Loop: Header=BB32_55 Depth=1
	s_and_not1_saveexec_b32 s0, s7
	s_cbranch_execz .LBB32_53
; %bb.63:                               ;   in Loop: Header=BB32_55 Depth=1
	v_cvt_f32_u32_e32 v9, s18
	v_mov_b32_e32 v15, v8
	s_delay_alu instid0(VALU_DEP_2) | instskip(SKIP_1) | instid1(TRANS32_DEP_1)
	v_rcp_iflag_f32_e32 v9, v9
	v_nop
	v_mul_f32_e32 v9, 0x4f7ffffe, v9
	s_delay_alu instid0(VALU_DEP_1) | instskip(NEXT) | instid1(VALU_DEP_1)
	v_cvt_u32_f32_e32 v9, v9
	v_mul_lo_u32 v13, s24, v9
	s_delay_alu instid0(VALU_DEP_1) | instskip(NEXT) | instid1(VALU_DEP_1)
	v_mul_hi_u32 v13, v9, v13
	v_add_nc_u32_e32 v9, v9, v13
	s_delay_alu instid0(VALU_DEP_1) | instskip(NEXT) | instid1(VALU_DEP_1)
	v_mul_hi_u32 v9, v12, v9
	v_mul_lo_u32 v9, v9, s18
	s_delay_alu instid0(VALU_DEP_1) | instskip(NEXT) | instid1(VALU_DEP_1)
	v_sub_nc_u32_e32 v9, v12, v9
	v_subrev_nc_u32_e32 v12, s18, v9
	v_cmp_le_u32_e32 vcc_lo, s18, v9
	s_delay_alu instid0(VALU_DEP_2) | instskip(NEXT) | instid1(VALU_DEP_1)
	v_cndmask_b32_e32 v9, v9, v12, vcc_lo
	v_subrev_nc_u32_e32 v12, s18, v9
	v_cmp_le_u32_e32 vcc_lo, s18, v9
	s_delay_alu instid0(VALU_DEP_2)
	v_cndmask_b32_e32 v14, v9, v12, vcc_lo
	s_branch .LBB32_53
.LBB32_64:
	s_endpgm
	.section	.rodata,"a",@progbits
	.p2align	6, 0x0
	.amdhsa_kernel _ZN2at6native12_GLOBAL__N_121reflection_pad1d_flatIsEEvPKT_PS3_lllll
		.amdhsa_group_segment_fixed_size 0
		.amdhsa_private_segment_fixed_size 0
		.amdhsa_kernarg_size 312
		.amdhsa_user_sgpr_count 2
		.amdhsa_user_sgpr_dispatch_ptr 0
		.amdhsa_user_sgpr_queue_ptr 0
		.amdhsa_user_sgpr_kernarg_segment_ptr 1
		.amdhsa_user_sgpr_dispatch_id 0
		.amdhsa_user_sgpr_kernarg_preload_length 0
		.amdhsa_user_sgpr_kernarg_preload_offset 0
		.amdhsa_user_sgpr_private_segment_size 0
		.amdhsa_wavefront_size32 1
		.amdhsa_uses_dynamic_stack 0
		.amdhsa_enable_private_segment 0
		.amdhsa_system_sgpr_workgroup_id_x 1
		.amdhsa_system_sgpr_workgroup_id_y 0
		.amdhsa_system_sgpr_workgroup_id_z 0
		.amdhsa_system_sgpr_workgroup_info 0
		.amdhsa_system_vgpr_workitem_id 0
		.amdhsa_next_free_vgpr 56
		.amdhsa_next_free_sgpr 69
		.amdhsa_named_barrier_count 0
		.amdhsa_reserve_vcc 1
		.amdhsa_float_round_mode_32 0
		.amdhsa_float_round_mode_16_64 0
		.amdhsa_float_denorm_mode_32 3
		.amdhsa_float_denorm_mode_16_64 3
		.amdhsa_fp16_overflow 0
		.amdhsa_memory_ordered 1
		.amdhsa_forward_progress 1
		.amdhsa_inst_pref_size 76
		.amdhsa_round_robin_scheduling 0
		.amdhsa_exception_fp_ieee_invalid_op 0
		.amdhsa_exception_fp_denorm_src 0
		.amdhsa_exception_fp_ieee_div_zero 0
		.amdhsa_exception_fp_ieee_overflow 0
		.amdhsa_exception_fp_ieee_underflow 0
		.amdhsa_exception_fp_ieee_inexact 0
		.amdhsa_exception_int_div_zero 0
	.end_amdhsa_kernel
	.section	.text._ZN2at6native12_GLOBAL__N_121reflection_pad1d_flatIsEEvPKT_PS3_lllll,"axG",@progbits,_ZN2at6native12_GLOBAL__N_121reflection_pad1d_flatIsEEvPKT_PS3_lllll,comdat
.Lfunc_end32:
	.size	_ZN2at6native12_GLOBAL__N_121reflection_pad1d_flatIsEEvPKT_PS3_lllll, .Lfunc_end32-_ZN2at6native12_GLOBAL__N_121reflection_pad1d_flatIsEEvPKT_PS3_lllll
                                        ; -- End function
	.set _ZN2at6native12_GLOBAL__N_121reflection_pad1d_flatIsEEvPKT_PS3_lllll.num_vgpr, 56
	.set _ZN2at6native12_GLOBAL__N_121reflection_pad1d_flatIsEEvPKT_PS3_lllll.num_agpr, 0
	.set _ZN2at6native12_GLOBAL__N_121reflection_pad1d_flatIsEEvPKT_PS3_lllll.numbered_sgpr, 69
	.set _ZN2at6native12_GLOBAL__N_121reflection_pad1d_flatIsEEvPKT_PS3_lllll.num_named_barrier, 0
	.set _ZN2at6native12_GLOBAL__N_121reflection_pad1d_flatIsEEvPKT_PS3_lllll.private_seg_size, 0
	.set _ZN2at6native12_GLOBAL__N_121reflection_pad1d_flatIsEEvPKT_PS3_lllll.uses_vcc, 1
	.set _ZN2at6native12_GLOBAL__N_121reflection_pad1d_flatIsEEvPKT_PS3_lllll.uses_flat_scratch, 0
	.set _ZN2at6native12_GLOBAL__N_121reflection_pad1d_flatIsEEvPKT_PS3_lllll.has_dyn_sized_stack, 0
	.set _ZN2at6native12_GLOBAL__N_121reflection_pad1d_flatIsEEvPKT_PS3_lllll.has_recursion, 0
	.set _ZN2at6native12_GLOBAL__N_121reflection_pad1d_flatIsEEvPKT_PS3_lllll.has_indirect_call, 0
	.section	.AMDGPU.csdata,"",@progbits
; Kernel info:
; codeLenInByte = 9692
; TotalNumSgprs: 71
; NumVgprs: 56
; ScratchSize: 0
; MemoryBound: 0
; FloatMode: 240
; IeeeMode: 1
; LDSByteSize: 0 bytes/workgroup (compile time only)
; SGPRBlocks: 0
; VGPRBlocks: 3
; NumSGPRsForWavesPerEU: 71
; NumVGPRsForWavesPerEU: 56
; NamedBarCnt: 0
; Occupancy: 16
; WaveLimiterHint : 0
; COMPUTE_PGM_RSRC2:SCRATCH_EN: 0
; COMPUTE_PGM_RSRC2:USER_SGPR: 2
; COMPUTE_PGM_RSRC2:TRAP_HANDLER: 0
; COMPUTE_PGM_RSRC2:TGID_X_EN: 1
; COMPUTE_PGM_RSRC2:TGID_Y_EN: 0
; COMPUTE_PGM_RSRC2:TGID_Z_EN: 0
; COMPUTE_PGM_RSRC2:TIDIG_COMP_CNT: 0
	.section	.text._ZN2at6native12_GLOBAL__N_127reflection_pad1d_out_kernelIdEEvPKT_PS3_lll,"axG",@progbits,_ZN2at6native12_GLOBAL__N_127reflection_pad1d_out_kernelIdEEvPKT_PS3_lll,comdat
	.globl	_ZN2at6native12_GLOBAL__N_127reflection_pad1d_out_kernelIdEEvPKT_PS3_lll ; -- Begin function _ZN2at6native12_GLOBAL__N_127reflection_pad1d_out_kernelIdEEvPKT_PS3_lll
	.p2align	8
	.type	_ZN2at6native12_GLOBAL__N_127reflection_pad1d_out_kernelIdEEvPKT_PS3_lll,@function
_ZN2at6native12_GLOBAL__N_127reflection_pad1d_out_kernelIdEEvPKT_PS3_lll: ; @_ZN2at6native12_GLOBAL__N_127reflection_pad1d_out_kernelIdEEvPKT_PS3_lll
; %bb.0:
	s_clause 0x2
	s_load_b32 s13, s[0:1], 0x34
	s_load_b64 s[2:3], s[0:1], 0x20
	s_load_b256 s[4:11], s[0:1], 0x0
	s_bfe_u32 s12, ttmp6, 0x4000c
	s_and_b32 s14, ttmp6, 15
	s_add_co_i32 s15, s12, 1
	s_getreg_b32 s12, hwreg(HW_REG_IB_STS2, 6, 4)
	s_mul_i32 s15, ttmp9, s15
	v_mov_b32_e32 v1, 0
	s_add_co_i32 s14, s14, s15
	s_mov_b32 s16, exec_lo
	s_wait_kmcnt 0x0
	s_and_b32 s13, s13, 0xffff
	s_cmp_eq_u32 s12, 0
	s_cselect_b32 s14, ttmp9, s14
	s_delay_alu instid0(SALU_CYCLE_1)
	v_mad_nc_u64_u32 v[0:1], s13, s14, v[0:1]
	s_add_nc_u64 s[14:15], s[10:11], s[8:9]
	s_mov_b32 s13, 0
	s_add_nc_u64 s[2:3], s[14:15], s[2:3]
	s_delay_alu instid0(VALU_DEP_1) | instid1(SALU_CYCLE_1)
	v_cmpx_gt_i64_e64 s[2:3], v[0:1]
	s_cbranch_execz .LBB33_2
; %bb.1:
	v_sub_nc_u64_e64 v[2:3], v[0:1], s[14:15]
	v_max_i64 v[4:5], s[10:11], 0
	s_sub_nc_u64 s[16:17], 0, s[10:11]
	v_sub_nc_u64_e64 v[8:9], v[0:1], s[10:11]
	s_add_nc_u64 s[10:11], s[14:15], s[10:11]
	s_add_nc_u64 s[0:1], s[0:1], 40
	s_lshr_b32 s14, ttmp7, 16
	v_add_nc_u64_e32 v[6:7], 1, v[2:3]
	v_not_b32_e32 v3, v3
	v_not_b32_e32 v2, v2
	v_sub_nc_u64_e32 v[10:11], 0, v[8:9]
	s_load_b32 s0, s[0:1], 0x4
	s_wait_xcnt 0x0
	s_bfe_u32 s1, ttmp6, 0x40010
	s_bfe_u32 s15, ttmp6, 0x40004
	v_max_i64 v[2:3], v[6:7], v[2:3]
	v_max_i64 v[6:7], s[16:17], 0
	s_add_co_i32 s1, s1, 1
	v_max_i64 v[8:9], v[8:9], v[10:11]
	s_bfe_u32 s16, ttmp6, 0x40008
	v_not_b32_e32 v4, v4
	v_not_b32_e32 v5, v5
	s_delay_alu instid0(VALU_DEP_1)
	v_add_nc_u64_e32 v[4:5], s[10:11], v[4:5]
	s_bfe_u32 s11, ttmp6, 0x40014
	s_and_b32 s10, ttmp7, 0xffff
	s_add_co_i32 s11, s11, 1
	s_mul_i32 s1, s10, s1
	s_mul_i32 s11, s14, s11
	s_add_co_i32 s15, s15, s1
	v_add_nc_u64_e32 v[2:3], v[0:1], v[2:3]
	v_add_nc_u64_e32 v[4:5], v[4:5], v[6:7]
	s_add_co_i32 s16, s16, s11
	s_cmp_eq_u32 s12, 0
	s_cselect_b32 s1, s14, s16
	s_wait_kmcnt 0x0
	s_mul_i32 s0, s0, s1
	s_delay_alu instid0(VALU_DEP_1) | instskip(SKIP_1) | instid1(SALU_CYCLE_1)
	v_sub_nc_u64_e32 v[2:3], v[4:5], v[2:3]
	s_cselect_b32 s1, s10, s15
	s_add_co_i32 s12, s0, s1
	s_delay_alu instid0(SALU_CYCLE_1) | instskip(NEXT) | instid1(VALU_DEP_1)
	s_mul_u64 s[0:1], s[8:9], s[12:13]
	v_lshl_add_u64 v[2:3], v[2:3], 3, s[4:5]
	s_delay_alu instid0(VALU_DEP_1) | instskip(NEXT) | instid1(VALU_DEP_1)
	v_lshl_add_u64 v[2:3], v[8:9], 3, v[2:3]
	v_lshl_add_u64 v[2:3], s[0:1], 3, v[2:3]
	s_mul_u64 s[0:1], s[2:3], s[12:13]
	s_delay_alu instid0(SALU_CYCLE_1) | instskip(SKIP_2) | instid1(SALU_CYCLE_1)
	s_lshl_b64 s[0:1], s[0:1], 3
	global_load_b64 v[2:3], v[2:3], off
	s_add_nc_u64 s[0:1], s[6:7], s[0:1]
	v_lshl_add_u64 v[0:1], v[0:1], 3, s[0:1]
	s_wait_loadcnt 0x0
	global_store_b64 v[0:1], v[2:3], off
.LBB33_2:
	s_endpgm
	.section	.rodata,"a",@progbits
	.p2align	6, 0x0
	.amdhsa_kernel _ZN2at6native12_GLOBAL__N_127reflection_pad1d_out_kernelIdEEvPKT_PS3_lll
		.amdhsa_group_segment_fixed_size 0
		.amdhsa_private_segment_fixed_size 0
		.amdhsa_kernarg_size 296
		.amdhsa_user_sgpr_count 2
		.amdhsa_user_sgpr_dispatch_ptr 0
		.amdhsa_user_sgpr_queue_ptr 0
		.amdhsa_user_sgpr_kernarg_segment_ptr 1
		.amdhsa_user_sgpr_dispatch_id 0
		.amdhsa_user_sgpr_kernarg_preload_length 0
		.amdhsa_user_sgpr_kernarg_preload_offset 0
		.amdhsa_user_sgpr_private_segment_size 0
		.amdhsa_wavefront_size32 1
		.amdhsa_uses_dynamic_stack 0
		.amdhsa_enable_private_segment 0
		.amdhsa_system_sgpr_workgroup_id_x 1
		.amdhsa_system_sgpr_workgroup_id_y 1
		.amdhsa_system_sgpr_workgroup_id_z 1
		.amdhsa_system_sgpr_workgroup_info 0
		.amdhsa_system_vgpr_workitem_id 0
		.amdhsa_next_free_vgpr 12
		.amdhsa_next_free_sgpr 18
		.amdhsa_named_barrier_count 0
		.amdhsa_reserve_vcc 0
		.amdhsa_float_round_mode_32 0
		.amdhsa_float_round_mode_16_64 0
		.amdhsa_float_denorm_mode_32 3
		.amdhsa_float_denorm_mode_16_64 3
		.amdhsa_fp16_overflow 0
		.amdhsa_memory_ordered 1
		.amdhsa_forward_progress 1
		.amdhsa_inst_pref_size 4
		.amdhsa_round_robin_scheduling 0
		.amdhsa_exception_fp_ieee_invalid_op 0
		.amdhsa_exception_fp_denorm_src 0
		.amdhsa_exception_fp_ieee_div_zero 0
		.amdhsa_exception_fp_ieee_overflow 0
		.amdhsa_exception_fp_ieee_underflow 0
		.amdhsa_exception_fp_ieee_inexact 0
		.amdhsa_exception_int_div_zero 0
	.end_amdhsa_kernel
	.section	.text._ZN2at6native12_GLOBAL__N_127reflection_pad1d_out_kernelIdEEvPKT_PS3_lll,"axG",@progbits,_ZN2at6native12_GLOBAL__N_127reflection_pad1d_out_kernelIdEEvPKT_PS3_lll,comdat
.Lfunc_end33:
	.size	_ZN2at6native12_GLOBAL__N_127reflection_pad1d_out_kernelIdEEvPKT_PS3_lll, .Lfunc_end33-_ZN2at6native12_GLOBAL__N_127reflection_pad1d_out_kernelIdEEvPKT_PS3_lll
                                        ; -- End function
	.set _ZN2at6native12_GLOBAL__N_127reflection_pad1d_out_kernelIdEEvPKT_PS3_lll.num_vgpr, 12
	.set _ZN2at6native12_GLOBAL__N_127reflection_pad1d_out_kernelIdEEvPKT_PS3_lll.num_agpr, 0
	.set _ZN2at6native12_GLOBAL__N_127reflection_pad1d_out_kernelIdEEvPKT_PS3_lll.numbered_sgpr, 18
	.set _ZN2at6native12_GLOBAL__N_127reflection_pad1d_out_kernelIdEEvPKT_PS3_lll.num_named_barrier, 0
	.set _ZN2at6native12_GLOBAL__N_127reflection_pad1d_out_kernelIdEEvPKT_PS3_lll.private_seg_size, 0
	.set _ZN2at6native12_GLOBAL__N_127reflection_pad1d_out_kernelIdEEvPKT_PS3_lll.uses_vcc, 0
	.set _ZN2at6native12_GLOBAL__N_127reflection_pad1d_out_kernelIdEEvPKT_PS3_lll.uses_flat_scratch, 0
	.set _ZN2at6native12_GLOBAL__N_127reflection_pad1d_out_kernelIdEEvPKT_PS3_lll.has_dyn_sized_stack, 0
	.set _ZN2at6native12_GLOBAL__N_127reflection_pad1d_out_kernelIdEEvPKT_PS3_lll.has_recursion, 0
	.set _ZN2at6native12_GLOBAL__N_127reflection_pad1d_out_kernelIdEEvPKT_PS3_lll.has_indirect_call, 0
	.section	.AMDGPU.csdata,"",@progbits
; Kernel info:
; codeLenInByte = 428
; TotalNumSgprs: 18
; NumVgprs: 12
; ScratchSize: 0
; MemoryBound: 0
; FloatMode: 240
; IeeeMode: 1
; LDSByteSize: 0 bytes/workgroup (compile time only)
; SGPRBlocks: 0
; VGPRBlocks: 0
; NumSGPRsForWavesPerEU: 18
; NumVGPRsForWavesPerEU: 12
; NamedBarCnt: 0
; Occupancy: 16
; WaveLimiterHint : 0
; COMPUTE_PGM_RSRC2:SCRATCH_EN: 0
; COMPUTE_PGM_RSRC2:USER_SGPR: 2
; COMPUTE_PGM_RSRC2:TRAP_HANDLER: 0
; COMPUTE_PGM_RSRC2:TGID_X_EN: 1
; COMPUTE_PGM_RSRC2:TGID_Y_EN: 1
; COMPUTE_PGM_RSRC2:TGID_Z_EN: 1
; COMPUTE_PGM_RSRC2:TIDIG_COMP_CNT: 0
	.section	.text._ZN2at6native12_GLOBAL__N_121reflection_pad1d_flatIdEEvPKT_PS3_lllll,"axG",@progbits,_ZN2at6native12_GLOBAL__N_121reflection_pad1d_flatIdEEvPKT_PS3_lllll,comdat
	.globl	_ZN2at6native12_GLOBAL__N_121reflection_pad1d_flatIdEEvPKT_PS3_lllll ; -- Begin function _ZN2at6native12_GLOBAL__N_121reflection_pad1d_flatIdEEvPKT_PS3_lllll
	.p2align	8
	.type	_ZN2at6native12_GLOBAL__N_121reflection_pad1d_flatIdEEvPKT_PS3_lllll,@function
_ZN2at6native12_GLOBAL__N_121reflection_pad1d_flatIdEEvPKT_PS3_lllll: ; @_ZN2at6native12_GLOBAL__N_121reflection_pad1d_flatIdEEvPKT_PS3_lllll
; %bb.0:
	s_clause 0x1
	s_load_b32 s2, s[0:1], 0x44
	s_load_b128 s[12:15], s[0:1], 0x28
	s_bfe_u32 s3, ttmp6, 0x4000c
	v_mov_b32_e32 v2, 0
	s_add_co_i32 s3, s3, 1
	s_and_b32 s4, ttmp6, 15
	s_mul_i32 s3, ttmp9, s3
	s_getreg_b32 s5, hwreg(HW_REG_IB_STS2, 6, 4)
	v_mov_b32_e32 v1, v2
	s_add_co_i32 s4, s4, s3
	s_wait_kmcnt 0x0
	s_and_b32 s2, s2, 0xffff
	s_cmp_eq_u32 s5, 0
	s_mul_u64 s[14:15], s[14:15], s[12:13]
	s_cselect_b32 s3, ttmp9, s4
	s_mov_b32 s4, exec_lo
	v_mad_nc_u64_u32 v[0:1], s2, s3, v[0:1]
	s_mov_b32 s3, 0
	s_delay_alu instid0(VALU_DEP_1)
	v_cmpx_gt_i64_e64 s[14:15], v[0:1]
	s_cbranch_execz .LBB34_13
; %bb.1:
	v_cvt_f32_u32_e32 v3, s12
	s_load_b256 s[4:11], s[0:1], 0x0
	s_wait_xcnt 0x0
	s_add_nc_u64 s[0:1], s[0:1], 56
	s_sub_co_i32 s16, 0, s12
	s_load_b32 s0, s[0:1], 0x0
	v_rcp_iflag_f32_e32 v3, v3
	s_wait_xcnt 0x0
	s_mov_b32 s1, s3
	s_mov_b64 s[18:19], 0xffffffff
	s_ashr_i32 s24, s13, 31
	s_mov_b32 s30, 0
	v_nop
	v_mul_f32_e32 v3, 0x4f7ffffe, v3
	s_delay_alu instid0(VALU_DEP_1) | instskip(SKIP_2) | instid1(VALU_DEP_1)
	v_cvt_u32_f32_e32 v3, v3
	s_wait_kmcnt 0x0
	s_lshl_b64 s[20:21], s[8:9], 1
	v_mul_lo_u32 v4, s16, v3
	s_add_nc_u64 s[20:21], s[20:21], -2
	s_sub_nc_u64 s[16:17], 0, s[12:13]
	s_sub_nc_u64 s[10:11], 0, s[10:11]
	s_ashr_i32 s26, s21, 31
	s_delay_alu instid0(VALU_DEP_1)
	v_mul_hi_u32 v6, v3, v4
	v_lshl_add_u64 v[4:5], v[0:1], 3, s[6:7]
	s_mul_u64 s[6:7], s[2:3], s[0:1]
	v_cmp_gt_i64_e64 s1, s[20:21], 0
	s_lshl_b64 s[22:23], s[6:7], 3
	v_add_nc_u32_e32 v12, v3, v6
	s_branch .LBB34_4
.LBB34_2:                               ;   in Loop: Header=BB34_4 Depth=1
	s_or_b32 exec_lo, exec_lo, s0
	s_delay_alu instid0(VALU_DEP_1) | instskip(NEXT) | instid1(VALU_DEP_1)
	v_ashrrev_i32_e32 v3, 31, v11
	v_and_b32_e32 v9, s21, v3
	v_and_b32_e32 v8, s20, v3
	s_delay_alu instid0(VALU_DEP_1) | instskip(NEXT) | instid1(VALU_DEP_1)
	v_add_nc_u64_e32 v[8:9], v[8:9], v[10:11]
	v_sub_nc_u64_e32 v[10:11], s[20:21], v[8:9]
	v_cmp_gt_i64_e32 vcc_lo, s[8:9], v[8:9]
	s_delay_alu instid0(VALU_DEP_2)
	v_dual_cndmask_b32 v9, v11, v9 :: v_dual_cndmask_b32 v8, v10, v8
.LBB34_3:                               ;   in Loop: Header=BB34_4 Depth=1
	v_mul_u64_e32 v[6:7], s[8:9], v[6:7]
	v_add_nc_u64_e32 v[0:1], s[6:7], v[0:1]
	s_delay_alu instid0(VALU_DEP_1) | instskip(SKIP_1) | instid1(VALU_DEP_3)
	v_cmp_le_i64_e32 vcc_lo, s[14:15], v[0:1]
	s_or_b32 s30, vcc_lo, s30
	v_lshl_add_u64 v[6:7], v[6:7], 3, s[4:5]
	s_delay_alu instid0(VALU_DEP_1)
	v_lshl_add_u64 v[6:7], v[8:9], 3, v[6:7]
	global_load_b64 v[6:7], v[6:7], off
	s_wait_loadcnt 0x0
	global_store_b64 v[4:5], v[6:7], off
	s_wait_xcnt 0x0
	v_add_nc_u64_e32 v[4:5], s[22:23], v[4:5]
	s_and_not1_b32 exec_lo, exec_lo, s30
	s_cbranch_execz .LBB34_13
.LBB34_4:                               ; =>This Inner Loop Header: Depth=1
	v_or_b32_e32 v3, s13, v1
                                        ; implicit-def: $vgpr6_vgpr7
	s_mov_b32 s0, exec_lo
	s_delay_alu instid0(VALU_DEP_1)
	v_cmpx_ne_u64_e32 0, v[2:3]
	s_xor_b32 s27, exec_lo, s0
	s_cbranch_execnz .LBB34_7
; %bb.5:                                ;   in Loop: Header=BB34_4 Depth=1
	s_and_not1_saveexec_b32 s0, s27
	s_cbranch_execnz .LBB34_8
.LBB34_6:                               ;   in Loop: Header=BB34_4 Depth=1
	s_or_b32 exec_lo, exec_lo, s0
	v_mov_b64_e32 v[8:9], 0
	s_and_not1_b32 vcc_lo, exec_lo, s1
	s_cbranch_vccnz .LBB34_3
	s_branch .LBB34_9
.LBB34_7:                               ;   in Loop: Header=BB34_4 Depth=1
	s_mov_b32 s25, s24
	v_dual_mov_b32 v11, v2 :: v_dual_ashrrev_i32 v6, 31, v1
	s_add_nc_u64 s[28:29], s[12:13], s[24:25]
	s_delay_alu instid0(SALU_CYCLE_1) | instskip(NEXT) | instid1(VALU_DEP_1)
	s_xor_b64 s[28:29], s[28:29], s[24:25]
	v_mov_b32_e32 v7, v6
	s_cvt_f32_u32 s0, s28
	s_cvt_f32_u32 s2, s29
	s_sub_nc_u64 s[36:37], 0, s[28:29]
	s_delay_alu instid0(VALU_DEP_1) | instskip(NEXT) | instid1(SALU_CYCLE_1)
	v_add_nc_u64_e32 v[8:9], v[0:1], v[6:7]
	s_fmamk_f32 s0, s2, 0x4f800000, s0
	v_mov_b32_e32 v17, v2
	s_delay_alu instid0(SALU_CYCLE_2) | instskip(NEXT) | instid1(VALU_DEP_2)
	v_s_rcp_f32 s0, s0
	v_xor_b32_e32 v10, v8, v6
	s_delay_alu instid0(VALU_DEP_3) | instskip(NEXT) | instid1(TRANS32_DEP_1)
	v_dual_mov_b32 v21, v2 :: v_dual_bitop2_b32 v16, v9, v6 bitop3:0x14
	s_mul_f32 s0, s0, 0x5f7ffffc
	s_delay_alu instid0(SALU_CYCLE_3) | instskip(NEXT) | instid1(SALU_CYCLE_3)
	s_mul_f32 s2, s0, 0x2f800000
	s_trunc_f32 s2, s2
	s_delay_alu instid0(SALU_CYCLE_3) | instskip(SKIP_1) | instid1(SALU_CYCLE_2)
	s_fmamk_f32 s0, s2, 0xcf800000, s0
	s_cvt_u32_f32 s35, s2
	s_cvt_u32_f32 s34, s0
	s_delay_alu instid0(SALU_CYCLE_3) | instskip(NEXT) | instid1(SALU_CYCLE_1)
	s_mul_u64 s[38:39], s[36:37], s[34:35]
	s_mul_hi_u32 s41, s34, s39
	s_mul_i32 s40, s34, s39
	s_mul_hi_u32 s2, s34, s38
	s_mul_i32 s25, s35, s38
	s_add_nc_u64 s[40:41], s[2:3], s[40:41]
	s_mul_hi_u32 s0, s35, s38
	s_mul_hi_u32 s31, s35, s39
	s_add_co_u32 s2, s40, s25
	s_add_co_ci_u32 s2, s41, s0
	s_mul_i32 s38, s35, s39
	s_add_co_ci_u32 s39, s31, 0
	s_delay_alu instid0(SALU_CYCLE_1) | instskip(NEXT) | instid1(SALU_CYCLE_1)
	s_add_nc_u64 s[38:39], s[2:3], s[38:39]
	s_add_co_u32 s34, s34, s38
	s_cselect_b32 s0, -1, 0
	s_delay_alu instid0(SALU_CYCLE_1) | instskip(SKIP_1) | instid1(SALU_CYCLE_1)
	s_cmp_lg_u32 s0, 0
	s_add_co_ci_u32 s35, s35, s39
	s_mul_u64 s[36:37], s[36:37], s[34:35]
	s_delay_alu instid0(SALU_CYCLE_1)
	s_mul_hi_u32 s39, s34, s37
	s_mul_i32 s38, s34, s37
	s_mul_hi_u32 s2, s34, s36
	s_mul_i32 s25, s35, s36
	s_add_nc_u64 s[38:39], s[2:3], s[38:39]
	s_mul_hi_u32 s0, s35, s36
	s_mul_hi_u32 s31, s35, s37
	s_add_co_u32 s2, s38, s25
	s_add_co_ci_u32 s2, s39, s0
	s_mul_i32 s36, s35, s37
	s_add_co_ci_u32 s37, s31, 0
	s_delay_alu instid0(SALU_CYCLE_1) | instskip(NEXT) | instid1(SALU_CYCLE_1)
	s_add_nc_u64 s[36:37], s[2:3], s[36:37]
	s_add_co_u32 s0, s34, s36
	s_cselect_b32 s2, -1, 0
	v_mul_hi_u32 v20, v10, s0
	s_cmp_lg_u32 s2, 0
	s_add_co_ci_u32 s2, s35, s37
	s_and_b64 s[34:35], s[0:1], s[18:19]
	v_mul_u64_e32 v[14:15], s[2:3], v[10:11]
	v_mul_u64_e32 v[8:9], s[34:35], v[16:17]
	;; [unrolled: 1-line block ×3, first 2 shown]
	s_delay_alu instid0(VALU_DEP_3) | instskip(NEXT) | instid1(VALU_DEP_1)
	v_add_nc_u64_e32 v[14:15], v[20:21], v[14:15]
	v_add_co_u32 v3, vcc_lo, v14, v8
	s_delay_alu instid0(VALU_DEP_2) | instskip(NEXT) | instid1(VALU_DEP_4)
	v_add_co_ci_u32_e32 v20, vcc_lo, v15, v9, vcc_lo
	v_add_co_ci_u32_e32 v19, vcc_lo, 0, v19, vcc_lo
	s_delay_alu instid0(VALU_DEP_1) | instskip(NEXT) | instid1(VALU_DEP_1)
	v_add_nc_u64_e32 v[8:9], v[20:21], v[18:19]
	v_mul_u64_e32 v[14:15], s[28:29], v[8:9]
	s_delay_alu instid0(VALU_DEP_1) | instskip(NEXT) | instid1(VALU_DEP_2)
	v_sub_nc_u32_e32 v3, v16, v15
	v_sub_co_u32 v7, vcc_lo, v10, v14
	s_delay_alu instid0(VALU_DEP_1) | instskip(NEXT) | instid1(VALU_DEP_3)
	v_sub_co_ci_u32_e64 v13, null, v16, v15, vcc_lo
	v_subrev_co_ci_u32_e64 v3, null, s29, v3, vcc_lo
	s_delay_alu instid0(VALU_DEP_3) | instskip(SKIP_1) | instid1(VALU_DEP_3)
	v_sub_co_u32 v10, s0, v7, s28
	v_add_nc_u64_e32 v[14:15], 1, v[8:9]
	v_subrev_co_ci_u32_e64 v3, null, 0, v3, s0
	s_delay_alu instid0(VALU_DEP_3) | instskip(SKIP_1) | instid1(VALU_DEP_3)
	v_cmp_le_u32_e32 vcc_lo, s28, v10
	v_cndmask_b32_e64 v10, 0, -1, vcc_lo
	v_cmp_le_u32_e32 vcc_lo, s29, v3
	v_cndmask_b32_e64 v11, 0, -1, vcc_lo
	;; [unrolled: 2-line block ×4, first 2 shown]
	v_cmp_eq_u32_e32 vcc_lo, s29, v3
	v_cndmask_b32_e32 v3, v11, v10, vcc_lo
	v_cmp_eq_u32_e32 vcc_lo, s29, v13
	v_add_nc_u64_e32 v[10:11], 2, v[8:9]
	v_cndmask_b32_e32 v7, v16, v7, vcc_lo
	s_delay_alu instid0(VALU_DEP_4) | instskip(NEXT) | instid1(VALU_DEP_2)
	v_cmp_ne_u32_e32 vcc_lo, 0, v3
	v_cmp_ne_u32_e64 s0, 0, v7
	s_delay_alu instid0(VALU_DEP_4) | instskip(NEXT) | instid1(VALU_DEP_1)
	v_dual_cndmask_b32 v3, v15, v11, vcc_lo :: v_dual_cndmask_b32 v7, v14, v10, vcc_lo
	v_dual_cndmask_b32 v3, v9, v3, s0 :: v_dual_bitop2_b32 v6, s24, v6 bitop3:0x14
	s_delay_alu instid0(VALU_DEP_1) | instskip(NEXT) | instid1(VALU_DEP_2)
	v_dual_cndmask_b32 v8, v8, v7, s0 :: v_dual_mov_b32 v7, v6
	v_xor_b32_e32 v9, v3, v6
	s_delay_alu instid0(VALU_DEP_2) | instskip(NEXT) | instid1(VALU_DEP_1)
	v_xor_b32_e32 v8, v8, v6
	v_sub_nc_u64_e32 v[6:7], v[8:9], v[6:7]
	s_and_not1_saveexec_b32 s0, s27
	s_cbranch_execz .LBB34_6
.LBB34_8:                               ;   in Loop: Header=BB34_4 Depth=1
	v_mul_hi_u32 v3, v0, v12
	s_delay_alu instid0(VALU_DEP_1) | instskip(NEXT) | instid1(VALU_DEP_1)
	v_mul_lo_u32 v6, v3, s12
	v_dual_add_nc_u32 v7, 1, v3 :: v_dual_sub_nc_u32 v6, v0, v6
	s_delay_alu instid0(VALU_DEP_1) | instskip(SKIP_1) | instid1(VALU_DEP_2)
	v_subrev_nc_u32_e32 v8, s12, v6
	v_cmp_le_u32_e32 vcc_lo, s12, v6
	v_dual_cndmask_b32 v6, v6, v8 :: v_dual_cndmask_b32 v3, v3, v7
	s_delay_alu instid0(VALU_DEP_1) | instskip(NEXT) | instid1(VALU_DEP_2)
	v_cmp_le_u32_e32 vcc_lo, s12, v6
	v_add_nc_u32_e32 v7, 1, v3
	s_delay_alu instid0(VALU_DEP_1)
	v_dual_cndmask_b32 v6, v3, v7 :: v_dual_mov_b32 v7, v2
	s_or_b32 exec_lo, exec_lo, s0
	v_mov_b64_e32 v[8:9], 0
	s_and_not1_b32 vcc_lo, exec_lo, s1
	s_cbranch_vccnz .LBB34_3
.LBB34_9:                               ;   in Loop: Header=BB34_4 Depth=1
	v_add_nc_u64_e32 v[8:9], s[10:11], v[0:1]
                                        ; implicit-def: $vgpr10_vgpr11
	s_mov_b32 s0, exec_lo
	s_delay_alu instid0(VALU_DEP_1) | instskip(NEXT) | instid1(VALU_DEP_1)
	v_mad_nc_u64_u32 v[8:9], s16, v6, v[8:9]
	v_mad_u32 v3, s17, v6, v9
	s_delay_alu instid0(VALU_DEP_1) | instskip(NEXT) | instid1(VALU_DEP_1)
	v_mad_u32 v9, s16, v7, v3
	v_or_b32_e32 v3, s21, v9
	s_delay_alu instid0(VALU_DEP_1)
	v_cmpx_ne_u64_e32 0, v[2:3]
	s_xor_b32 s25, exec_lo, s0
	s_cbranch_execz .LBB34_11
; %bb.10:                               ;   in Loop: Header=BB34_4 Depth=1
	s_mov_b32 s27, s26
	v_dual_mov_b32 v15, v2 :: v_dual_ashrrev_i32 v10, 31, v9
	s_add_nc_u64 s[28:29], s[20:21], s[26:27]
	v_mov_b32_e32 v23, v2
	s_xor_b64 s[28:29], s[28:29], s[26:27]
	s_delay_alu instid0(VALU_DEP_2) | instskip(SKIP_3) | instid1(VALU_DEP_1)
	v_mov_b32_e32 v11, v10
	s_cvt_f32_u32 s0, s28
	s_cvt_f32_u32 s2, s29
	s_sub_nc_u64 s[36:37], 0, s[28:29]
	v_add_nc_u64_e32 v[8:9], v[8:9], v[10:11]
	s_delay_alu instid0(SALU_CYCLE_1) | instskip(SKIP_1) | instid1(SALU_CYCLE_2)
	s_fmamk_f32 s0, s2, 0x4f800000, s0
	v_mov_b32_e32 v19, v2
	v_s_rcp_f32 s0, s0
	s_delay_alu instid0(VALU_DEP_2) | instskip(NEXT) | instid1(VALU_DEP_3)
	v_xor_b32_e32 v14, v8, v10
	v_xor_b32_e32 v18, v9, v10
	s_delay_alu instid0(TRANS32_DEP_1) | instskip(NEXT) | instid1(SALU_CYCLE_3)
	s_mul_f32 s0, s0, 0x5f7ffffc
	s_mul_f32 s2, s0, 0x2f800000
	s_delay_alu instid0(SALU_CYCLE_3) | instskip(NEXT) | instid1(SALU_CYCLE_3)
	s_trunc_f32 s2, s2
	s_fmamk_f32 s0, s2, 0xcf800000, s0
	s_cvt_u32_f32 s35, s2
	s_delay_alu instid0(SALU_CYCLE_2) | instskip(NEXT) | instid1(SALU_CYCLE_3)
	s_cvt_u32_f32 s34, s0
	s_mul_u64 s[38:39], s[36:37], s[34:35]
	s_delay_alu instid0(SALU_CYCLE_1)
	s_mul_hi_u32 s41, s34, s39
	s_mul_i32 s40, s34, s39
	s_mul_hi_u32 s2, s34, s38
	s_mul_i32 s27, s35, s38
	s_add_nc_u64 s[40:41], s[2:3], s[40:41]
	s_mul_hi_u32 s0, s35, s38
	s_mul_hi_u32 s31, s35, s39
	s_add_co_u32 s2, s40, s27
	s_add_co_ci_u32 s2, s41, s0
	s_mul_i32 s38, s35, s39
	s_add_co_ci_u32 s39, s31, 0
	s_delay_alu instid0(SALU_CYCLE_1) | instskip(NEXT) | instid1(SALU_CYCLE_1)
	s_add_nc_u64 s[38:39], s[2:3], s[38:39]
	s_add_co_u32 s34, s34, s38
	s_cselect_b32 s0, -1, 0
	s_delay_alu instid0(SALU_CYCLE_1) | instskip(SKIP_1) | instid1(SALU_CYCLE_1)
	s_cmp_lg_u32 s0, 0
	s_add_co_ci_u32 s35, s35, s39
	s_mul_u64 s[36:37], s[36:37], s[34:35]
	s_delay_alu instid0(SALU_CYCLE_1)
	s_mul_hi_u32 s39, s34, s37
	s_mul_i32 s38, s34, s37
	s_mul_hi_u32 s2, s34, s36
	s_mul_i32 s27, s35, s36
	s_add_nc_u64 s[38:39], s[2:3], s[38:39]
	s_mul_hi_u32 s0, s35, s36
	s_mul_hi_u32 s31, s35, s37
	s_add_co_u32 s2, s38, s27
	s_add_co_ci_u32 s2, s39, s0
	s_mul_i32 s36, s35, s37
	s_add_co_ci_u32 s37, s31, 0
	s_delay_alu instid0(SALU_CYCLE_1) | instskip(NEXT) | instid1(SALU_CYCLE_1)
	s_add_nc_u64 s[36:37], s[2:3], s[36:37]
	s_add_co_u32 s0, s34, s36
	s_cselect_b32 s2, -1, 0
	v_mul_hi_u32 v22, v14, s0
	s_cmp_lg_u32 s2, 0
	s_add_co_ci_u32 s2, s35, s37
	s_and_b64 s[34:35], s[0:1], s[18:19]
	v_mul_u64_e32 v[16:17], s[2:3], v[14:15]
	v_mul_u64_e32 v[8:9], s[34:35], v[18:19]
	;; [unrolled: 1-line block ×3, first 2 shown]
	s_delay_alu instid0(VALU_DEP_3) | instskip(NEXT) | instid1(VALU_DEP_1)
	v_add_nc_u64_e32 v[16:17], v[22:23], v[16:17]
	v_add_co_u32 v3, vcc_lo, v16, v8
	s_delay_alu instid0(VALU_DEP_2) | instskip(NEXT) | instid1(VALU_DEP_4)
	v_add_co_ci_u32_e32 v22, vcc_lo, v17, v9, vcc_lo
	v_add_co_ci_u32_e32 v21, vcc_lo, 0, v21, vcc_lo
	s_delay_alu instid0(VALU_DEP_1) | instskip(NEXT) | instid1(VALU_DEP_1)
	v_add_nc_u64_e32 v[8:9], v[22:23], v[20:21]
	v_mul_u64_e32 v[8:9], s[28:29], v[8:9]
	s_delay_alu instid0(VALU_DEP_1) | instskip(NEXT) | instid1(VALU_DEP_1)
	v_sub_co_u32 v8, vcc_lo, v14, v8
	v_cmp_le_u32_e64 s0, s28, v8
	s_delay_alu instid0(VALU_DEP_1) | instskip(NEXT) | instid1(VALU_DEP_4)
	v_cndmask_b32_e64 v15, 0, -1, s0
	v_sub_nc_u32_e32 v3, v18, v9
	v_sub_co_ci_u32_e64 v9, null, v18, v9, vcc_lo
	s_delay_alu instid0(VALU_DEP_2) | instskip(SKIP_1) | instid1(VALU_DEP_1)
	v_subrev_co_ci_u32_e64 v3, null, s29, v3, vcc_lo
	v_sub_co_u32 v13, vcc_lo, v8, s28
	v_subrev_co_ci_u32_e64 v14, null, 0, v3, vcc_lo
	s_delay_alu instid0(VALU_DEP_2) | instskip(SKIP_2) | instid1(VALU_DEP_3)
	v_cmp_le_u32_e64 s0, s28, v13
	v_subrev_co_ci_u32_e64 v3, null, s29, v3, vcc_lo
	v_cmp_le_u32_e32 vcc_lo, s29, v9
	v_cndmask_b32_e64 v16, 0, -1, s0
	v_cmp_le_u32_e64 s0, s29, v14
	v_cndmask_b32_e64 v18, 0, -1, vcc_lo
	v_cmp_eq_u32_e32 vcc_lo, s29, v14
	s_delay_alu instid0(VALU_DEP_3) | instskip(SKIP_1) | instid1(VALU_DEP_2)
	v_cndmask_b32_e64 v17, 0, -1, s0
	v_cmp_eq_u32_e64 s0, s29, v9
	v_cndmask_b32_e32 v16, v17, v16, vcc_lo
	v_sub_co_u32 v17, vcc_lo, v13, s28
	s_delay_alu instid0(VALU_DEP_1) | instskip(NEXT) | instid1(VALU_DEP_3)
	v_subrev_co_ci_u32_e64 v3, null, 0, v3, vcc_lo
	v_cmp_ne_u32_e32 vcc_lo, 0, v16
	v_cndmask_b32_e64 v15, v18, v15, s0
	s_delay_alu instid0(VALU_DEP_3) | instskip(NEXT) | instid1(VALU_DEP_2)
	v_dual_cndmask_b32 v3, v14, v3, vcc_lo :: v_dual_cndmask_b32 v13, v13, v17, vcc_lo
	v_cmp_ne_u32_e32 vcc_lo, 0, v15
	s_delay_alu instid0(VALU_DEP_2) | instskip(NEXT) | instid1(VALU_DEP_1)
	v_dual_cndmask_b32 v3, v9, v3 :: v_dual_cndmask_b32 v8, v8, v13
	v_xor_b32_e32 v9, v3, v10
	s_delay_alu instid0(VALU_DEP_2) | instskip(NEXT) | instid1(VALU_DEP_1)
	v_xor_b32_e32 v8, v8, v10
	v_sub_nc_u64_e32 v[10:11], v[8:9], v[10:11]
                                        ; implicit-def: $vgpr8_vgpr9
.LBB34_11:                              ;   in Loop: Header=BB34_4 Depth=1
	s_and_not1_saveexec_b32 s0, s25
	s_cbranch_execz .LBB34_2
; %bb.12:                               ;   in Loop: Header=BB34_4 Depth=1
	v_cvt_f32_u32_e32 v3, s20
	s_sub_co_i32 s2, 0, s20
	v_mov_b32_e32 v11, v2
	s_delay_alu instid0(VALU_DEP_2) | instskip(SKIP_1) | instid1(TRANS32_DEP_1)
	v_rcp_iflag_f32_e32 v3, v3
	v_nop
	v_mul_f32_e32 v3, 0x4f7ffffe, v3
	s_delay_alu instid0(VALU_DEP_1) | instskip(NEXT) | instid1(VALU_DEP_1)
	v_cvt_u32_f32_e32 v3, v3
	v_mul_lo_u32 v9, s2, v3
	s_delay_alu instid0(VALU_DEP_1) | instskip(NEXT) | instid1(VALU_DEP_1)
	v_mul_hi_u32 v9, v3, v9
	v_add_nc_u32_e32 v3, v3, v9
	s_delay_alu instid0(VALU_DEP_1) | instskip(NEXT) | instid1(VALU_DEP_1)
	v_mul_hi_u32 v3, v8, v3
	v_mul_lo_u32 v3, v3, s20
	s_delay_alu instid0(VALU_DEP_1) | instskip(NEXT) | instid1(VALU_DEP_1)
	v_sub_nc_u32_e32 v3, v8, v3
	v_subrev_nc_u32_e32 v8, s20, v3
	v_cmp_le_u32_e32 vcc_lo, s20, v3
	s_delay_alu instid0(VALU_DEP_2) | instskip(NEXT) | instid1(VALU_DEP_1)
	v_cndmask_b32_e32 v3, v3, v8, vcc_lo
	v_subrev_nc_u32_e32 v8, s20, v3
	v_cmp_le_u32_e32 vcc_lo, s20, v3
	s_delay_alu instid0(VALU_DEP_2)
	v_cndmask_b32_e32 v10, v3, v8, vcc_lo
	s_branch .LBB34_2
.LBB34_13:
	s_endpgm
	.section	.rodata,"a",@progbits
	.p2align	6, 0x0
	.amdhsa_kernel _ZN2at6native12_GLOBAL__N_121reflection_pad1d_flatIdEEvPKT_PS3_lllll
		.amdhsa_group_segment_fixed_size 0
		.amdhsa_private_segment_fixed_size 0
		.amdhsa_kernarg_size 312
		.amdhsa_user_sgpr_count 2
		.amdhsa_user_sgpr_dispatch_ptr 0
		.amdhsa_user_sgpr_queue_ptr 0
		.amdhsa_user_sgpr_kernarg_segment_ptr 1
		.amdhsa_user_sgpr_dispatch_id 0
		.amdhsa_user_sgpr_kernarg_preload_length 0
		.amdhsa_user_sgpr_kernarg_preload_offset 0
		.amdhsa_user_sgpr_private_segment_size 0
		.amdhsa_wavefront_size32 1
		.amdhsa_uses_dynamic_stack 0
		.amdhsa_enable_private_segment 0
		.amdhsa_system_sgpr_workgroup_id_x 1
		.amdhsa_system_sgpr_workgroup_id_y 0
		.amdhsa_system_sgpr_workgroup_id_z 0
		.amdhsa_system_sgpr_workgroup_info 0
		.amdhsa_system_vgpr_workitem_id 0
		.amdhsa_next_free_vgpr 24
		.amdhsa_next_free_sgpr 42
		.amdhsa_named_barrier_count 0
		.amdhsa_reserve_vcc 1
		.amdhsa_float_round_mode_32 0
		.amdhsa_float_round_mode_16_64 0
		.amdhsa_float_denorm_mode_32 3
		.amdhsa_float_denorm_mode_16_64 3
		.amdhsa_fp16_overflow 0
		.amdhsa_memory_ordered 1
		.amdhsa_forward_progress 1
		.amdhsa_inst_pref_size 15
		.amdhsa_round_robin_scheduling 0
		.amdhsa_exception_fp_ieee_invalid_op 0
		.amdhsa_exception_fp_denorm_src 0
		.amdhsa_exception_fp_ieee_div_zero 0
		.amdhsa_exception_fp_ieee_overflow 0
		.amdhsa_exception_fp_ieee_underflow 0
		.amdhsa_exception_fp_ieee_inexact 0
		.amdhsa_exception_int_div_zero 0
	.end_amdhsa_kernel
	.section	.text._ZN2at6native12_GLOBAL__N_121reflection_pad1d_flatIdEEvPKT_PS3_lllll,"axG",@progbits,_ZN2at6native12_GLOBAL__N_121reflection_pad1d_flatIdEEvPKT_PS3_lllll,comdat
.Lfunc_end34:
	.size	_ZN2at6native12_GLOBAL__N_121reflection_pad1d_flatIdEEvPKT_PS3_lllll, .Lfunc_end34-_ZN2at6native12_GLOBAL__N_121reflection_pad1d_flatIdEEvPKT_PS3_lllll
                                        ; -- End function
	.set _ZN2at6native12_GLOBAL__N_121reflection_pad1d_flatIdEEvPKT_PS3_lllll.num_vgpr, 24
	.set _ZN2at6native12_GLOBAL__N_121reflection_pad1d_flatIdEEvPKT_PS3_lllll.num_agpr, 0
	.set _ZN2at6native12_GLOBAL__N_121reflection_pad1d_flatIdEEvPKT_PS3_lllll.numbered_sgpr, 42
	.set _ZN2at6native12_GLOBAL__N_121reflection_pad1d_flatIdEEvPKT_PS3_lllll.num_named_barrier, 0
	.set _ZN2at6native12_GLOBAL__N_121reflection_pad1d_flatIdEEvPKT_PS3_lllll.private_seg_size, 0
	.set _ZN2at6native12_GLOBAL__N_121reflection_pad1d_flatIdEEvPKT_PS3_lllll.uses_vcc, 1
	.set _ZN2at6native12_GLOBAL__N_121reflection_pad1d_flatIdEEvPKT_PS3_lllll.uses_flat_scratch, 0
	.set _ZN2at6native12_GLOBAL__N_121reflection_pad1d_flatIdEEvPKT_PS3_lllll.has_dyn_sized_stack, 0
	.set _ZN2at6native12_GLOBAL__N_121reflection_pad1d_flatIdEEvPKT_PS3_lllll.has_recursion, 0
	.set _ZN2at6native12_GLOBAL__N_121reflection_pad1d_flatIdEEvPKT_PS3_lllll.has_indirect_call, 0
	.section	.AMDGPU.csdata,"",@progbits
; Kernel info:
; codeLenInByte = 1896
; TotalNumSgprs: 44
; NumVgprs: 24
; ScratchSize: 0
; MemoryBound: 0
; FloatMode: 240
; IeeeMode: 1
; LDSByteSize: 0 bytes/workgroup (compile time only)
; SGPRBlocks: 0
; VGPRBlocks: 1
; NumSGPRsForWavesPerEU: 44
; NumVGPRsForWavesPerEU: 24
; NamedBarCnt: 0
; Occupancy: 16
; WaveLimiterHint : 0
; COMPUTE_PGM_RSRC2:SCRATCH_EN: 0
; COMPUTE_PGM_RSRC2:USER_SGPR: 2
; COMPUTE_PGM_RSRC2:TRAP_HANDLER: 0
; COMPUTE_PGM_RSRC2:TGID_X_EN: 1
; COMPUTE_PGM_RSRC2:TGID_Y_EN: 0
; COMPUTE_PGM_RSRC2:TGID_Z_EN: 0
; COMPUTE_PGM_RSRC2:TIDIG_COMP_CNT: 0
	.section	.text._ZN2at6native12_GLOBAL__N_127reflection_pad1d_out_kernelIfEEvPKT_PS3_lll,"axG",@progbits,_ZN2at6native12_GLOBAL__N_127reflection_pad1d_out_kernelIfEEvPKT_PS3_lll,comdat
	.globl	_ZN2at6native12_GLOBAL__N_127reflection_pad1d_out_kernelIfEEvPKT_PS3_lll ; -- Begin function _ZN2at6native12_GLOBAL__N_127reflection_pad1d_out_kernelIfEEvPKT_PS3_lll
	.p2align	8
	.type	_ZN2at6native12_GLOBAL__N_127reflection_pad1d_out_kernelIfEEvPKT_PS3_lll,@function
_ZN2at6native12_GLOBAL__N_127reflection_pad1d_out_kernelIfEEvPKT_PS3_lll: ; @_ZN2at6native12_GLOBAL__N_127reflection_pad1d_out_kernelIfEEvPKT_PS3_lll
; %bb.0:
	s_clause 0x2
	s_load_b32 s13, s[0:1], 0x34
	s_load_b64 s[2:3], s[0:1], 0x20
	s_load_b256 s[4:11], s[0:1], 0x0
	s_bfe_u32 s12, ttmp6, 0x4000c
	s_and_b32 s14, ttmp6, 15
	s_add_co_i32 s15, s12, 1
	s_getreg_b32 s12, hwreg(HW_REG_IB_STS2, 6, 4)
	s_mul_i32 s15, ttmp9, s15
	v_mov_b32_e32 v1, 0
	s_add_co_i32 s14, s14, s15
	s_mov_b32 s16, exec_lo
	s_wait_kmcnt 0x0
	s_and_b32 s13, s13, 0xffff
	s_cmp_eq_u32 s12, 0
	s_cselect_b32 s14, ttmp9, s14
	s_delay_alu instid0(SALU_CYCLE_1)
	v_mad_nc_u64_u32 v[0:1], s13, s14, v[0:1]
	s_add_nc_u64 s[14:15], s[10:11], s[8:9]
	s_mov_b32 s13, 0
	s_add_nc_u64 s[2:3], s[14:15], s[2:3]
	s_delay_alu instid0(VALU_DEP_1) | instid1(SALU_CYCLE_1)
	v_cmpx_gt_i64_e64 s[2:3], v[0:1]
	s_cbranch_execz .LBB35_2
; %bb.1:
	v_sub_nc_u64_e64 v[2:3], v[0:1], s[14:15]
	v_max_i64 v[4:5], s[10:11], 0
	s_sub_nc_u64 s[16:17], 0, s[10:11]
	v_sub_nc_u64_e64 v[8:9], v[0:1], s[10:11]
	s_add_nc_u64 s[10:11], s[14:15], s[10:11]
	s_add_nc_u64 s[0:1], s[0:1], 40
	s_lshr_b32 s14, ttmp7, 16
	v_add_nc_u64_e32 v[6:7], 1, v[2:3]
	v_not_b32_e32 v3, v3
	v_not_b32_e32 v2, v2
	v_sub_nc_u64_e32 v[10:11], 0, v[8:9]
	s_load_b32 s0, s[0:1], 0x4
	s_wait_xcnt 0x0
	s_bfe_u32 s1, ttmp6, 0x40010
	s_bfe_u32 s15, ttmp6, 0x40004
	v_max_i64 v[2:3], v[6:7], v[2:3]
	v_max_i64 v[6:7], s[16:17], 0
	s_add_co_i32 s1, s1, 1
	v_max_i64 v[8:9], v[8:9], v[10:11]
	s_bfe_u32 s16, ttmp6, 0x40008
	v_not_b32_e32 v4, v4
	v_not_b32_e32 v5, v5
	s_delay_alu instid0(VALU_DEP_1)
	v_add_nc_u64_e32 v[4:5], s[10:11], v[4:5]
	s_bfe_u32 s11, ttmp6, 0x40014
	s_and_b32 s10, ttmp7, 0xffff
	s_add_co_i32 s11, s11, 1
	s_mul_i32 s1, s10, s1
	s_mul_i32 s11, s14, s11
	s_add_co_i32 s15, s15, s1
	v_add_nc_u64_e32 v[2:3], v[0:1], v[2:3]
	v_add_nc_u64_e32 v[4:5], v[4:5], v[6:7]
	s_add_co_i32 s16, s16, s11
	s_cmp_eq_u32 s12, 0
	s_cselect_b32 s1, s14, s16
	s_wait_kmcnt 0x0
	s_mul_i32 s0, s0, s1
	s_delay_alu instid0(VALU_DEP_1) | instskip(SKIP_1) | instid1(SALU_CYCLE_1)
	v_sub_nc_u64_e32 v[2:3], v[4:5], v[2:3]
	s_cselect_b32 s1, s10, s15
	s_add_co_i32 s12, s0, s1
	s_delay_alu instid0(SALU_CYCLE_1) | instskip(NEXT) | instid1(VALU_DEP_1)
	s_mul_u64 s[0:1], s[8:9], s[12:13]
	v_lshl_add_u64 v[2:3], v[2:3], 2, s[4:5]
	s_delay_alu instid0(VALU_DEP_1) | instskip(NEXT) | instid1(VALU_DEP_1)
	v_lshl_add_u64 v[2:3], v[8:9], 2, v[2:3]
	v_lshl_add_u64 v[2:3], s[0:1], 2, v[2:3]
	s_mul_u64 s[0:1], s[2:3], s[12:13]
	s_delay_alu instid0(SALU_CYCLE_1) | instskip(SKIP_2) | instid1(SALU_CYCLE_1)
	s_lshl_b64 s[0:1], s[0:1], 2
	global_load_b32 v2, v[2:3], off
	s_add_nc_u64 s[0:1], s[6:7], s[0:1]
	v_lshl_add_u64 v[0:1], v[0:1], 2, s[0:1]
	s_wait_loadcnt 0x0
	global_store_b32 v[0:1], v2, off
.LBB35_2:
	s_endpgm
	.section	.rodata,"a",@progbits
	.p2align	6, 0x0
	.amdhsa_kernel _ZN2at6native12_GLOBAL__N_127reflection_pad1d_out_kernelIfEEvPKT_PS3_lll
		.amdhsa_group_segment_fixed_size 0
		.amdhsa_private_segment_fixed_size 0
		.amdhsa_kernarg_size 296
		.amdhsa_user_sgpr_count 2
		.amdhsa_user_sgpr_dispatch_ptr 0
		.amdhsa_user_sgpr_queue_ptr 0
		.amdhsa_user_sgpr_kernarg_segment_ptr 1
		.amdhsa_user_sgpr_dispatch_id 0
		.amdhsa_user_sgpr_kernarg_preload_length 0
		.amdhsa_user_sgpr_kernarg_preload_offset 0
		.amdhsa_user_sgpr_private_segment_size 0
		.amdhsa_wavefront_size32 1
		.amdhsa_uses_dynamic_stack 0
		.amdhsa_enable_private_segment 0
		.amdhsa_system_sgpr_workgroup_id_x 1
		.amdhsa_system_sgpr_workgroup_id_y 1
		.amdhsa_system_sgpr_workgroup_id_z 1
		.amdhsa_system_sgpr_workgroup_info 0
		.amdhsa_system_vgpr_workitem_id 0
		.amdhsa_next_free_vgpr 12
		.amdhsa_next_free_sgpr 18
		.amdhsa_named_barrier_count 0
		.amdhsa_reserve_vcc 0
		.amdhsa_float_round_mode_32 0
		.amdhsa_float_round_mode_16_64 0
		.amdhsa_float_denorm_mode_32 3
		.amdhsa_float_denorm_mode_16_64 3
		.amdhsa_fp16_overflow 0
		.amdhsa_memory_ordered 1
		.amdhsa_forward_progress 1
		.amdhsa_inst_pref_size 4
		.amdhsa_round_robin_scheduling 0
		.amdhsa_exception_fp_ieee_invalid_op 0
		.amdhsa_exception_fp_denorm_src 0
		.amdhsa_exception_fp_ieee_div_zero 0
		.amdhsa_exception_fp_ieee_overflow 0
		.amdhsa_exception_fp_ieee_underflow 0
		.amdhsa_exception_fp_ieee_inexact 0
		.amdhsa_exception_int_div_zero 0
	.end_amdhsa_kernel
	.section	.text._ZN2at6native12_GLOBAL__N_127reflection_pad1d_out_kernelIfEEvPKT_PS3_lll,"axG",@progbits,_ZN2at6native12_GLOBAL__N_127reflection_pad1d_out_kernelIfEEvPKT_PS3_lll,comdat
.Lfunc_end35:
	.size	_ZN2at6native12_GLOBAL__N_127reflection_pad1d_out_kernelIfEEvPKT_PS3_lll, .Lfunc_end35-_ZN2at6native12_GLOBAL__N_127reflection_pad1d_out_kernelIfEEvPKT_PS3_lll
                                        ; -- End function
	.set _ZN2at6native12_GLOBAL__N_127reflection_pad1d_out_kernelIfEEvPKT_PS3_lll.num_vgpr, 12
	.set _ZN2at6native12_GLOBAL__N_127reflection_pad1d_out_kernelIfEEvPKT_PS3_lll.num_agpr, 0
	.set _ZN2at6native12_GLOBAL__N_127reflection_pad1d_out_kernelIfEEvPKT_PS3_lll.numbered_sgpr, 18
	.set _ZN2at6native12_GLOBAL__N_127reflection_pad1d_out_kernelIfEEvPKT_PS3_lll.num_named_barrier, 0
	.set _ZN2at6native12_GLOBAL__N_127reflection_pad1d_out_kernelIfEEvPKT_PS3_lll.private_seg_size, 0
	.set _ZN2at6native12_GLOBAL__N_127reflection_pad1d_out_kernelIfEEvPKT_PS3_lll.uses_vcc, 0
	.set _ZN2at6native12_GLOBAL__N_127reflection_pad1d_out_kernelIfEEvPKT_PS3_lll.uses_flat_scratch, 0
	.set _ZN2at6native12_GLOBAL__N_127reflection_pad1d_out_kernelIfEEvPKT_PS3_lll.has_dyn_sized_stack, 0
	.set _ZN2at6native12_GLOBAL__N_127reflection_pad1d_out_kernelIfEEvPKT_PS3_lll.has_recursion, 0
	.set _ZN2at6native12_GLOBAL__N_127reflection_pad1d_out_kernelIfEEvPKT_PS3_lll.has_indirect_call, 0
	.section	.AMDGPU.csdata,"",@progbits
; Kernel info:
; codeLenInByte = 428
; TotalNumSgprs: 18
; NumVgprs: 12
; ScratchSize: 0
; MemoryBound: 0
; FloatMode: 240
; IeeeMode: 1
; LDSByteSize: 0 bytes/workgroup (compile time only)
; SGPRBlocks: 0
; VGPRBlocks: 0
; NumSGPRsForWavesPerEU: 18
; NumVGPRsForWavesPerEU: 12
; NamedBarCnt: 0
; Occupancy: 16
; WaveLimiterHint : 0
; COMPUTE_PGM_RSRC2:SCRATCH_EN: 0
; COMPUTE_PGM_RSRC2:USER_SGPR: 2
; COMPUTE_PGM_RSRC2:TRAP_HANDLER: 0
; COMPUTE_PGM_RSRC2:TGID_X_EN: 1
; COMPUTE_PGM_RSRC2:TGID_Y_EN: 1
; COMPUTE_PGM_RSRC2:TGID_Z_EN: 1
; COMPUTE_PGM_RSRC2:TIDIG_COMP_CNT: 0
	.section	.text._ZN2at6native12_GLOBAL__N_121reflection_pad1d_flatIfEEvPKT_PS3_lllll,"axG",@progbits,_ZN2at6native12_GLOBAL__N_121reflection_pad1d_flatIfEEvPKT_PS3_lllll,comdat
	.globl	_ZN2at6native12_GLOBAL__N_121reflection_pad1d_flatIfEEvPKT_PS3_lllll ; -- Begin function _ZN2at6native12_GLOBAL__N_121reflection_pad1d_flatIfEEvPKT_PS3_lllll
	.p2align	8
	.type	_ZN2at6native12_GLOBAL__N_121reflection_pad1d_flatIfEEvPKT_PS3_lllll,@function
_ZN2at6native12_GLOBAL__N_121reflection_pad1d_flatIfEEvPKT_PS3_lllll: ; @_ZN2at6native12_GLOBAL__N_121reflection_pad1d_flatIfEEvPKT_PS3_lllll
; %bb.0:
	s_clause 0x1
	s_load_b32 s2, s[0:1], 0x44
	s_load_b128 s[12:15], s[0:1], 0x28
	s_bfe_u32 s4, ttmp6, 0x4000c
	s_and_b32 s5, ttmp6, 15
	s_add_co_i32 s4, s4, 1
	s_getreg_b32 s6, hwreg(HW_REG_IB_STS2, 6, 4)
	s_mul_i32 s4, ttmp9, s4
	s_mov_b32 s3, 0
	s_add_co_i32 s5, s5, s4
	v_mov_b32_e32 v1, 0
	s_wait_kmcnt 0x0
	s_and_b32 s2, s2, 0xffff
	s_cmp_eq_u32 s6, 0
	s_mul_u64 s[14:15], s[14:15], s[12:13]
	s_cselect_b32 s4, ttmp9, s5
	s_mov_b32 s5, s3
	s_mov_b32 s6, exec_lo
	s_mul_u64 s[18:19], s[2:3], s[4:5]
	s_delay_alu instid0(SALU_CYCLE_1) | instskip(NEXT) | instid1(VALU_DEP_1)
	v_add_nc_u64_e32 v[2:3], s[18:19], v[0:1]
	v_cmpx_gt_i64_e64 s[14:15], v[2:3]
	s_cbranch_execz .LBB36_44
; %bb.1:
	s_add_nc_u64 s[6:7], s[0:1], 56
	s_load_b32 s6, s[6:7], 0x0
	s_wait_xcnt 0x0
	s_mov_b32 s7, s3
	s_wait_kmcnt 0x0
	s_add_nc_u64 s[4:5], s[4:5], s[6:7]
	s_mul_u64 s[16:17], s[2:3], s[6:7]
	s_mul_u64 s[20:21], s[4:5], s[2:3]
	v_mov_b32_e32 v5, s3
	v_add_nc_u64_e32 v[6:7], s[20:21], v[0:1]
	s_delay_alu instid0(VALU_DEP_1) | instskip(SKIP_2) | instid1(VALU_DEP_1)
	v_max_i64 v[8:9], s[14:15], v[6:7]
	v_cmp_gt_i64_e32 vcc_lo, s[14:15], v[6:7]
	v_cndmask_b32_e64 v4, 0, 1, vcc_lo
	v_add_nc_u64_e32 v[6:7], v[6:7], v[4:5]
	s_delay_alu instid0(VALU_DEP_1) | instskip(NEXT) | instid1(VALU_DEP_1)
	v_sub_nc_u64_e32 v[6:7], v[8:9], v[6:7]
	v_dual_mov_b32 v8, v1 :: v_dual_bitop2_b32 v9, s17, v7 bitop3:0x54
	s_delay_alu instid0(VALU_DEP_1) | instskip(SKIP_1) | instid1(SALU_CYCLE_1)
	v_cmp_ne_u64_e32 vcc_lo, 0, v[8:9]
                                        ; implicit-def: $vgpr8_vgpr9
	s_and_saveexec_b32 s2, vcc_lo
	s_xor_b32 s3, exec_lo, s2
	s_cbranch_execz .LBB36_3
; %bb.2:
	s_cvt_f32_u32 s2, s16
	s_cvt_f32_u32 s4, s17
	s_sub_nc_u64 s[6:7], 0, s[16:17]
	s_mov_b32 s11, 0
	v_dual_mov_b32 v9, 0 :: v_dual_mov_b32 v8, v6
	s_fmamk_f32 s2, s4, 0x4f800000, s2
	s_delay_alu instid0(SALU_CYCLE_3) | instskip(NEXT) | instid1(TRANS32_DEP_1)
	v_s_rcp_f32 s2, s2
	s_mul_f32 s2, s2, 0x5f7ffffc
	s_delay_alu instid0(SALU_CYCLE_3) | instskip(NEXT) | instid1(SALU_CYCLE_3)
	s_mul_f32 s4, s2, 0x2f800000
	s_trunc_f32 s4, s4
	s_delay_alu instid0(SALU_CYCLE_3) | instskip(SKIP_1) | instid1(SALU_CYCLE_2)
	s_fmamk_f32 s2, s4, 0xcf800000, s2
	s_cvt_u32_f32 s5, s4
	s_cvt_u32_f32 s4, s2
	s_delay_alu instid0(SALU_CYCLE_3) | instskip(NEXT) | instid1(SALU_CYCLE_1)
	s_mul_u64 s[8:9], s[6:7], s[4:5]
	s_mul_hi_u32 s23, s4, s9
	s_mul_i32 s22, s4, s9
	s_mul_hi_u32 s10, s4, s8
	s_mul_i32 s24, s5, s8
	s_add_nc_u64 s[22:23], s[10:11], s[22:23]
	s_mul_hi_u32 s2, s5, s8
	s_mul_hi_u32 s25, s5, s9
	s_mul_i32 s8, s5, s9
	s_add_co_u32 s9, s22, s24
	s_add_co_ci_u32 s10, s23, s2
	s_add_co_ci_u32 s9, s25, 0
	s_delay_alu instid0(SALU_CYCLE_1) | instskip(NEXT) | instid1(SALU_CYCLE_1)
	s_add_nc_u64 s[8:9], s[10:11], s[8:9]
	s_add_co_u32 s4, s4, s8
	s_cselect_b32 s2, -1, 0
	s_delay_alu instid0(SALU_CYCLE_1) | instskip(SKIP_1) | instid1(SALU_CYCLE_1)
	s_cmp_lg_u32 s2, 0
	s_add_co_ci_u32 s5, s5, s9
	s_mul_u64 s[6:7], s[6:7], s[4:5]
	s_delay_alu instid0(SALU_CYCLE_1)
	s_mul_hi_u32 s9, s4, s7
	s_mul_i32 s8, s4, s7
	s_mul_hi_u32 s10, s4, s6
	s_mul_i32 s22, s5, s6
	s_add_nc_u64 s[8:9], s[10:11], s[8:9]
	s_mul_hi_u32 s2, s5, s6
	s_mul_hi_u32 s23, s5, s7
	s_mul_i32 s6, s5, s7
	s_add_co_u32 s7, s8, s22
	s_add_co_ci_u32 s10, s9, s2
	s_add_co_ci_u32 s7, s23, 0
	s_delay_alu instid0(SALU_CYCLE_1) | instskip(NEXT) | instid1(SALU_CYCLE_1)
	s_add_nc_u64 s[6:7], s[10:11], s[6:7]
	s_add_co_u32 s2, s4, s6
	s_cselect_b32 s4, -1, 0
	s_delay_alu instid0(SALU_CYCLE_1)
	s_cmp_lg_u32 s4, 0
	s_add_co_ci_u32 s10, s5, s7
	s_mov_b64 s[4:5], 0xffffffff
	v_mul_u64_e32 v[10:11], s[10:11], v[8:9]
	v_mul_hi_u32 v8, v6, s2
	s_and_b64 s[4:5], s[2:3], s[4:5]
	s_delay_alu instid0(VALU_DEP_1) | instskip(SKIP_1) | instid1(VALU_DEP_1)
	v_add_nc_u64_e32 v[10:11], v[8:9], v[10:11]
	v_mov_b32_e32 v8, v7
	v_mul_u64_e32 v[12:13], s[4:5], v[8:9]
	v_mul_u64_e32 v[14:15], s[10:11], v[8:9]
	s_delay_alu instid0(VALU_DEP_2) | instskip(NEXT) | instid1(VALU_DEP_3)
	v_add_co_u32 v8, vcc_lo, v10, v12
	v_add_co_ci_u32_e32 v8, vcc_lo, v11, v13, vcc_lo
	s_delay_alu instid0(VALU_DEP_3) | instskip(NEXT) | instid1(VALU_DEP_1)
	v_add_co_ci_u32_e32 v15, vcc_lo, 0, v15, vcc_lo
	v_add_nc_u64_e32 v[8:9], v[8:9], v[14:15]
	s_delay_alu instid0(VALU_DEP_1) | instskip(NEXT) | instid1(VALU_DEP_1)
	v_mul_u64_e32 v[10:11], s[16:17], v[8:9]
	v_sub_nc_u32_e32 v12, v7, v11
	s_delay_alu instid0(VALU_DEP_2) | instskip(NEXT) | instid1(VALU_DEP_1)
	v_sub_co_u32 v6, vcc_lo, v6, v10
	v_sub_co_ci_u32_e64 v11, null, v7, v11, vcc_lo
	s_delay_alu instid0(VALU_DEP_3) | instskip(NEXT) | instid1(VALU_DEP_3)
	v_subrev_co_ci_u32_e64 v10, null, s17, v12, vcc_lo
	v_sub_co_u32 v14, s2, v6, s16
	v_cmp_le_u32_e32 vcc_lo, s16, v6
	s_delay_alu instid0(VALU_DEP_3) | instskip(NEXT) | instid1(VALU_DEP_3)
	v_subrev_co_ci_u32_e64 v10, null, 0, v10, s2
	v_cmp_le_u32_e64 s2, s16, v14
	v_add_nc_u64_e32 v[12:13], 2, v[8:9]
	v_cndmask_b32_e64 v16, 0, -1, vcc_lo
	s_delay_alu instid0(VALU_DEP_4) | instskip(SKIP_3) | instid1(VALU_DEP_1)
	v_cmp_eq_u32_e32 vcc_lo, s17, v10
	v_add_nc_u64_e32 v[6:7], 1, v[8:9]
	v_cndmask_b32_e64 v14, 0, -1, s2
	v_cmp_le_u32_e64 s2, s17, v10
	v_cndmask_b32_e64 v15, 0, -1, s2
	v_cmp_eq_u32_e64 s2, s17, v11
	s_delay_alu instid0(VALU_DEP_2) | instskip(SKIP_2) | instid1(VALU_DEP_3)
	v_cndmask_b32_e32 v10, v15, v14, vcc_lo
	v_cmp_le_u32_e32 vcc_lo, s17, v11
	v_cndmask_b32_e64 v14, 0, -1, vcc_lo
	v_cmp_ne_u32_e32 vcc_lo, 0, v10
	s_delay_alu instid0(VALU_DEP_2) | instskip(SKIP_1) | instid1(VALU_DEP_2)
	v_dual_cndmask_b32 v10, v14, v16, s2 :: v_dual_cndmask_b32 v7, v7, v13, vcc_lo
	v_cndmask_b32_e32 v6, v6, v12, vcc_lo
	v_cmp_ne_u32_e32 vcc_lo, 0, v10
	s_delay_alu instid0(VALU_DEP_2)
	v_dual_cndmask_b32 v9, v9, v7 :: v_dual_cndmask_b32 v8, v8, v6
                                        ; implicit-def: $vgpr6_vgpr7
.LBB36_3:
	s_and_not1_saveexec_b32 s2, s3
	s_cbranch_execz .LBB36_5
; %bb.4:
	v_cvt_f32_u32_e32 v7, s16
	s_sub_co_i32 s3, 0, s16
	s_delay_alu instid0(VALU_DEP_1) | instskip(SKIP_1) | instid1(TRANS32_DEP_1)
	v_rcp_iflag_f32_e32 v7, v7
	v_nop
	v_mul_f32_e32 v7, 0x4f7ffffe, v7
	s_delay_alu instid0(VALU_DEP_1) | instskip(NEXT) | instid1(VALU_DEP_1)
	v_cvt_u32_f32_e32 v7, v7
	v_mul_lo_u32 v8, s3, v7
	s_delay_alu instid0(VALU_DEP_1) | instskip(NEXT) | instid1(VALU_DEP_1)
	v_mul_hi_u32 v8, v7, v8
	v_add_nc_u32_e32 v7, v7, v8
	s_delay_alu instid0(VALU_DEP_1) | instskip(NEXT) | instid1(VALU_DEP_1)
	v_mul_hi_u32 v7, v6, v7
	v_mul_lo_u32 v8, v7, s16
	s_delay_alu instid0(VALU_DEP_1) | instskip(NEXT) | instid1(VALU_DEP_1)
	v_dual_sub_nc_u32 v6, v6, v8 :: v_dual_add_nc_u32 v8, 1, v7
	v_subrev_nc_u32_e32 v9, s16, v6
	v_cmp_le_u32_e32 vcc_lo, s16, v6
	s_delay_alu instid0(VALU_DEP_2) | instskip(NEXT) | instid1(VALU_DEP_4)
	v_dual_cndmask_b32 v6, v6, v9 :: v_dual_mov_b32 v9, 0
	v_cndmask_b32_e32 v7, v7, v8, vcc_lo
	s_delay_alu instid0(VALU_DEP_2) | instskip(NEXT) | instid1(VALU_DEP_2)
	v_cmp_le_u32_e32 vcc_lo, s16, v6
	v_add_nc_u32_e32 v8, 1, v7
	s_delay_alu instid0(VALU_DEP_1)
	v_cndmask_b32_e32 v8, v7, v8, vcc_lo
.LBB36_5:
	s_or_b32 exec_lo, exec_lo, s2
	s_load_b256 s[4:11], s[0:1], 0x0
	s_delay_alu instid0(VALU_DEP_1) | instskip(SKIP_1) | instid1(VALU_DEP_1)
	v_add_nc_u64_e32 v[4:5], v[8:9], v[4:5]
	s_sub_nc_u64 s[22:23], 0, s[12:13]
                                        ; implicit-def: $vgpr6_vgpr7
	v_add_nc_u64_e32 v[12:13], 1, v[4:5]
                                        ; implicit-def: $vgpr4_vgpr5
	s_wait_kmcnt 0x0
	s_lshl_b64 s[0:1], s[8:9], 1
	s_delay_alu instid0(SALU_CYCLE_1)
	s_add_nc_u64 s[2:3], s[0:1], -2
	s_mov_b32 s0, 0
	v_cmp_lt_i64_e64 s45, s[2:3], 1
	v_cmp_gt_i64_e64 s33, s[2:3], 0
	s_mov_b32 s1, exec_lo
	v_cmpx_lt_u64_e32 1, v[12:13]
	s_xor_b32 s44, exec_lo, s1
	s_cbranch_execnz .LBB36_8
; %bb.6:
	s_and_not1_saveexec_b32 s1, s44
	s_cbranch_execnz .LBB36_31
.LBB36_7:
	s_or_b32 exec_lo, exec_lo, s1
	s_delay_alu instid0(SALU_CYCLE_1)
	s_and_b32 exec_lo, exec_lo, s0
	s_cbranch_execnz .LBB36_32
	s_branch .LBB36_44
.LBB36_8:
	v_add_nc_u64_e32 v[4:5], s[16:17], v[2:3]
	v_dual_mov_b32 v15, v13 :: v_dual_bitop2_b32 v14, -2, v12 bitop3:0x40
	v_sub_nc_u64_e64 v[0:1], v[0:1], s[10:11]
	v_lshl_add_u64 v[16:17], v[2:3], 2, s[6:7]
	v_mov_b32_e32 v18, 0
	s_lshl_b64 s[30:31], s[16:17], 1
	v_mov_b64_e32 v[6:7], v[4:5]
	v_mov_b64_e32 v[20:21], v[14:15]
	;; [unrolled: 1-line block ×3, first 2 shown]
	s_xor_b32 s46, s45, -1
	s_mov_b32 s24, s2
	s_mov_b32 s25, s3
	s_mov_b32 s26, s8
	s_mov_b32 s27, s9
	s_mov_b32 s34, s30
	s_mov_b32 s35, s31
	s_lshl_b64 s[28:29], s[16:17], 2
	s_lshl_b64 s[36:37], s[16:17], 3
	s_mov_b32 s1, 0
	s_mov_b64 s[38:39], 0xffffffff
	s_ashr_i32 s40, s13, 31
	s_sub_co_i32 s48, 0, s12
	s_mov_b32 s47, 0
	s_branch .LBB36_11
.LBB36_9:                               ;   in Loop: Header=BB36_11 Depth=1
	s_or_b32 exec_lo, exec_lo, s0
.LBB36_10:                              ;   in Loop: Header=BB36_11 Depth=1
	v_mul_u64_e32 v[22:23], s[8:9], v[22:23]
	s_delay_alu instid0(VALU_DEP_2) | instskip(SKIP_3) | instid1(VALU_DEP_4)
	v_dual_ashrrev_i32 v19, 31, v9 :: v_dual_ashrrev_i32 v28, 31, v11
	v_mul_u64_e32 v[24:25], s[26:27], v[24:25]
	v_add_nc_u64_e32 v[20:21], -2, v[20:21]
	v_add_nc_u64_e32 v[6:7], s[34:35], v[6:7]
	v_and_b32_e32 v27, s3, v19
	v_and_b32_e32 v26, s2, v19
	;; [unrolled: 1-line block ×4, first 2 shown]
	v_add_nc_u64_e32 v[4:5], s[30:31], v[4:5]
	v_add_nc_u64_e32 v[0:1], s[30:31], v[0:1]
	;; [unrolled: 1-line block ×3, first 2 shown]
	s_delay_alu instid0(VALU_DEP_4) | instskip(NEXT) | instid1(VALU_DEP_2)
	v_add_nc_u64_e32 v[10:11], v[28:29], v[10:11]
	v_sub_nc_u64_e32 v[26:27], s[2:3], v[8:9]
	v_cmp_gt_i64_e32 vcc_lo, s[8:9], v[8:9]
	s_delay_alu instid0(VALU_DEP_3) | instskip(SKIP_1) | instid1(VALU_DEP_4)
	v_sub_nc_u64_e32 v[28:29], s[24:25], v[10:11]
	v_cmp_gt_i64_e64 s0, s[26:27], v[10:11]
	v_dual_cndmask_b32 v8, v26, v8 :: v_dual_cndmask_b32 v9, v27, v9
	s_delay_alu instid0(VALU_DEP_2) | instskip(SKIP_1) | instid1(VALU_DEP_3)
	v_dual_cndmask_b32 v19, v28, v10, s0 :: v_dual_cndmask_b32 v26, v29, v11, s0
	v_cmp_eq_u64_e32 vcc_lo, 0, v[20:21]
	v_cndmask_b32_e64 v8, v8, 0, s45
	s_delay_alu instid0(VALU_DEP_4) | instskip(SKIP_4) | instid1(VALU_DEP_3)
	v_cndmask_b32_e64 v9, v9, 0, s45
	v_lshl_add_u64 v[10:11], v[22:23], 2, s[4:5]
	v_cndmask_b32_e64 v23, v26, 0, s45
	v_cndmask_b32_e64 v22, v19, 0, s45
	s_or_b32 s47, vcc_lo, s47
	v_lshl_add_u64 v[8:9], v[8:9], 2, v[10:11]
	v_lshl_add_u64 v[10:11], v[24:25], 2, s[4:5]
	global_load_b32 v19, v[8:9], off
	s_wait_xcnt 0x0
	v_lshl_add_u64 v[8:9], v[22:23], 2, v[10:11]
	global_load_b32 v10, v[8:9], off
	s_wait_xcnt 0x0
	v_add_nc_u64_e32 v[8:9], s[28:29], v[16:17]
	s_wait_loadcnt 0x1
	global_store_b32 v[16:17], v19, off
	s_wait_xcnt 0x0
	v_add_nc_u64_e32 v[16:17], s[36:37], v[16:17]
	s_wait_loadcnt 0x0
	global_store_b32 v[8:9], v10, off
	s_wait_xcnt 0x0
	s_and_not1_b32 exec_lo, exec_lo, s47
	s_cbranch_execz .LBB36_30
.LBB36_11:                              ; =>This Inner Loop Header: Depth=1
	v_or_b32_e32 v19, s13, v5
                                        ; implicit-def: $vgpr22_vgpr23
	s_mov_b32 s0, exec_lo
	s_delay_alu instid0(VALU_DEP_1)
	v_cmpx_ne_u64_e32 0, v[18:19]
	s_xor_b32 s49, exec_lo, s0
	s_cbranch_execz .LBB36_13
; %bb.12:                               ;   in Loop: Header=BB36_11 Depth=1
	s_mov_b32 s41, s40
	v_dual_mov_b32 v23, v18 :: v_dual_ashrrev_i32 v8, 31, v5
	s_add_nc_u64 s[42:43], s[12:13], s[40:41]
	v_mov_b32_e32 v31, v18
	s_xor_b64 s[42:43], s[42:43], s[40:41]
	s_delay_alu instid0(VALU_DEP_2) | instskip(SKIP_3) | instid1(VALU_DEP_1)
	v_mov_b32_e32 v9, v8
	s_cvt_f32_u32 s0, s42
	s_cvt_f32_u32 s41, s43
	s_sub_nc_u64 s[52:53], 0, s[42:43]
	v_add_nc_u64_e32 v[10:11], v[4:5], v[8:9]
	s_delay_alu instid0(SALU_CYCLE_1) | instskip(SKIP_1) | instid1(SALU_CYCLE_2)
	s_fmamk_f32 s0, s41, 0x4f800000, s0
	v_mov_b32_e32 v27, v18
	v_s_rcp_f32 s0, s0
	s_delay_alu instid0(VALU_DEP_2) | instskip(NEXT) | instid1(VALU_DEP_3)
	v_xor_b32_e32 v22, v10, v8
	v_xor_b32_e32 v26, v11, v8
	s_delay_alu instid0(TRANS32_DEP_1) | instskip(NEXT) | instid1(SALU_CYCLE_3)
	s_mul_f32 s0, s0, 0x5f7ffffc
	s_mul_f32 s41, s0, 0x2f800000
	s_delay_alu instid0(SALU_CYCLE_3) | instskip(NEXT) | instid1(SALU_CYCLE_3)
	s_trunc_f32 s41, s41
	s_fmamk_f32 s0, s41, 0xcf800000, s0
	s_cvt_u32_f32 s51, s41
	s_delay_alu instid0(SALU_CYCLE_2) | instskip(NEXT) | instid1(SALU_CYCLE_3)
	s_cvt_u32_f32 s50, s0
	s_mul_u64 s[54:55], s[52:53], s[50:51]
	s_delay_alu instid0(SALU_CYCLE_1)
	s_mul_hi_u32 s57, s50, s55
	s_mul_i32 s56, s50, s55
	s_mul_hi_u32 s0, s50, s54
	s_mul_i32 s58, s51, s54
	s_add_nc_u64 s[56:57], s[0:1], s[56:57]
	s_mul_hi_u32 s41, s51, s54
	s_mul_hi_u32 s59, s51, s55
	s_add_co_u32 s0, s56, s58
	s_add_co_ci_u32 s0, s57, s41
	s_mul_i32 s54, s51, s55
	s_add_co_ci_u32 s55, s59, 0
	s_delay_alu instid0(SALU_CYCLE_1) | instskip(NEXT) | instid1(SALU_CYCLE_1)
	s_add_nc_u64 s[54:55], s[0:1], s[54:55]
	s_add_co_u32 s50, s50, s54
	s_cselect_b32 s0, -1, 0
	s_delay_alu instid0(SALU_CYCLE_1) | instskip(SKIP_1) | instid1(SALU_CYCLE_1)
	s_cmp_lg_u32 s0, 0
	s_add_co_ci_u32 s51, s51, s55
	s_mul_u64 s[52:53], s[52:53], s[50:51]
	s_delay_alu instid0(SALU_CYCLE_1)
	s_mul_hi_u32 s55, s50, s53
	s_mul_i32 s54, s50, s53
	s_mul_hi_u32 s0, s50, s52
	s_mul_i32 s56, s51, s52
	s_add_nc_u64 s[54:55], s[0:1], s[54:55]
	s_mul_hi_u32 s41, s51, s52
	s_mul_hi_u32 s57, s51, s53
	s_add_co_u32 s0, s54, s56
	s_add_co_ci_u32 s0, s55, s41
	s_mul_i32 s52, s51, s53
	s_add_co_ci_u32 s53, s57, 0
	s_delay_alu instid0(SALU_CYCLE_1) | instskip(NEXT) | instid1(SALU_CYCLE_1)
	s_add_nc_u64 s[52:53], s[0:1], s[52:53]
	s_add_co_u32 s50, s50, s52
	s_cselect_b32 s0, -1, 0
	v_mul_hi_u32 v30, v22, s50
	s_cmp_lg_u32 s0, 0
	s_add_co_ci_u32 s0, s51, s53
	s_and_b64 s[52:53], s[50:51], s[38:39]
	v_mul_u64_e32 v[24:25], s[0:1], v[22:23]
	v_mul_u64_e32 v[10:11], s[52:53], v[26:27]
	;; [unrolled: 1-line block ×3, first 2 shown]
	s_delay_alu instid0(VALU_DEP_3) | instskip(NEXT) | instid1(VALU_DEP_1)
	v_add_nc_u64_e32 v[24:25], v[30:31], v[24:25]
	v_add_co_u32 v9, vcc_lo, v24, v10
	s_delay_alu instid0(VALU_DEP_2) | instskip(NEXT) | instid1(VALU_DEP_4)
	v_add_co_ci_u32_e32 v30, vcc_lo, v25, v11, vcc_lo
	v_add_co_ci_u32_e32 v29, vcc_lo, 0, v29, vcc_lo
	s_delay_alu instid0(VALU_DEP_1) | instskip(NEXT) | instid1(VALU_DEP_1)
	v_add_nc_u64_e32 v[10:11], v[30:31], v[28:29]
	v_mul_u64_e32 v[24:25], s[42:43], v[10:11]
	s_delay_alu instid0(VALU_DEP_1) | instskip(NEXT) | instid1(VALU_DEP_2)
	v_sub_nc_u32_e32 v9, v26, v25
	v_sub_co_u32 v19, vcc_lo, v22, v24
	s_delay_alu instid0(VALU_DEP_1) | instskip(NEXT) | instid1(VALU_DEP_3)
	v_sub_co_ci_u32_e64 v26, null, v26, v25, vcc_lo
	v_subrev_co_ci_u32_e64 v9, null, s43, v9, vcc_lo
	s_delay_alu instid0(VALU_DEP_3) | instskip(SKIP_1) | instid1(VALU_DEP_3)
	v_sub_co_u32 v22, s0, v19, s42
	v_add_nc_u64_e32 v[24:25], 1, v[10:11]
	v_subrev_co_ci_u32_e64 v9, null, 0, v9, s0
	s_delay_alu instid0(VALU_DEP_3) | instskip(SKIP_1) | instid1(VALU_DEP_3)
	v_cmp_le_u32_e32 vcc_lo, s42, v22
	v_cndmask_b32_e64 v22, 0, -1, vcc_lo
	v_cmp_le_u32_e32 vcc_lo, s43, v9
	v_cndmask_b32_e64 v23, 0, -1, vcc_lo
	v_cmp_le_u32_e32 vcc_lo, s42, v19
	v_cndmask_b32_e64 v19, 0, -1, vcc_lo
	v_cmp_le_u32_e32 vcc_lo, s43, v26
	v_cndmask_b32_e64 v27, 0, -1, vcc_lo
	v_cmp_eq_u32_e32 vcc_lo, s43, v9
	v_cndmask_b32_e32 v9, v23, v22, vcc_lo
	v_cmp_eq_u32_e32 vcc_lo, s43, v26
	v_add_nc_u64_e32 v[22:23], 2, v[10:11]
	v_cndmask_b32_e32 v19, v27, v19, vcc_lo
	s_delay_alu instid0(VALU_DEP_4) | instskip(NEXT) | instid1(VALU_DEP_2)
	v_cmp_ne_u32_e32 vcc_lo, 0, v9
	v_cmp_ne_u32_e64 s0, 0, v19
	s_delay_alu instid0(VALU_DEP_4) | instskip(NEXT) | instid1(VALU_DEP_1)
	v_dual_cndmask_b32 v9, v25, v23, vcc_lo :: v_dual_cndmask_b32 v19, v24, v22, vcc_lo
	v_dual_cndmask_b32 v11, v11, v9, s0 :: v_dual_bitop2_b32 v8, s40, v8 bitop3:0x14
	s_delay_alu instid0(VALU_DEP_1) | instskip(NEXT) | instid1(VALU_DEP_2)
	v_dual_cndmask_b32 v10, v10, v19, s0 :: v_dual_mov_b32 v9, v8
	v_xor_b32_e32 v11, v11, v8
	s_delay_alu instid0(VALU_DEP_2) | instskip(NEXT) | instid1(VALU_DEP_1)
	v_xor_b32_e32 v10, v10, v8
	v_sub_nc_u64_e32 v[22:23], v[10:11], v[8:9]
.LBB36_13:                              ;   in Loop: Header=BB36_11 Depth=1
	s_or_saveexec_b32 s0, s49
	v_cvt_f32_u32_e32 v8, s12
	s_delay_alu instid0(VALU_DEP_1)
	v_rcp_iflag_f32_e32 v8, v8
	s_xor_b32 exec_lo, exec_lo, s0
	s_cbranch_execz .LBB36_15
; %bb.14:                               ;   in Loop: Header=BB36_11 Depth=1
	v_nop
	s_delay_alu instid0(TRANS32_DEP_1) | instskip(SKIP_1) | instid1(VALU_DEP_2)
	v_mul_f32_e32 v9, 0x4f7ffffe, v8
	v_mov_b32_e32 v23, v18
	v_cvt_u32_f32_e32 v9, v9
	s_delay_alu instid0(VALU_DEP_1) | instskip(NEXT) | instid1(VALU_DEP_1)
	v_mul_lo_u32 v10, s48, v9
	v_mul_hi_u32 v10, v9, v10
	s_delay_alu instid0(VALU_DEP_1) | instskip(NEXT) | instid1(VALU_DEP_1)
	v_add_nc_u32_e32 v9, v9, v10
	v_mul_hi_u32 v9, v4, v9
	s_delay_alu instid0(VALU_DEP_1) | instskip(NEXT) | instid1(VALU_DEP_1)
	v_mul_lo_u32 v10, v9, s12
	v_dual_add_nc_u32 v11, 1, v9 :: v_dual_sub_nc_u32 v10, v4, v10
	s_delay_alu instid0(VALU_DEP_1) | instskip(SKIP_1) | instid1(VALU_DEP_2)
	v_subrev_nc_u32_e32 v19, s12, v10
	v_cmp_le_u32_e32 vcc_lo, s12, v10
	v_cndmask_b32_e32 v10, v10, v19, vcc_lo
	s_delay_alu instid0(VALU_DEP_4) | instskip(NEXT) | instid1(VALU_DEP_2)
	v_cndmask_b32_e32 v9, v9, v11, vcc_lo
	v_cmp_le_u32_e32 vcc_lo, s12, v10
	s_delay_alu instid0(VALU_DEP_2) | instskip(NEXT) | instid1(VALU_DEP_1)
	v_add_nc_u32_e32 v11, 1, v9
	v_cndmask_b32_e32 v22, v9, v11, vcc_lo
.LBB36_15:                              ;   in Loop: Header=BB36_11 Depth=1
	s_or_b32 exec_lo, exec_lo, s0
	v_or_b32_e32 v19, s13, v7
                                        ; implicit-def: $vgpr24_vgpr25
	s_mov_b32 s0, exec_lo
	s_delay_alu instid0(VALU_DEP_1)
	v_cmpx_ne_u64_e32 0, v[18:19]
	s_xor_b32 s49, exec_lo, s0
	s_cbranch_execnz .LBB36_19
; %bb.16:                               ;   in Loop: Header=BB36_11 Depth=1
	s_and_not1_saveexec_b32 s0, s49
	s_cbranch_execnz .LBB36_20
.LBB36_17:                              ;   in Loop: Header=BB36_11 Depth=1
	s_or_b32 exec_lo, exec_lo, s0
	s_delay_alu instid0(SALU_CYCLE_1)
	s_and_not1_b32 vcc_lo, exec_lo, s46
                                        ; implicit-def: $vgpr8_vgpr9_vgpr10_vgpr11
	s_cbranch_vccz .LBB36_21
.LBB36_18:                              ;   in Loop: Header=BB36_11 Depth=1
	s_and_not1_b32 vcc_lo, exec_lo, s46
	s_cbranch_vccnz .LBB36_10
	s_branch .LBB36_26
.LBB36_19:                              ;   in Loop: Header=BB36_11 Depth=1
	s_mov_b32 s41, s40
	v_dual_mov_b32 v25, v18 :: v_dual_ashrrev_i32 v8, 31, v7
	s_add_nc_u64 s[42:43], s[12:13], s[40:41]
	s_delay_alu instid0(SALU_CYCLE_1) | instskip(NEXT) | instid1(VALU_DEP_1)
	s_xor_b64 s[42:43], s[42:43], s[40:41]
	v_mov_b32_e32 v9, v8
	s_cvt_f32_u32 s0, s42
	s_cvt_f32_u32 s41, s43
	s_sub_nc_u64 s[52:53], 0, s[42:43]
	s_delay_alu instid0(VALU_DEP_1) | instskip(NEXT) | instid1(SALU_CYCLE_1)
	v_add_nc_u64_e32 v[10:11], v[6:7], v[8:9]
	s_fmamk_f32 s0, s41, 0x4f800000, s0
	v_mov_b32_e32 v29, v18
	s_delay_alu instid0(SALU_CYCLE_2) | instskip(NEXT) | instid1(VALU_DEP_2)
	v_s_rcp_f32 s0, s0
	v_xor_b32_e32 v24, v10, v8
	s_delay_alu instid0(VALU_DEP_3) | instskip(NEXT) | instid1(TRANS32_DEP_1)
	v_dual_mov_b32 v33, v18 :: v_dual_bitop2_b32 v28, v11, v8 bitop3:0x14
	s_mul_f32 s0, s0, 0x5f7ffffc
	s_delay_alu instid0(SALU_CYCLE_3) | instskip(NEXT) | instid1(SALU_CYCLE_3)
	s_mul_f32 s41, s0, 0x2f800000
	s_trunc_f32 s41, s41
	s_delay_alu instid0(SALU_CYCLE_3) | instskip(SKIP_1) | instid1(SALU_CYCLE_2)
	s_fmamk_f32 s0, s41, 0xcf800000, s0
	s_cvt_u32_f32 s51, s41
	s_cvt_u32_f32 s50, s0
	s_delay_alu instid0(SALU_CYCLE_3) | instskip(NEXT) | instid1(SALU_CYCLE_1)
	s_mul_u64 s[54:55], s[52:53], s[50:51]
	s_mul_hi_u32 s57, s50, s55
	s_mul_i32 s56, s50, s55
	s_mul_hi_u32 s0, s50, s54
	s_mul_i32 s58, s51, s54
	s_add_nc_u64 s[56:57], s[0:1], s[56:57]
	s_mul_hi_u32 s41, s51, s54
	s_mul_hi_u32 s59, s51, s55
	s_add_co_u32 s0, s56, s58
	s_add_co_ci_u32 s0, s57, s41
	s_mul_i32 s54, s51, s55
	s_add_co_ci_u32 s55, s59, 0
	s_delay_alu instid0(SALU_CYCLE_1) | instskip(NEXT) | instid1(SALU_CYCLE_1)
	s_add_nc_u64 s[54:55], s[0:1], s[54:55]
	s_add_co_u32 s50, s50, s54
	s_cselect_b32 s0, -1, 0
	s_delay_alu instid0(SALU_CYCLE_1) | instskip(SKIP_1) | instid1(SALU_CYCLE_1)
	s_cmp_lg_u32 s0, 0
	s_add_co_ci_u32 s51, s51, s55
	s_mul_u64 s[52:53], s[52:53], s[50:51]
	s_delay_alu instid0(SALU_CYCLE_1)
	s_mul_hi_u32 s55, s50, s53
	s_mul_i32 s54, s50, s53
	s_mul_hi_u32 s0, s50, s52
	s_mul_i32 s56, s51, s52
	s_add_nc_u64 s[54:55], s[0:1], s[54:55]
	s_mul_hi_u32 s41, s51, s52
	s_mul_hi_u32 s57, s51, s53
	s_add_co_u32 s0, s54, s56
	s_add_co_ci_u32 s0, s55, s41
	s_mul_i32 s52, s51, s53
	s_add_co_ci_u32 s53, s57, 0
	s_delay_alu instid0(SALU_CYCLE_1) | instskip(NEXT) | instid1(SALU_CYCLE_1)
	s_add_nc_u64 s[52:53], s[0:1], s[52:53]
	s_add_co_u32 s50, s50, s52
	s_cselect_b32 s0, -1, 0
	v_mul_hi_u32 v32, v24, s50
	s_cmp_lg_u32 s0, 0
	s_add_co_ci_u32 s0, s51, s53
	s_and_b64 s[52:53], s[50:51], s[38:39]
	v_mul_u64_e32 v[26:27], s[0:1], v[24:25]
	v_mul_u64_e32 v[10:11], s[52:53], v[28:29]
	;; [unrolled: 1-line block ×3, first 2 shown]
	s_delay_alu instid0(VALU_DEP_3) | instskip(NEXT) | instid1(VALU_DEP_1)
	v_add_nc_u64_e32 v[26:27], v[32:33], v[26:27]
	v_add_co_u32 v9, vcc_lo, v26, v10
	s_delay_alu instid0(VALU_DEP_2) | instskip(NEXT) | instid1(VALU_DEP_4)
	v_add_co_ci_u32_e32 v32, vcc_lo, v27, v11, vcc_lo
	v_add_co_ci_u32_e32 v31, vcc_lo, 0, v31, vcc_lo
	s_delay_alu instid0(VALU_DEP_1) | instskip(NEXT) | instid1(VALU_DEP_1)
	v_add_nc_u64_e32 v[10:11], v[32:33], v[30:31]
	v_mul_u64_e32 v[26:27], s[42:43], v[10:11]
	s_delay_alu instid0(VALU_DEP_1) | instskip(NEXT) | instid1(VALU_DEP_2)
	v_sub_nc_u32_e32 v9, v28, v27
	v_sub_co_u32 v19, vcc_lo, v24, v26
	s_delay_alu instid0(VALU_DEP_1) | instskip(NEXT) | instid1(VALU_DEP_3)
	v_sub_co_ci_u32_e64 v28, null, v28, v27, vcc_lo
	v_subrev_co_ci_u32_e64 v9, null, s43, v9, vcc_lo
	s_delay_alu instid0(VALU_DEP_3) | instskip(SKIP_1) | instid1(VALU_DEP_3)
	v_sub_co_u32 v24, s0, v19, s42
	v_add_nc_u64_e32 v[26:27], 1, v[10:11]
	v_subrev_co_ci_u32_e64 v9, null, 0, v9, s0
	s_delay_alu instid0(VALU_DEP_3) | instskip(SKIP_1) | instid1(VALU_DEP_3)
	v_cmp_le_u32_e32 vcc_lo, s42, v24
	v_cndmask_b32_e64 v24, 0, -1, vcc_lo
	v_cmp_le_u32_e32 vcc_lo, s43, v9
	v_cndmask_b32_e64 v25, 0, -1, vcc_lo
	;; [unrolled: 2-line block ×4, first 2 shown]
	v_cmp_eq_u32_e32 vcc_lo, s43, v9
	v_cndmask_b32_e32 v9, v25, v24, vcc_lo
	v_cmp_eq_u32_e32 vcc_lo, s43, v28
	v_add_nc_u64_e32 v[24:25], 2, v[10:11]
	v_cndmask_b32_e32 v19, v29, v19, vcc_lo
	s_delay_alu instid0(VALU_DEP_4) | instskip(NEXT) | instid1(VALU_DEP_3)
	v_cmp_ne_u32_e32 vcc_lo, 0, v9
	v_cndmask_b32_e32 v9, v27, v25, vcc_lo
	s_delay_alu instid0(VALU_DEP_3) | instskip(SKIP_1) | instid1(VALU_DEP_2)
	v_cmp_ne_u32_e64 s0, 0, v19
	v_cndmask_b32_e32 v19, v26, v24, vcc_lo
	v_dual_cndmask_b32 v11, v11, v9, s0 :: v_dual_bitop2_b32 v8, s40, v8 bitop3:0x14
	s_delay_alu instid0(VALU_DEP_1) | instskip(NEXT) | instid1(VALU_DEP_2)
	v_dual_cndmask_b32 v10, v10, v19, s0 :: v_dual_mov_b32 v9, v8
	v_xor_b32_e32 v11, v11, v8
	s_delay_alu instid0(VALU_DEP_2) | instskip(NEXT) | instid1(VALU_DEP_1)
	v_xor_b32_e32 v10, v10, v8
	v_sub_nc_u64_e32 v[24:25], v[10:11], v[8:9]
                                        ; implicit-def: $vgpr8
	s_and_not1_saveexec_b32 s0, s49
	s_cbranch_execz .LBB36_17
.LBB36_20:                              ;   in Loop: Header=BB36_11 Depth=1
	v_dual_mul_f32 v8, 0x4f7ffffe, v8 :: v_dual_mov_b32 v25, v18
	s_delay_alu instid0(VALU_DEP_1) | instskip(NEXT) | instid1(VALU_DEP_1)
	v_cvt_u32_f32_e32 v8, v8
	v_mul_lo_u32 v9, s48, v8
	s_delay_alu instid0(VALU_DEP_1) | instskip(NEXT) | instid1(VALU_DEP_1)
	v_mul_hi_u32 v9, v8, v9
	v_add_nc_u32_e32 v8, v8, v9
	s_delay_alu instid0(VALU_DEP_1) | instskip(NEXT) | instid1(VALU_DEP_1)
	v_mul_hi_u32 v8, v6, v8
	v_mul_lo_u32 v9, v8, s12
	s_delay_alu instid0(VALU_DEP_1) | instskip(NEXT) | instid1(VALU_DEP_1)
	v_dual_add_nc_u32 v10, 1, v8 :: v_dual_sub_nc_u32 v9, v6, v9
	v_subrev_nc_u32_e32 v11, s12, v9
	v_cmp_le_u32_e32 vcc_lo, s12, v9
	s_delay_alu instid0(VALU_DEP_2) | instskip(NEXT) | instid1(VALU_DEP_1)
	v_dual_cndmask_b32 v9, v9, v11 :: v_dual_cndmask_b32 v8, v8, v10
	v_cmp_le_u32_e32 vcc_lo, s12, v9
	s_delay_alu instid0(VALU_DEP_2) | instskip(NEXT) | instid1(VALU_DEP_1)
	v_add_nc_u32_e32 v10, 1, v8
	v_cndmask_b32_e32 v24, v8, v10, vcc_lo
	s_or_b32 exec_lo, exec_lo, s0
	s_delay_alu instid0(SALU_CYCLE_1)
	s_and_not1_b32 vcc_lo, exec_lo, s46
                                        ; implicit-def: $vgpr8_vgpr9_vgpr10_vgpr11
	s_cbranch_vccnz .LBB36_18
.LBB36_21:                              ;   in Loop: Header=BB36_11 Depth=1
	v_add_nc_u64_e32 v[8:9], s[18:19], v[0:1]
	s_mov_b32 s0, exec_lo
	s_delay_alu instid0(VALU_DEP_1) | instskip(NEXT) | instid1(VALU_DEP_1)
	v_mad_nc_u64_u32 v[10:11], s22, v22, v[8:9]
	v_mad_u32 v8, s23, v22, v11
	s_delay_alu instid0(VALU_DEP_1) | instskip(NEXT) | instid1(VALU_DEP_1)
	v_mad_u32 v11, s22, v23, v8
                                        ; implicit-def: $vgpr8_vgpr9
	v_or_b32_e32 v19, s3, v11
	s_delay_alu instid0(VALU_DEP_1)
	v_cmpx_ne_u64_e32 0, v[18:19]
	s_xor_b32 s41, exec_lo, s0
	s_cbranch_execz .LBB36_23
; %bb.22:                               ;   in Loop: Header=BB36_11 Depth=1
	s_ashr_i32 s42, s3, 31
	v_dual_mov_b32 v27, v18 :: v_dual_ashrrev_i32 v8, 31, v11
	s_mov_b32 s43, s42
	v_mov_b32_e32 v35, v18
	s_add_nc_u64 s[50:51], s[2:3], s[42:43]
	s_delay_alu instid0(VALU_DEP_2) | instskip(SKIP_1) | instid1(SALU_CYCLE_1)
	v_mov_b32_e32 v9, v8
	s_xor_b64 s[42:43], s[50:51], s[42:43]
	s_cvt_f32_u32 s0, s42
	s_cvt_f32_u32 s49, s43
	s_sub_nc_u64 s[52:53], 0, s[42:43]
	v_add_nc_u64_e32 v[10:11], v[10:11], v[8:9]
	v_mov_b32_e32 v31, v18
	s_fmamk_f32 s0, s49, 0x4f800000, s0
	s_delay_alu instid0(SALU_CYCLE_3) | instskip(NEXT) | instid1(VALU_DEP_2)
	v_s_rcp_f32 s0, s0
	v_xor_b32_e32 v26, v10, v8
	s_delay_alu instid0(VALU_DEP_3) | instskip(NEXT) | instid1(TRANS32_DEP_1)
	v_xor_b32_e32 v30, v11, v8
	s_mul_f32 s0, s0, 0x5f7ffffc
	s_delay_alu instid0(SALU_CYCLE_3) | instskip(NEXT) | instid1(SALU_CYCLE_3)
	s_mul_f32 s49, s0, 0x2f800000
	s_trunc_f32 s49, s49
	s_delay_alu instid0(SALU_CYCLE_3) | instskip(SKIP_1) | instid1(SALU_CYCLE_2)
	s_fmamk_f32 s0, s49, 0xcf800000, s0
	s_cvt_u32_f32 s51, s49
	s_cvt_u32_f32 s50, s0
	s_delay_alu instid0(SALU_CYCLE_3) | instskip(NEXT) | instid1(SALU_CYCLE_1)
	s_mul_u64 s[54:55], s[52:53], s[50:51]
	s_mul_hi_u32 s57, s50, s55
	s_mul_i32 s56, s50, s55
	s_mul_hi_u32 s0, s50, s54
	s_mul_i32 s58, s51, s54
	s_add_nc_u64 s[56:57], s[0:1], s[56:57]
	s_mul_hi_u32 s49, s51, s54
	s_mul_hi_u32 s59, s51, s55
	s_add_co_u32 s0, s56, s58
	s_add_co_ci_u32 s0, s57, s49
	s_mul_i32 s54, s51, s55
	s_add_co_ci_u32 s55, s59, 0
	s_delay_alu instid0(SALU_CYCLE_1) | instskip(NEXT) | instid1(SALU_CYCLE_1)
	s_add_nc_u64 s[54:55], s[0:1], s[54:55]
	s_add_co_u32 s50, s50, s54
	s_cselect_b32 s0, -1, 0
	s_delay_alu instid0(SALU_CYCLE_1) | instskip(SKIP_1) | instid1(SALU_CYCLE_1)
	s_cmp_lg_u32 s0, 0
	s_add_co_ci_u32 s51, s51, s55
	s_mul_u64 s[52:53], s[52:53], s[50:51]
	s_delay_alu instid0(SALU_CYCLE_1)
	s_mul_hi_u32 s55, s50, s53
	s_mul_i32 s54, s50, s53
	s_mul_hi_u32 s0, s50, s52
	s_mul_i32 s56, s51, s52
	s_add_nc_u64 s[54:55], s[0:1], s[54:55]
	s_mul_hi_u32 s49, s51, s52
	s_mul_hi_u32 s57, s51, s53
	s_add_co_u32 s0, s54, s56
	s_add_co_ci_u32 s0, s55, s49
	s_mul_i32 s52, s51, s53
	s_add_co_ci_u32 s53, s57, 0
	s_delay_alu instid0(SALU_CYCLE_1) | instskip(NEXT) | instid1(SALU_CYCLE_1)
	s_add_nc_u64 s[52:53], s[0:1], s[52:53]
	s_add_co_u32 s50, s50, s52
	s_cselect_b32 s0, -1, 0
	v_mul_hi_u32 v34, v26, s50
	s_cmp_lg_u32 s0, 0
	s_add_co_ci_u32 s0, s51, s53
	s_and_b64 s[52:53], s[50:51], s[38:39]
	v_mul_u64_e32 v[28:29], s[0:1], v[26:27]
	v_mul_u64_e32 v[10:11], s[52:53], v[30:31]
	v_mul_u64_e32 v[32:33], s[0:1], v[30:31]
	s_delay_alu instid0(VALU_DEP_3) | instskip(NEXT) | instid1(VALU_DEP_1)
	v_add_nc_u64_e32 v[28:29], v[34:35], v[28:29]
	v_add_co_u32 v10, vcc_lo, v28, v10
	s_delay_alu instid0(VALU_DEP_2) | instskip(NEXT) | instid1(VALU_DEP_4)
	v_add_co_ci_u32_e32 v34, vcc_lo, v29, v11, vcc_lo
	v_add_co_ci_u32_e32 v33, vcc_lo, 0, v33, vcc_lo
	s_delay_alu instid0(VALU_DEP_1) | instskip(NEXT) | instid1(VALU_DEP_1)
	v_add_nc_u64_e32 v[10:11], v[34:35], v[32:33]
	v_mul_u64_e32 v[10:11], s[42:43], v[10:11]
	s_delay_alu instid0(VALU_DEP_1) | instskip(NEXT) | instid1(VALU_DEP_2)
	v_sub_nc_u32_e32 v19, v30, v11
	v_sub_co_u32 v10, vcc_lo, v26, v10
	s_delay_alu instid0(VALU_DEP_1) | instskip(NEXT) | instid1(VALU_DEP_3)
	v_sub_co_ci_u32_e64 v11, null, v30, v11, vcc_lo
	v_subrev_co_ci_u32_e64 v19, null, s43, v19, vcc_lo
	s_delay_alu instid0(VALU_DEP_3) | instskip(SKIP_1) | instid1(VALU_DEP_3)
	v_sub_co_u32 v26, vcc_lo, v10, s42
	v_cmp_le_u32_e64 s0, s42, v10
	v_subrev_co_ci_u32_e64 v27, null, 0, v19, vcc_lo
	v_subrev_co_ci_u32_e64 v19, null, s43, v19, vcc_lo
	s_delay_alu instid0(VALU_DEP_3) | instskip(SKIP_2) | instid1(VALU_DEP_2)
	v_cndmask_b32_e64 v28, 0, -1, s0
	v_cmp_le_u32_e64 s0, s42, v26
	v_cmp_le_u32_e32 vcc_lo, s43, v11
	v_cndmask_b32_e64 v29, 0, -1, s0
	v_cmp_le_u32_e64 s0, s43, v27
	v_cndmask_b32_e64 v31, 0, -1, vcc_lo
	v_cmp_eq_u32_e32 vcc_lo, s43, v27
	s_delay_alu instid0(VALU_DEP_3) | instskip(SKIP_1) | instid1(VALU_DEP_2)
	v_cndmask_b32_e64 v30, 0, -1, s0
	v_cmp_eq_u32_e64 s0, s43, v11
	v_cndmask_b32_e32 v29, v30, v29, vcc_lo
	v_sub_co_u32 v30, vcc_lo, v26, s42
	s_delay_alu instid0(VALU_DEP_1) | instskip(NEXT) | instid1(VALU_DEP_3)
	v_subrev_co_ci_u32_e64 v19, null, 0, v19, vcc_lo
	v_cmp_ne_u32_e32 vcc_lo, 0, v29
	v_cndmask_b32_e64 v28, v31, v28, s0
	s_delay_alu instid0(VALU_DEP_3) | instskip(NEXT) | instid1(VALU_DEP_2)
	v_dual_cndmask_b32 v19, v27, v19 :: v_dual_cndmask_b32 v26, v26, v30
	v_cmp_ne_u32_e32 vcc_lo, 0, v28
	s_delay_alu instid0(VALU_DEP_2) | instskip(NEXT) | instid1(VALU_DEP_1)
	v_dual_cndmask_b32 v11, v11, v19 :: v_dual_cndmask_b32 v10, v10, v26
	v_xor_b32_e32 v11, v11, v8
	s_delay_alu instid0(VALU_DEP_2) | instskip(NEXT) | instid1(VALU_DEP_1)
	v_xor_b32_e32 v10, v10, v8
	v_sub_nc_u64_e32 v[8:9], v[10:11], v[8:9]
                                        ; implicit-def: $vgpr10_vgpr11
.LBB36_23:                              ;   in Loop: Header=BB36_11 Depth=1
	s_and_not1_saveexec_b32 s0, s41
	s_cbranch_execz .LBB36_25
; %bb.24:                               ;   in Loop: Header=BB36_11 Depth=1
	v_cvt_f32_u32_e32 v8, s2
	s_sub_co_i32 s41, 0, s2
	s_delay_alu instid0(VALU_DEP_1) | instskip(SKIP_1) | instid1(TRANS32_DEP_1)
	v_rcp_iflag_f32_e32 v8, v8
	v_nop
	v_mul_f32_e32 v8, 0x4f7ffffe, v8
	s_delay_alu instid0(VALU_DEP_1) | instskip(NEXT) | instid1(VALU_DEP_1)
	v_cvt_u32_f32_e32 v8, v8
	v_mul_lo_u32 v9, s41, v8
	s_delay_alu instid0(VALU_DEP_1) | instskip(NEXT) | instid1(VALU_DEP_1)
	v_mul_hi_u32 v9, v8, v9
	v_add_nc_u32_e32 v8, v8, v9
	s_delay_alu instid0(VALU_DEP_1) | instskip(NEXT) | instid1(VALU_DEP_1)
	v_mul_hi_u32 v8, v10, v8
	v_mul_lo_u32 v8, v8, s2
	s_delay_alu instid0(VALU_DEP_1) | instskip(NEXT) | instid1(VALU_DEP_1)
	v_sub_nc_u32_e32 v8, v10, v8
	v_subrev_nc_u32_e32 v9, s2, v8
	v_cmp_le_u32_e32 vcc_lo, s2, v8
	s_delay_alu instid0(VALU_DEP_2) | instskip(NEXT) | instid1(VALU_DEP_1)
	v_cndmask_b32_e32 v8, v8, v9, vcc_lo
	v_subrev_nc_u32_e32 v9, s2, v8
	v_cmp_le_u32_e32 vcc_lo, s2, v8
	s_delay_alu instid0(VALU_DEP_2)
	v_dual_cndmask_b32 v8, v8, v9 :: v_dual_mov_b32 v9, v18
.LBB36_25:                              ;   in Loop: Header=BB36_11 Depth=1
	s_or_b32 exec_lo, exec_lo, s0
	s_delay_alu instid0(SALU_CYCLE_1)
	s_and_not1_b32 vcc_lo, exec_lo, s46
	s_cbranch_vccnz .LBB36_10
.LBB36_26:                              ;   in Loop: Header=BB36_11 Depth=1
	v_add_nc_u64_e32 v[10:11], s[20:21], v[0:1]
	s_mov_b32 s0, exec_lo
	s_delay_alu instid0(VALU_DEP_1) | instskip(NEXT) | instid1(VALU_DEP_1)
	v_mad_nc_u64_u32 v[26:27], s22, v24, v[10:11]
	v_mad_u32 v10, s23, v24, v27
	s_delay_alu instid0(VALU_DEP_1) | instskip(NEXT) | instid1(VALU_DEP_1)
	v_mad_u32 v27, s22, v25, v10
	v_or_b32_e32 v19, s3, v27
	s_delay_alu instid0(VALU_DEP_1)
	v_cmpx_ne_u64_e32 0, v[18:19]
	s_xor_b32 s41, exec_lo, s0
	s_cbranch_execz .LBB36_28
; %bb.27:                               ;   in Loop: Header=BB36_11 Depth=1
	s_ashr_i32 s42, s3, 31
	v_dual_mov_b32 v29, v18 :: v_dual_ashrrev_i32 v10, 31, v27
	s_mov_b32 s43, s42
	v_mov_b32_e32 v33, v18
	s_add_nc_u64 s[50:51], s[2:3], s[42:43]
	s_delay_alu instid0(VALU_DEP_2)
	v_mov_b32_e32 v11, v10
	s_xor_b64 s[42:43], s[50:51], s[42:43]
	v_mov_b32_e32 v37, v18
	s_cvt_f32_u32 s0, s42
	s_cvt_f32_u32 s49, s43
	s_sub_nc_u64 s[52:53], 0, s[42:43]
	v_add_nc_u64_e32 v[26:27], v[26:27], v[10:11]
	s_delay_alu instid0(SALU_CYCLE_1) | instskip(NEXT) | instid1(SALU_CYCLE_3)
	s_fmamk_f32 s0, s49, 0x4f800000, s0
	v_s_rcp_f32 s0, s0
	s_delay_alu instid0(VALU_DEP_1) | instskip(NEXT) | instid1(VALU_DEP_2)
	v_xor_b32_e32 v32, v27, v10
	v_xor_b32_e32 v28, v26, v10
	s_delay_alu instid0(TRANS32_DEP_1) | instskip(NEXT) | instid1(SALU_CYCLE_3)
	s_mul_f32 s0, s0, 0x5f7ffffc
	s_mul_f32 s49, s0, 0x2f800000
	s_delay_alu instid0(SALU_CYCLE_3) | instskip(NEXT) | instid1(SALU_CYCLE_3)
	s_trunc_f32 s49, s49
	s_fmamk_f32 s0, s49, 0xcf800000, s0
	s_cvt_u32_f32 s51, s49
	s_delay_alu instid0(SALU_CYCLE_2) | instskip(NEXT) | instid1(SALU_CYCLE_3)
	s_cvt_u32_f32 s50, s0
	s_mul_u64 s[54:55], s[52:53], s[50:51]
	s_delay_alu instid0(SALU_CYCLE_1)
	s_mul_hi_u32 s57, s50, s55
	s_mul_i32 s56, s50, s55
	s_mul_hi_u32 s0, s50, s54
	s_mul_i32 s58, s51, s54
	s_add_nc_u64 s[56:57], s[0:1], s[56:57]
	s_mul_hi_u32 s49, s51, s54
	s_mul_hi_u32 s59, s51, s55
	s_add_co_u32 s0, s56, s58
	s_add_co_ci_u32 s0, s57, s49
	s_mul_i32 s54, s51, s55
	s_add_co_ci_u32 s55, s59, 0
	s_delay_alu instid0(SALU_CYCLE_1) | instskip(NEXT) | instid1(SALU_CYCLE_1)
	s_add_nc_u64 s[54:55], s[0:1], s[54:55]
	s_add_co_u32 s50, s50, s54
	s_cselect_b32 s0, -1, 0
	s_delay_alu instid0(SALU_CYCLE_1) | instskip(SKIP_1) | instid1(SALU_CYCLE_1)
	s_cmp_lg_u32 s0, 0
	s_add_co_ci_u32 s51, s51, s55
	s_mul_u64 s[52:53], s[52:53], s[50:51]
	s_delay_alu instid0(SALU_CYCLE_1)
	s_mul_hi_u32 s55, s50, s53
	s_mul_i32 s54, s50, s53
	s_mul_hi_u32 s0, s50, s52
	s_mul_i32 s56, s51, s52
	s_add_nc_u64 s[54:55], s[0:1], s[54:55]
	s_mul_hi_u32 s49, s51, s52
	s_mul_hi_u32 s57, s51, s53
	s_add_co_u32 s0, s54, s56
	s_add_co_ci_u32 s0, s55, s49
	s_mul_i32 s52, s51, s53
	s_add_co_ci_u32 s53, s57, 0
	s_delay_alu instid0(SALU_CYCLE_1) | instskip(NEXT) | instid1(SALU_CYCLE_1)
	s_add_nc_u64 s[52:53], s[0:1], s[52:53]
	s_add_co_u32 s50, s50, s52
	s_cselect_b32 s0, -1, 0
	v_mul_hi_u32 v36, v28, s50
	s_cmp_lg_u32 s0, 0
	s_add_co_ci_u32 s0, s51, s53
	s_and_b64 s[52:53], s[50:51], s[38:39]
	v_mul_u64_e32 v[30:31], s[0:1], v[28:29]
	v_mul_u64_e32 v[26:27], s[52:53], v[32:33]
	;; [unrolled: 1-line block ×3, first 2 shown]
	s_delay_alu instid0(VALU_DEP_3) | instskip(NEXT) | instid1(VALU_DEP_1)
	v_add_nc_u64_e32 v[30:31], v[36:37], v[30:31]
	v_add_co_u32 v19, vcc_lo, v30, v26
	s_delay_alu instid0(VALU_DEP_2) | instskip(NEXT) | instid1(VALU_DEP_4)
	v_add_co_ci_u32_e32 v36, vcc_lo, v31, v27, vcc_lo
	v_add_co_ci_u32_e32 v35, vcc_lo, 0, v35, vcc_lo
	s_delay_alu instid0(VALU_DEP_1) | instskip(NEXT) | instid1(VALU_DEP_1)
	v_add_nc_u64_e32 v[26:27], v[36:37], v[34:35]
	v_mul_u64_e32 v[26:27], s[42:43], v[26:27]
	s_delay_alu instid0(VALU_DEP_1) | instskip(NEXT) | instid1(VALU_DEP_2)
	v_sub_nc_u32_e32 v19, v32, v27
	v_sub_co_u32 v26, vcc_lo, v28, v26
	s_delay_alu instid0(VALU_DEP_1) | instskip(NEXT) | instid1(VALU_DEP_3)
	v_sub_co_ci_u32_e64 v27, null, v32, v27, vcc_lo
	v_subrev_co_ci_u32_e64 v19, null, s43, v19, vcc_lo
	s_delay_alu instid0(VALU_DEP_3) | instskip(SKIP_1) | instid1(VALU_DEP_3)
	v_sub_co_u32 v28, vcc_lo, v26, s42
	v_cmp_le_u32_e64 s0, s42, v26
	v_subrev_co_ci_u32_e64 v29, null, 0, v19, vcc_lo
	v_subrev_co_ci_u32_e64 v19, null, s43, v19, vcc_lo
	s_delay_alu instid0(VALU_DEP_3) | instskip(SKIP_2) | instid1(VALU_DEP_2)
	v_cndmask_b32_e64 v30, 0, -1, s0
	v_cmp_le_u32_e64 s0, s42, v28
	v_cmp_le_u32_e32 vcc_lo, s43, v27
	v_cndmask_b32_e64 v31, 0, -1, s0
	v_cmp_le_u32_e64 s0, s43, v29
	v_cndmask_b32_e64 v33, 0, -1, vcc_lo
	v_cmp_eq_u32_e32 vcc_lo, s43, v29
	s_delay_alu instid0(VALU_DEP_3) | instskip(SKIP_1) | instid1(VALU_DEP_1)
	v_cndmask_b32_e64 v32, 0, -1, s0
	v_cmp_eq_u32_e64 s0, s43, v27
	v_dual_cndmask_b32 v31, v32, v31, vcc_lo :: v_dual_cndmask_b32 v30, v33, v30, s0
	v_sub_co_u32 v32, vcc_lo, v28, s42
	s_delay_alu instid0(VALU_DEP_1) | instskip(NEXT) | instid1(VALU_DEP_3)
	v_subrev_co_ci_u32_e64 v19, null, 0, v19, vcc_lo
	v_cmp_ne_u32_e32 vcc_lo, 0, v31
	s_delay_alu instid0(VALU_DEP_2) | instskip(SKIP_1) | instid1(VALU_DEP_2)
	v_dual_cndmask_b32 v19, v29, v19 :: v_dual_cndmask_b32 v28, v28, v32
	v_cmp_ne_u32_e32 vcc_lo, 0, v30
	v_dual_cndmask_b32 v19, v27, v19 :: v_dual_cndmask_b32 v26, v26, v28
	s_delay_alu instid0(VALU_DEP_1) | instskip(NEXT) | instid1(VALU_DEP_2)
	v_xor_b32_e32 v27, v19, v10
	v_xor_b32_e32 v26, v26, v10
	s_delay_alu instid0(VALU_DEP_1)
	v_sub_nc_u64_e32 v[10:11], v[26:27], v[10:11]
                                        ; implicit-def: $vgpr26_vgpr27
.LBB36_28:                              ;   in Loop: Header=BB36_11 Depth=1
	s_and_not1_saveexec_b32 s0, s41
	s_cbranch_execz .LBB36_9
; %bb.29:                               ;   in Loop: Header=BB36_11 Depth=1
	v_cvt_f32_u32_e32 v10, s2
	s_sub_co_i32 s41, 0, s2
	s_delay_alu instid0(VALU_DEP_1) | instskip(SKIP_1) | instid1(TRANS32_DEP_1)
	v_rcp_iflag_f32_e32 v10, v10
	v_nop
	v_mul_f32_e32 v10, 0x4f7ffffe, v10
	s_delay_alu instid0(VALU_DEP_1) | instskip(NEXT) | instid1(VALU_DEP_1)
	v_cvt_u32_f32_e32 v10, v10
	v_mul_lo_u32 v11, s41, v10
	s_delay_alu instid0(VALU_DEP_1) | instskip(NEXT) | instid1(VALU_DEP_1)
	v_mul_hi_u32 v11, v10, v11
	v_add_nc_u32_e32 v10, v10, v11
	s_delay_alu instid0(VALU_DEP_1) | instskip(NEXT) | instid1(VALU_DEP_1)
	v_mul_hi_u32 v10, v26, v10
	v_mul_lo_u32 v10, v10, s2
	s_delay_alu instid0(VALU_DEP_1) | instskip(NEXT) | instid1(VALU_DEP_1)
	v_sub_nc_u32_e32 v10, v26, v10
	v_subrev_nc_u32_e32 v11, s2, v10
	v_cmp_le_u32_e32 vcc_lo, s2, v10
	s_delay_alu instid0(VALU_DEP_2) | instskip(NEXT) | instid1(VALU_DEP_1)
	v_cndmask_b32_e32 v10, v10, v11, vcc_lo
	v_subrev_nc_u32_e32 v11, s2, v10
	v_cmp_le_u32_e32 vcc_lo, s2, v10
	s_delay_alu instid0(VALU_DEP_2)
	v_cndmask_b32_e32 v10, v10, v11, vcc_lo
	v_mov_b32_e32 v11, v18
	s_branch .LBB36_9
.LBB36_30:
	s_or_b32 exec_lo, exec_lo, s47
	v_mad_nc_u64_u32 v[2:3], v14, s16, v[2:3]
	v_cmp_ne_u64_e32 vcc_lo, v[12:13], v[14:15]
	v_mov_b64_e32 v[6:7], s[28:29]
	v_mov_b64_e32 v[4:5], s[22:23]
	s_and_b32 s0, vcc_lo, exec_lo
	s_delay_alu instid0(VALU_DEP_4) | instskip(NEXT) | instid1(VALU_DEP_1)
	v_mad_u32 v0, v15, s16, v3
	v_mad_u32 v3, v14, s17, v0
	s_and_not1_saveexec_b32 s1, s44
	s_cbranch_execz .LBB36_7
.LBB36_31:
	s_lshl_b64 s[18:19], s[16:17], 2
	v_mov_b64_e32 v[4:5], s[22:23]
	v_mov_b64_e32 v[6:7], s[18:19]
	s_or_b32 s0, s0, exec_lo
	s_or_b32 exec_lo, exec_lo, s1
	s_delay_alu instid0(SALU_CYCLE_1)
	s_and_b32 exec_lo, exec_lo, s0
	s_cbranch_execz .LBB36_44
.LBB36_32:
	v_cvt_f32_u32_e32 v0, s12
	s_sub_co_i32 s0, 0, s12
	s_sub_nc_u64 s[10:11], 0, s[10:11]
	s_mov_b32 s1, 0
	s_mov_b64 s[18:19], 0xffffffff
	v_rcp_iflag_f32_e32 v0, v0
	s_ashr_i32 s20, s3, 31
	s_sub_co_i32 s24, 0, s2
	s_mov_b32 s25, 0
	v_nop
	s_delay_alu instid0(TRANS32_DEP_1) | instskip(NEXT) | instid1(VALU_DEP_1)
	v_mul_f32_e32 v0, 0x4f7ffffe, v0
	v_cvt_u32_f32_e32 v9, v0
	s_delay_alu instid0(VALU_DEP_1) | instskip(NEXT) | instid1(VALU_DEP_1)
	v_mul_lo_u32 v0, s0, v9
	v_mul_hi_u32 v10, v9, v0
	v_lshl_add_u64 v[0:1], v[2:3], 2, s[6:7]
	v_mov_b32_e32 v8, 0
	s_ashr_i32 s6, s13, 31
	s_delay_alu instid0(VALU_DEP_3)
	v_add_nc_u32_e32 v16, v9, v10
	s_branch .LBB36_35
.LBB36_33:                              ;   in Loop: Header=BB36_35 Depth=1
	s_or_b32 exec_lo, exec_lo, s0
	s_delay_alu instid0(VALU_DEP_1) | instskip(NEXT) | instid1(VALU_DEP_1)
	v_ashrrev_i32_e32 v9, 31, v15
	v_and_b32_e32 v13, s3, v9
	v_and_b32_e32 v12, s2, v9
	s_delay_alu instid0(VALU_DEP_1) | instskip(NEXT) | instid1(VALU_DEP_1)
	v_add_nc_u64_e32 v[12:13], v[12:13], v[14:15]
	v_sub_nc_u64_e32 v[14:15], s[2:3], v[12:13]
	v_cmp_gt_i64_e32 vcc_lo, s[8:9], v[12:13]
	s_delay_alu instid0(VALU_DEP_2)
	v_dual_cndmask_b32 v13, v15, v13 :: v_dual_cndmask_b32 v12, v14, v12
.LBB36_34:                              ;   in Loop: Header=BB36_35 Depth=1
	v_mul_u64_e32 v[10:11], s[8:9], v[10:11]
	v_add_nc_u64_e32 v[2:3], s[16:17], v[2:3]
	s_delay_alu instid0(VALU_DEP_1) | instskip(SKIP_1) | instid1(VALU_DEP_3)
	v_cmp_le_i64_e32 vcc_lo, s[14:15], v[2:3]
	s_or_b32 s25, vcc_lo, s25
	v_lshl_add_u64 v[10:11], v[10:11], 2, s[4:5]
	s_delay_alu instid0(VALU_DEP_1)
	v_lshl_add_u64 v[10:11], v[12:13], 2, v[10:11]
	global_load_b32 v9, v[10:11], off
	s_wait_loadcnt 0x0
	global_store_b32 v[0:1], v9, off
	s_wait_xcnt 0x0
	v_add_nc_u64_e32 v[0:1], v[0:1], v[6:7]
	s_and_not1_b32 exec_lo, exec_lo, s25
	s_cbranch_execz .LBB36_44
.LBB36_35:                              ; =>This Inner Loop Header: Depth=1
	v_or_b32_e32 v9, s13, v3
                                        ; implicit-def: $vgpr10_vgpr11
	s_mov_b32 s0, exec_lo
	s_delay_alu instid0(VALU_DEP_1)
	v_cmpx_ne_u64_e32 0, v[8:9]
	s_xor_b32 s21, exec_lo, s0
	s_cbranch_execnz .LBB36_38
; %bb.36:                               ;   in Loop: Header=BB36_35 Depth=1
	s_and_not1_saveexec_b32 s0, s21
	s_cbranch_execnz .LBB36_39
.LBB36_37:                              ;   in Loop: Header=BB36_35 Depth=1
	s_or_b32 exec_lo, exec_lo, s0
	v_mov_b64_e32 v[12:13], 0
	s_and_not1_b32 vcc_lo, exec_lo, s33
	s_cbranch_vccnz .LBB36_34
	s_branch .LBB36_40
.LBB36_38:                              ;   in Loop: Header=BB36_35 Depth=1
	s_mov_b32 s7, s6
	v_dual_mov_b32 v15, v8 :: v_dual_ashrrev_i32 v10, 31, v3
	s_add_nc_u64 s[22:23], s[12:13], s[6:7]
	v_mov_b32_e32 v25, v8
	s_xor_b64 s[22:23], s[22:23], s[6:7]
	s_delay_alu instid0(VALU_DEP_2) | instskip(SKIP_3) | instid1(VALU_DEP_1)
	v_mov_b32_e32 v11, v10
	s_cvt_f32_u32 s0, s22
	s_cvt_f32_u32 s7, s23
	s_sub_nc_u64 s[28:29], 0, s[22:23]
	v_add_nc_u64_e32 v[12:13], v[2:3], v[10:11]
	s_delay_alu instid0(SALU_CYCLE_1) | instskip(SKIP_1) | instid1(SALU_CYCLE_2)
	s_fmamk_f32 s0, s7, 0x4f800000, s0
	v_mov_b32_e32 v21, v8
	v_s_rcp_f32 s0, s0
	s_delay_alu instid0(VALU_DEP_2) | instskip(NEXT) | instid1(VALU_DEP_3)
	v_xor_b32_e32 v14, v12, v10
	v_xor_b32_e32 v20, v13, v10
	;; [unrolled: 1-line block ×3, first 2 shown]
	s_delay_alu instid0(TRANS32_DEP_1) | instskip(NEXT) | instid1(SALU_CYCLE_3)
	s_mul_f32 s0, s0, 0x5f7ffffc
	s_mul_f32 s7, s0, 0x2f800000
	s_delay_alu instid0(SALU_CYCLE_3) | instskip(NEXT) | instid1(SALU_CYCLE_3)
	s_trunc_f32 s7, s7
	s_fmamk_f32 s0, s7, 0xcf800000, s0
	s_cvt_u32_f32 s27, s7
	s_delay_alu instid0(SALU_CYCLE_2) | instskip(NEXT) | instid1(SALU_CYCLE_3)
	s_cvt_u32_f32 s26, s0
	s_mul_u64 s[30:31], s[28:29], s[26:27]
	s_delay_alu instid0(SALU_CYCLE_1)
	s_mul_hi_u32 s35, s26, s31
	s_mul_i32 s34, s26, s31
	s_mul_hi_u32 s0, s26, s30
	s_mul_i32 s36, s27, s30
	s_add_nc_u64 s[34:35], s[0:1], s[34:35]
	s_mul_hi_u32 s7, s27, s30
	s_mul_hi_u32 s37, s27, s31
	s_add_co_u32 s0, s34, s36
	s_add_co_ci_u32 s0, s35, s7
	s_mul_i32 s30, s27, s31
	s_add_co_ci_u32 s31, s37, 0
	s_delay_alu instid0(SALU_CYCLE_1) | instskip(NEXT) | instid1(SALU_CYCLE_1)
	s_add_nc_u64 s[30:31], s[0:1], s[30:31]
	s_add_co_u32 s26, s26, s30
	s_cselect_b32 s0, -1, 0
	s_delay_alu instid0(SALU_CYCLE_1) | instskip(SKIP_1) | instid1(SALU_CYCLE_1)
	s_cmp_lg_u32 s0, 0
	s_add_co_ci_u32 s27, s27, s31
	s_mul_u64 s[28:29], s[28:29], s[26:27]
	s_delay_alu instid0(SALU_CYCLE_1)
	s_mul_hi_u32 s31, s26, s29
	s_mul_i32 s30, s26, s29
	s_mul_hi_u32 s0, s26, s28
	s_mul_i32 s34, s27, s28
	s_add_nc_u64 s[30:31], s[0:1], s[30:31]
	s_mul_hi_u32 s7, s27, s28
	s_mul_hi_u32 s35, s27, s29
	s_add_co_u32 s0, s30, s34
	s_add_co_ci_u32 s0, s31, s7
	s_mul_i32 s28, s27, s29
	s_add_co_ci_u32 s29, s35, 0
	s_delay_alu instid0(SALU_CYCLE_1) | instskip(NEXT) | instid1(SALU_CYCLE_1)
	s_add_nc_u64 s[28:29], s[0:1], s[28:29]
	s_add_co_u32 s26, s26, s28
	s_cselect_b32 s0, -1, 0
	v_mul_hi_u32 v24, v14, s26
	s_cmp_lg_u32 s0, 0
	s_add_co_ci_u32 s0, s27, s29
	s_and_b64 s[28:29], s[26:27], s[18:19]
	v_mul_u64_e32 v[18:19], s[0:1], v[14:15]
	v_mul_u64_e32 v[12:13], s[28:29], v[20:21]
	;; [unrolled: 1-line block ×3, first 2 shown]
	s_delay_alu instid0(VALU_DEP_3) | instskip(NEXT) | instid1(VALU_DEP_1)
	v_add_nc_u64_e32 v[18:19], v[24:25], v[18:19]
	v_add_co_u32 v9, vcc_lo, v18, v12
	s_delay_alu instid0(VALU_DEP_2) | instskip(NEXT) | instid1(VALU_DEP_4)
	v_add_co_ci_u32_e32 v24, vcc_lo, v19, v13, vcc_lo
	v_add_co_ci_u32_e32 v23, vcc_lo, 0, v23, vcc_lo
	s_delay_alu instid0(VALU_DEP_1) | instskip(NEXT) | instid1(VALU_DEP_1)
	v_add_nc_u64_e32 v[12:13], v[24:25], v[22:23]
	v_mul_u64_e32 v[18:19], s[22:23], v[12:13]
	s_delay_alu instid0(VALU_DEP_1) | instskip(NEXT) | instid1(VALU_DEP_2)
	v_sub_nc_u32_e32 v9, v20, v19
	v_sub_co_u32 v11, vcc_lo, v14, v18
	s_delay_alu instid0(VALU_DEP_1) | instskip(NEXT) | instid1(VALU_DEP_3)
	v_sub_co_ci_u32_e64 v17, null, v20, v19, vcc_lo
	v_subrev_co_ci_u32_e64 v9, null, s23, v9, vcc_lo
	s_delay_alu instid0(VALU_DEP_3) | instskip(SKIP_1) | instid1(VALU_DEP_3)
	v_sub_co_u32 v14, s0, v11, s22
	v_add_nc_u64_e32 v[18:19], 1, v[12:13]
	v_subrev_co_ci_u32_e64 v9, null, 0, v9, s0
	s_delay_alu instid0(VALU_DEP_3) | instskip(SKIP_1) | instid1(VALU_DEP_3)
	v_cmp_le_u32_e32 vcc_lo, s22, v14
	v_cndmask_b32_e64 v14, 0, -1, vcc_lo
	v_cmp_le_u32_e32 vcc_lo, s23, v9
	v_cndmask_b32_e64 v15, 0, -1, vcc_lo
	;; [unrolled: 2-line block ×4, first 2 shown]
	v_cmp_eq_u32_e32 vcc_lo, s23, v9
	v_cndmask_b32_e32 v9, v15, v14, vcc_lo
	v_cmp_eq_u32_e32 vcc_lo, s23, v17
	v_add_nc_u64_e32 v[14:15], 2, v[12:13]
	v_cndmask_b32_e32 v11, v20, v11, vcc_lo
	s_delay_alu instid0(VALU_DEP_4) | instskip(NEXT) | instid1(VALU_DEP_2)
	v_cmp_ne_u32_e32 vcc_lo, 0, v9
	v_cmp_ne_u32_e64 s0, 0, v11
	s_delay_alu instid0(VALU_DEP_4) | instskip(NEXT) | instid1(VALU_DEP_1)
	v_dual_cndmask_b32 v9, v19, v15, vcc_lo :: v_dual_cndmask_b32 v11, v18, v14, vcc_lo
	v_dual_cndmask_b32 v12, v12, v11, s0 :: v_dual_mov_b32 v11, v10
	s_delay_alu instid0(VALU_DEP_1) | instskip(NEXT) | instid1(VALU_DEP_1)
	v_dual_cndmask_b32 v9, v13, v9, s0 :: v_dual_bitop2_b32 v12, v12, v10 bitop3:0x14
	v_xor_b32_e32 v13, v9, v10
	s_delay_alu instid0(VALU_DEP_1)
	v_sub_nc_u64_e32 v[10:11], v[12:13], v[10:11]
	s_and_not1_saveexec_b32 s0, s21
	s_cbranch_execz .LBB36_37
.LBB36_39:                              ;   in Loop: Header=BB36_35 Depth=1
	v_mul_hi_u32 v9, v2, v16
	s_delay_alu instid0(VALU_DEP_1) | instskip(NEXT) | instid1(VALU_DEP_1)
	v_mul_lo_u32 v10, v9, s12
	v_dual_add_nc_u32 v11, 1, v9 :: v_dual_sub_nc_u32 v10, v2, v10
	s_delay_alu instid0(VALU_DEP_1) | instskip(SKIP_1) | instid1(VALU_DEP_2)
	v_subrev_nc_u32_e32 v12, s12, v10
	v_cmp_le_u32_e32 vcc_lo, s12, v10
	v_dual_cndmask_b32 v10, v10, v12 :: v_dual_cndmask_b32 v9, v9, v11
	s_delay_alu instid0(VALU_DEP_1) | instskip(NEXT) | instid1(VALU_DEP_2)
	v_cmp_le_u32_e32 vcc_lo, s12, v10
	v_add_nc_u32_e32 v11, 1, v9
	s_delay_alu instid0(VALU_DEP_1)
	v_dual_cndmask_b32 v10, v9, v11 :: v_dual_mov_b32 v11, v8
	s_or_b32 exec_lo, exec_lo, s0
	v_mov_b64_e32 v[12:13], 0
	s_and_not1_b32 vcc_lo, exec_lo, s33
	s_cbranch_vccnz .LBB36_34
.LBB36_40:                              ;   in Loop: Header=BB36_35 Depth=1
	v_add_nc_u64_e32 v[12:13], s[10:11], v[2:3]
                                        ; implicit-def: $vgpr14_vgpr15
	s_mov_b32 s0, exec_lo
	s_delay_alu instid0(VALU_DEP_1) | instskip(NEXT) | instid1(VALU_DEP_1)
	v_mad_nc_u64_u32 v[12:13], v4, v10, v[12:13]
	v_mad_u32 v9, v5, v10, v13
	s_delay_alu instid0(VALU_DEP_1) | instskip(NEXT) | instid1(VALU_DEP_1)
	v_mad_u32 v13, v4, v11, v9
	v_or_b32_e32 v9, s3, v13
	s_delay_alu instid0(VALU_DEP_1)
	v_cmpx_ne_u64_e32 0, v[8:9]
	s_xor_b32 s7, exec_lo, s0
	s_cbranch_execz .LBB36_42
; %bb.41:                               ;   in Loop: Header=BB36_35 Depth=1
	s_mov_b32 s21, s20
	v_dual_mov_b32 v19, v8 :: v_dual_ashrrev_i32 v14, 31, v13
	s_add_nc_u64 s[22:23], s[2:3], s[20:21]
	s_delay_alu instid0(SALU_CYCLE_1) | instskip(NEXT) | instid1(VALU_DEP_1)
	s_xor_b64 s[22:23], s[22:23], s[20:21]
	v_mov_b32_e32 v15, v14
	s_cvt_f32_u32 s0, s22
	s_cvt_f32_u32 s21, s23
	s_sub_nc_u64 s[28:29], 0, s[22:23]
	s_delay_alu instid0(VALU_DEP_1) | instskip(NEXT) | instid1(SALU_CYCLE_1)
	v_add_nc_u64_e32 v[12:13], v[12:13], v[14:15]
	s_fmamk_f32 s0, s21, 0x4f800000, s0
	v_mov_b32_e32 v23, v8
	s_delay_alu instid0(SALU_CYCLE_2) | instskip(NEXT) | instid1(VALU_DEP_2)
	v_s_rcp_f32 s0, s0
	v_xor_b32_e32 v18, v12, v14
	s_delay_alu instid0(VALU_DEP_3) | instskip(NEXT) | instid1(TRANS32_DEP_1)
	v_dual_mov_b32 v27, v8 :: v_dual_bitop2_b32 v22, v13, v14 bitop3:0x14
	s_mul_f32 s0, s0, 0x5f7ffffc
	s_delay_alu instid0(SALU_CYCLE_3) | instskip(NEXT) | instid1(SALU_CYCLE_3)
	s_mul_f32 s21, s0, 0x2f800000
	s_trunc_f32 s21, s21
	s_delay_alu instid0(SALU_CYCLE_3) | instskip(SKIP_1) | instid1(SALU_CYCLE_2)
	s_fmamk_f32 s0, s21, 0xcf800000, s0
	s_cvt_u32_f32 s27, s21
	s_cvt_u32_f32 s26, s0
	s_delay_alu instid0(SALU_CYCLE_3) | instskip(NEXT) | instid1(SALU_CYCLE_1)
	s_mul_u64 s[30:31], s[28:29], s[26:27]
	s_mul_hi_u32 s35, s26, s31
	s_mul_i32 s34, s26, s31
	s_mul_hi_u32 s0, s26, s30
	s_mul_i32 s36, s27, s30
	s_add_nc_u64 s[34:35], s[0:1], s[34:35]
	s_mul_hi_u32 s21, s27, s30
	s_mul_hi_u32 s37, s27, s31
	s_add_co_u32 s0, s34, s36
	s_add_co_ci_u32 s0, s35, s21
	s_mul_i32 s30, s27, s31
	s_add_co_ci_u32 s31, s37, 0
	s_delay_alu instid0(SALU_CYCLE_1) | instskip(NEXT) | instid1(SALU_CYCLE_1)
	s_add_nc_u64 s[30:31], s[0:1], s[30:31]
	s_add_co_u32 s26, s26, s30
	s_cselect_b32 s0, -1, 0
	s_delay_alu instid0(SALU_CYCLE_1) | instskip(SKIP_1) | instid1(SALU_CYCLE_1)
	s_cmp_lg_u32 s0, 0
	s_add_co_ci_u32 s27, s27, s31
	s_mul_u64 s[28:29], s[28:29], s[26:27]
	s_delay_alu instid0(SALU_CYCLE_1)
	s_mul_hi_u32 s31, s26, s29
	s_mul_i32 s30, s26, s29
	s_mul_hi_u32 s0, s26, s28
	s_mul_i32 s34, s27, s28
	s_add_nc_u64 s[30:31], s[0:1], s[30:31]
	s_mul_hi_u32 s21, s27, s28
	s_mul_hi_u32 s35, s27, s29
	s_add_co_u32 s0, s30, s34
	s_add_co_ci_u32 s0, s31, s21
	s_mul_i32 s28, s27, s29
	s_add_co_ci_u32 s29, s35, 0
	s_delay_alu instid0(SALU_CYCLE_1) | instskip(NEXT) | instid1(SALU_CYCLE_1)
	s_add_nc_u64 s[28:29], s[0:1], s[28:29]
	s_add_co_u32 s26, s26, s28
	s_cselect_b32 s0, -1, 0
	v_mul_hi_u32 v26, v18, s26
	s_cmp_lg_u32 s0, 0
	s_add_co_ci_u32 s0, s27, s29
	s_and_b64 s[28:29], s[26:27], s[18:19]
	v_mul_u64_e32 v[20:21], s[0:1], v[18:19]
	v_mul_u64_e32 v[12:13], s[28:29], v[22:23]
	;; [unrolled: 1-line block ×3, first 2 shown]
	s_delay_alu instid0(VALU_DEP_3) | instskip(NEXT) | instid1(VALU_DEP_1)
	v_add_nc_u64_e32 v[20:21], v[26:27], v[20:21]
	v_add_co_u32 v9, vcc_lo, v20, v12
	s_delay_alu instid0(VALU_DEP_2) | instskip(NEXT) | instid1(VALU_DEP_4)
	v_add_co_ci_u32_e32 v26, vcc_lo, v21, v13, vcc_lo
	v_add_co_ci_u32_e32 v25, vcc_lo, 0, v25, vcc_lo
	s_delay_alu instid0(VALU_DEP_1) | instskip(NEXT) | instid1(VALU_DEP_1)
	v_add_nc_u64_e32 v[12:13], v[26:27], v[24:25]
	v_mul_u64_e32 v[12:13], s[22:23], v[12:13]
	s_delay_alu instid0(VALU_DEP_1) | instskip(NEXT) | instid1(VALU_DEP_2)
	v_sub_nc_u32_e32 v9, v22, v13
	v_sub_co_u32 v12, vcc_lo, v18, v12
	s_delay_alu instid0(VALU_DEP_1) | instskip(NEXT) | instid1(VALU_DEP_3)
	v_sub_co_ci_u32_e64 v13, null, v22, v13, vcc_lo
	v_subrev_co_ci_u32_e64 v9, null, s23, v9, vcc_lo
	s_delay_alu instid0(VALU_DEP_3) | instskip(SKIP_1) | instid1(VALU_DEP_3)
	v_sub_co_u32 v17, vcc_lo, v12, s22
	v_cmp_le_u32_e64 s0, s22, v12
	v_subrev_co_ci_u32_e64 v18, null, 0, v9, vcc_lo
	v_subrev_co_ci_u32_e64 v9, null, s23, v9, vcc_lo
	s_delay_alu instid0(VALU_DEP_3) | instskip(SKIP_2) | instid1(VALU_DEP_2)
	v_cndmask_b32_e64 v19, 0, -1, s0
	v_cmp_le_u32_e64 s0, s22, v17
	v_cmp_le_u32_e32 vcc_lo, s23, v13
	v_cndmask_b32_e64 v20, 0, -1, s0
	v_cmp_le_u32_e64 s0, s23, v18
	v_cndmask_b32_e64 v22, 0, -1, vcc_lo
	v_cmp_eq_u32_e32 vcc_lo, s23, v18
	s_delay_alu instid0(VALU_DEP_3) | instskip(SKIP_1) | instid1(VALU_DEP_1)
	v_cndmask_b32_e64 v21, 0, -1, s0
	v_cmp_eq_u32_e64 s0, s23, v13
	v_dual_cndmask_b32 v20, v21, v20, vcc_lo :: v_dual_cndmask_b32 v19, v22, v19, s0
	v_sub_co_u32 v21, vcc_lo, v17, s22
	s_delay_alu instid0(VALU_DEP_1) | instskip(NEXT) | instid1(VALU_DEP_3)
	v_subrev_co_ci_u32_e64 v9, null, 0, v9, vcc_lo
	v_cmp_ne_u32_e32 vcc_lo, 0, v20
	s_delay_alu instid0(VALU_DEP_2) | instskip(NEXT) | instid1(VALU_DEP_4)
	v_cndmask_b32_e32 v9, v18, v9, vcc_lo
	v_cndmask_b32_e32 v17, v17, v21, vcc_lo
	v_cmp_ne_u32_e32 vcc_lo, 0, v19
	s_delay_alu instid0(VALU_DEP_2) | instskip(NEXT) | instid1(VALU_DEP_1)
	v_cndmask_b32_e32 v12, v12, v17, vcc_lo
	v_dual_cndmask_b32 v9, v13, v9, vcc_lo :: v_dual_bitop2_b32 v12, v12, v14 bitop3:0x14
	s_delay_alu instid0(VALU_DEP_1) | instskip(NEXT) | instid1(VALU_DEP_1)
	v_xor_b32_e32 v13, v9, v14
	v_sub_nc_u64_e32 v[14:15], v[12:13], v[14:15]
                                        ; implicit-def: $vgpr12_vgpr13
.LBB36_42:                              ;   in Loop: Header=BB36_35 Depth=1
	s_and_not1_saveexec_b32 s0, s7
	s_cbranch_execz .LBB36_33
; %bb.43:                               ;   in Loop: Header=BB36_35 Depth=1
	v_cvt_f32_u32_e32 v9, s2
	v_mov_b32_e32 v15, v8
	s_delay_alu instid0(VALU_DEP_2) | instskip(SKIP_1) | instid1(TRANS32_DEP_1)
	v_rcp_iflag_f32_e32 v9, v9
	v_nop
	v_mul_f32_e32 v9, 0x4f7ffffe, v9
	s_delay_alu instid0(VALU_DEP_1) | instskip(NEXT) | instid1(VALU_DEP_1)
	v_cvt_u32_f32_e32 v9, v9
	v_mul_lo_u32 v13, s24, v9
	s_delay_alu instid0(VALU_DEP_1) | instskip(NEXT) | instid1(VALU_DEP_1)
	v_mul_hi_u32 v13, v9, v13
	v_add_nc_u32_e32 v9, v9, v13
	s_delay_alu instid0(VALU_DEP_1) | instskip(NEXT) | instid1(VALU_DEP_1)
	v_mul_hi_u32 v9, v12, v9
	v_mul_lo_u32 v9, v9, s2
	s_delay_alu instid0(VALU_DEP_1) | instskip(NEXT) | instid1(VALU_DEP_1)
	v_sub_nc_u32_e32 v9, v12, v9
	v_subrev_nc_u32_e32 v12, s2, v9
	v_cmp_le_u32_e32 vcc_lo, s2, v9
	s_delay_alu instid0(VALU_DEP_2) | instskip(NEXT) | instid1(VALU_DEP_1)
	v_cndmask_b32_e32 v9, v9, v12, vcc_lo
	v_subrev_nc_u32_e32 v12, s2, v9
	v_cmp_le_u32_e32 vcc_lo, s2, v9
	s_delay_alu instid0(VALU_DEP_2)
	v_cndmask_b32_e32 v14, v9, v12, vcc_lo
	s_branch .LBB36_33
.LBB36_44:
	s_endpgm
	.section	.rodata,"a",@progbits
	.p2align	6, 0x0
	.amdhsa_kernel _ZN2at6native12_GLOBAL__N_121reflection_pad1d_flatIfEEvPKT_PS3_lllll
		.amdhsa_group_segment_fixed_size 0
		.amdhsa_private_segment_fixed_size 0
		.amdhsa_kernarg_size 312
		.amdhsa_user_sgpr_count 2
		.amdhsa_user_sgpr_dispatch_ptr 0
		.amdhsa_user_sgpr_queue_ptr 0
		.amdhsa_user_sgpr_kernarg_segment_ptr 1
		.amdhsa_user_sgpr_dispatch_id 0
		.amdhsa_user_sgpr_kernarg_preload_length 0
		.amdhsa_user_sgpr_kernarg_preload_offset 0
		.amdhsa_user_sgpr_private_segment_size 0
		.amdhsa_wavefront_size32 1
		.amdhsa_uses_dynamic_stack 0
		.amdhsa_enable_private_segment 0
		.amdhsa_system_sgpr_workgroup_id_x 1
		.amdhsa_system_sgpr_workgroup_id_y 0
		.amdhsa_system_sgpr_workgroup_id_z 0
		.amdhsa_system_sgpr_workgroup_info 0
		.amdhsa_system_vgpr_workitem_id 0
		.amdhsa_next_free_vgpr 38
		.amdhsa_next_free_sgpr 60
		.amdhsa_named_barrier_count 0
		.amdhsa_reserve_vcc 1
		.amdhsa_float_round_mode_32 0
		.amdhsa_float_round_mode_16_64 0
		.amdhsa_float_denorm_mode_32 3
		.amdhsa_float_denorm_mode_16_64 3
		.amdhsa_fp16_overflow 0
		.amdhsa_memory_ordered 1
		.amdhsa_forward_progress 1
		.amdhsa_inst_pref_size 49
		.amdhsa_round_robin_scheduling 0
		.amdhsa_exception_fp_ieee_invalid_op 0
		.amdhsa_exception_fp_denorm_src 0
		.amdhsa_exception_fp_ieee_div_zero 0
		.amdhsa_exception_fp_ieee_overflow 0
		.amdhsa_exception_fp_ieee_underflow 0
		.amdhsa_exception_fp_ieee_inexact 0
		.amdhsa_exception_int_div_zero 0
	.end_amdhsa_kernel
	.section	.text._ZN2at6native12_GLOBAL__N_121reflection_pad1d_flatIfEEvPKT_PS3_lllll,"axG",@progbits,_ZN2at6native12_GLOBAL__N_121reflection_pad1d_flatIfEEvPKT_PS3_lllll,comdat
.Lfunc_end36:
	.size	_ZN2at6native12_GLOBAL__N_121reflection_pad1d_flatIfEEvPKT_PS3_lllll, .Lfunc_end36-_ZN2at6native12_GLOBAL__N_121reflection_pad1d_flatIfEEvPKT_PS3_lllll
                                        ; -- End function
	.set _ZN2at6native12_GLOBAL__N_121reflection_pad1d_flatIfEEvPKT_PS3_lllll.num_vgpr, 38
	.set _ZN2at6native12_GLOBAL__N_121reflection_pad1d_flatIfEEvPKT_PS3_lllll.num_agpr, 0
	.set _ZN2at6native12_GLOBAL__N_121reflection_pad1d_flatIfEEvPKT_PS3_lllll.numbered_sgpr, 60
	.set _ZN2at6native12_GLOBAL__N_121reflection_pad1d_flatIfEEvPKT_PS3_lllll.num_named_barrier, 0
	.set _ZN2at6native12_GLOBAL__N_121reflection_pad1d_flatIfEEvPKT_PS3_lllll.private_seg_size, 0
	.set _ZN2at6native12_GLOBAL__N_121reflection_pad1d_flatIfEEvPKT_PS3_lllll.uses_vcc, 1
	.set _ZN2at6native12_GLOBAL__N_121reflection_pad1d_flatIfEEvPKT_PS3_lllll.uses_flat_scratch, 0
	.set _ZN2at6native12_GLOBAL__N_121reflection_pad1d_flatIfEEvPKT_PS3_lllll.has_dyn_sized_stack, 0
	.set _ZN2at6native12_GLOBAL__N_121reflection_pad1d_flatIfEEvPKT_PS3_lllll.has_recursion, 0
	.set _ZN2at6native12_GLOBAL__N_121reflection_pad1d_flatIfEEvPKT_PS3_lllll.has_indirect_call, 0
	.section	.AMDGPU.csdata,"",@progbits
; Kernel info:
; codeLenInByte = 6268
; TotalNumSgprs: 62
; NumVgprs: 38
; ScratchSize: 0
; MemoryBound: 0
; FloatMode: 240
; IeeeMode: 1
; LDSByteSize: 0 bytes/workgroup (compile time only)
; SGPRBlocks: 0
; VGPRBlocks: 2
; NumSGPRsForWavesPerEU: 62
; NumVGPRsForWavesPerEU: 38
; NamedBarCnt: 0
; Occupancy: 16
; WaveLimiterHint : 0
; COMPUTE_PGM_RSRC2:SCRATCH_EN: 0
; COMPUTE_PGM_RSRC2:USER_SGPR: 2
; COMPUTE_PGM_RSRC2:TRAP_HANDLER: 0
; COMPUTE_PGM_RSRC2:TGID_X_EN: 1
; COMPUTE_PGM_RSRC2:TGID_Y_EN: 0
; COMPUTE_PGM_RSRC2:TGID_Z_EN: 0
; COMPUTE_PGM_RSRC2:TIDIG_COMP_CNT: 0
	.section	.text._ZN2at6native12_GLOBAL__N_127reflection_pad1d_out_kernelIN3c107complexIdEEEEvPKT_PS6_lll,"axG",@progbits,_ZN2at6native12_GLOBAL__N_127reflection_pad1d_out_kernelIN3c107complexIdEEEEvPKT_PS6_lll,comdat
	.globl	_ZN2at6native12_GLOBAL__N_127reflection_pad1d_out_kernelIN3c107complexIdEEEEvPKT_PS6_lll ; -- Begin function _ZN2at6native12_GLOBAL__N_127reflection_pad1d_out_kernelIN3c107complexIdEEEEvPKT_PS6_lll
	.p2align	8
	.type	_ZN2at6native12_GLOBAL__N_127reflection_pad1d_out_kernelIN3c107complexIdEEEEvPKT_PS6_lll,@function
_ZN2at6native12_GLOBAL__N_127reflection_pad1d_out_kernelIN3c107complexIdEEEEvPKT_PS6_lll: ; @_ZN2at6native12_GLOBAL__N_127reflection_pad1d_out_kernelIN3c107complexIdEEEEvPKT_PS6_lll
; %bb.0:
	s_clause 0x2
	s_load_b32 s13, s[0:1], 0x34
	s_load_b64 s[2:3], s[0:1], 0x20
	s_load_b256 s[4:11], s[0:1], 0x0
	s_bfe_u32 s12, ttmp6, 0x4000c
	s_and_b32 s14, ttmp6, 15
	s_add_co_i32 s15, s12, 1
	s_getreg_b32 s12, hwreg(HW_REG_IB_STS2, 6, 4)
	s_mul_i32 s15, ttmp9, s15
	v_mov_b32_e32 v1, 0
	s_add_co_i32 s14, s14, s15
	s_mov_b32 s16, exec_lo
	s_wait_kmcnt 0x0
	s_and_b32 s13, s13, 0xffff
	s_cmp_eq_u32 s12, 0
	s_cselect_b32 s14, ttmp9, s14
	s_delay_alu instid0(SALU_CYCLE_1)
	v_mad_nc_u64_u32 v[0:1], s13, s14, v[0:1]
	s_add_nc_u64 s[14:15], s[10:11], s[8:9]
	s_mov_b32 s13, 0
	s_add_nc_u64 s[2:3], s[14:15], s[2:3]
	s_delay_alu instid0(VALU_DEP_1) | instid1(SALU_CYCLE_1)
	v_cmpx_gt_i64_e64 s[2:3], v[0:1]
	s_cbranch_execz .LBB37_2
; %bb.1:
	v_sub_nc_u64_e64 v[2:3], v[0:1], s[14:15]
	v_max_i64 v[4:5], s[10:11], 0
	s_sub_nc_u64 s[16:17], 0, s[10:11]
	v_sub_nc_u64_e64 v[8:9], v[0:1], s[10:11]
	s_add_nc_u64 s[10:11], s[14:15], s[10:11]
	s_add_nc_u64 s[0:1], s[0:1], 40
	s_lshr_b32 s14, ttmp7, 16
	v_add_nc_u64_e32 v[6:7], 1, v[2:3]
	v_not_b32_e32 v3, v3
	v_not_b32_e32 v2, v2
	v_sub_nc_u64_e32 v[10:11], 0, v[8:9]
	s_load_b32 s0, s[0:1], 0x4
	s_wait_xcnt 0x0
	s_bfe_u32 s1, ttmp6, 0x40010
	s_bfe_u32 s15, ttmp6, 0x40004
	v_max_i64 v[2:3], v[6:7], v[2:3]
	v_max_i64 v[6:7], s[16:17], 0
	s_add_co_i32 s1, s1, 1
	v_max_i64 v[8:9], v[8:9], v[10:11]
	s_bfe_u32 s16, ttmp6, 0x40008
	v_not_b32_e32 v4, v4
	v_not_b32_e32 v5, v5
	s_delay_alu instid0(VALU_DEP_1)
	v_add_nc_u64_e32 v[4:5], s[10:11], v[4:5]
	s_bfe_u32 s11, ttmp6, 0x40014
	s_and_b32 s10, ttmp7, 0xffff
	s_add_co_i32 s11, s11, 1
	s_mul_i32 s1, s10, s1
	s_mul_i32 s11, s14, s11
	s_add_co_i32 s15, s15, s1
	v_add_nc_u64_e32 v[2:3], v[0:1], v[2:3]
	v_add_nc_u64_e32 v[4:5], v[4:5], v[6:7]
	s_add_co_i32 s16, s16, s11
	s_cmp_eq_u32 s12, 0
	s_cselect_b32 s1, s14, s16
	s_wait_kmcnt 0x0
	s_mul_i32 s0, s0, s1
	s_delay_alu instid0(VALU_DEP_1) | instskip(SKIP_1) | instid1(SALU_CYCLE_1)
	v_sub_nc_u64_e32 v[2:3], v[4:5], v[2:3]
	s_cselect_b32 s1, s10, s15
	s_add_co_i32 s12, s0, s1
	s_delay_alu instid0(SALU_CYCLE_1) | instskip(NEXT) | instid1(VALU_DEP_1)
	s_mul_u64 s[0:1], s[8:9], s[12:13]
	v_lshl_add_u64 v[2:3], v[2:3], 4, s[4:5]
	s_delay_alu instid0(VALU_DEP_1) | instskip(NEXT) | instid1(VALU_DEP_1)
	v_lshl_add_u64 v[2:3], v[8:9], 4, v[2:3]
	v_lshl_add_u64 v[2:3], s[0:1], 4, v[2:3]
	s_mul_u64 s[0:1], s[2:3], s[12:13]
	s_delay_alu instid0(SALU_CYCLE_1) | instskip(SKIP_2) | instid1(SALU_CYCLE_1)
	s_lshl_b64 s[0:1], s[0:1], 4
	global_load_b128 v[2:5], v[2:3], off
	s_add_nc_u64 s[0:1], s[6:7], s[0:1]
	v_lshl_add_u64 v[0:1], v[0:1], 4, s[0:1]
	s_wait_loadcnt 0x0
	global_store_b128 v[0:1], v[2:5], off
.LBB37_2:
	s_endpgm
	.section	.rodata,"a",@progbits
	.p2align	6, 0x0
	.amdhsa_kernel _ZN2at6native12_GLOBAL__N_127reflection_pad1d_out_kernelIN3c107complexIdEEEEvPKT_PS6_lll
		.amdhsa_group_segment_fixed_size 0
		.amdhsa_private_segment_fixed_size 0
		.amdhsa_kernarg_size 296
		.amdhsa_user_sgpr_count 2
		.amdhsa_user_sgpr_dispatch_ptr 0
		.amdhsa_user_sgpr_queue_ptr 0
		.amdhsa_user_sgpr_kernarg_segment_ptr 1
		.amdhsa_user_sgpr_dispatch_id 0
		.amdhsa_user_sgpr_kernarg_preload_length 0
		.amdhsa_user_sgpr_kernarg_preload_offset 0
		.amdhsa_user_sgpr_private_segment_size 0
		.amdhsa_wavefront_size32 1
		.amdhsa_uses_dynamic_stack 0
		.amdhsa_enable_private_segment 0
		.amdhsa_system_sgpr_workgroup_id_x 1
		.amdhsa_system_sgpr_workgroup_id_y 1
		.amdhsa_system_sgpr_workgroup_id_z 1
		.amdhsa_system_sgpr_workgroup_info 0
		.amdhsa_system_vgpr_workitem_id 0
		.amdhsa_next_free_vgpr 12
		.amdhsa_next_free_sgpr 18
		.amdhsa_named_barrier_count 0
		.amdhsa_reserve_vcc 0
		.amdhsa_float_round_mode_32 0
		.amdhsa_float_round_mode_16_64 0
		.amdhsa_float_denorm_mode_32 3
		.amdhsa_float_denorm_mode_16_64 3
		.amdhsa_fp16_overflow 0
		.amdhsa_memory_ordered 1
		.amdhsa_forward_progress 1
		.amdhsa_inst_pref_size 4
		.amdhsa_round_robin_scheduling 0
		.amdhsa_exception_fp_ieee_invalid_op 0
		.amdhsa_exception_fp_denorm_src 0
		.amdhsa_exception_fp_ieee_div_zero 0
		.amdhsa_exception_fp_ieee_overflow 0
		.amdhsa_exception_fp_ieee_underflow 0
		.amdhsa_exception_fp_ieee_inexact 0
		.amdhsa_exception_int_div_zero 0
	.end_amdhsa_kernel
	.section	.text._ZN2at6native12_GLOBAL__N_127reflection_pad1d_out_kernelIN3c107complexIdEEEEvPKT_PS6_lll,"axG",@progbits,_ZN2at6native12_GLOBAL__N_127reflection_pad1d_out_kernelIN3c107complexIdEEEEvPKT_PS6_lll,comdat
.Lfunc_end37:
	.size	_ZN2at6native12_GLOBAL__N_127reflection_pad1d_out_kernelIN3c107complexIdEEEEvPKT_PS6_lll, .Lfunc_end37-_ZN2at6native12_GLOBAL__N_127reflection_pad1d_out_kernelIN3c107complexIdEEEEvPKT_PS6_lll
                                        ; -- End function
	.set _ZN2at6native12_GLOBAL__N_127reflection_pad1d_out_kernelIN3c107complexIdEEEEvPKT_PS6_lll.num_vgpr, 12
	.set _ZN2at6native12_GLOBAL__N_127reflection_pad1d_out_kernelIN3c107complexIdEEEEvPKT_PS6_lll.num_agpr, 0
	.set _ZN2at6native12_GLOBAL__N_127reflection_pad1d_out_kernelIN3c107complexIdEEEEvPKT_PS6_lll.numbered_sgpr, 18
	.set _ZN2at6native12_GLOBAL__N_127reflection_pad1d_out_kernelIN3c107complexIdEEEEvPKT_PS6_lll.num_named_barrier, 0
	.set _ZN2at6native12_GLOBAL__N_127reflection_pad1d_out_kernelIN3c107complexIdEEEEvPKT_PS6_lll.private_seg_size, 0
	.set _ZN2at6native12_GLOBAL__N_127reflection_pad1d_out_kernelIN3c107complexIdEEEEvPKT_PS6_lll.uses_vcc, 0
	.set _ZN2at6native12_GLOBAL__N_127reflection_pad1d_out_kernelIN3c107complexIdEEEEvPKT_PS6_lll.uses_flat_scratch, 0
	.set _ZN2at6native12_GLOBAL__N_127reflection_pad1d_out_kernelIN3c107complexIdEEEEvPKT_PS6_lll.has_dyn_sized_stack, 0
	.set _ZN2at6native12_GLOBAL__N_127reflection_pad1d_out_kernelIN3c107complexIdEEEEvPKT_PS6_lll.has_recursion, 0
	.set _ZN2at6native12_GLOBAL__N_127reflection_pad1d_out_kernelIN3c107complexIdEEEEvPKT_PS6_lll.has_indirect_call, 0
	.section	.AMDGPU.csdata,"",@progbits
; Kernel info:
; codeLenInByte = 428
; TotalNumSgprs: 18
; NumVgprs: 12
; ScratchSize: 0
; MemoryBound: 0
; FloatMode: 240
; IeeeMode: 1
; LDSByteSize: 0 bytes/workgroup (compile time only)
; SGPRBlocks: 0
; VGPRBlocks: 0
; NumSGPRsForWavesPerEU: 18
; NumVGPRsForWavesPerEU: 12
; NamedBarCnt: 0
; Occupancy: 16
; WaveLimiterHint : 0
; COMPUTE_PGM_RSRC2:SCRATCH_EN: 0
; COMPUTE_PGM_RSRC2:USER_SGPR: 2
; COMPUTE_PGM_RSRC2:TRAP_HANDLER: 0
; COMPUTE_PGM_RSRC2:TGID_X_EN: 1
; COMPUTE_PGM_RSRC2:TGID_Y_EN: 1
; COMPUTE_PGM_RSRC2:TGID_Z_EN: 1
; COMPUTE_PGM_RSRC2:TIDIG_COMP_CNT: 0
	.section	.text._ZN2at6native12_GLOBAL__N_121reflection_pad1d_flatIN3c107complexIdEEEEvPKT_PS6_lllll,"axG",@progbits,_ZN2at6native12_GLOBAL__N_121reflection_pad1d_flatIN3c107complexIdEEEEvPKT_PS6_lllll,comdat
	.globl	_ZN2at6native12_GLOBAL__N_121reflection_pad1d_flatIN3c107complexIdEEEEvPKT_PS6_lllll ; -- Begin function _ZN2at6native12_GLOBAL__N_121reflection_pad1d_flatIN3c107complexIdEEEEvPKT_PS6_lllll
	.p2align	8
	.type	_ZN2at6native12_GLOBAL__N_121reflection_pad1d_flatIN3c107complexIdEEEEvPKT_PS6_lllll,@function
_ZN2at6native12_GLOBAL__N_121reflection_pad1d_flatIN3c107complexIdEEEEvPKT_PS6_lllll: ; @_ZN2at6native12_GLOBAL__N_121reflection_pad1d_flatIN3c107complexIdEEEEvPKT_PS6_lllll
; %bb.0:
	s_clause 0x1
	s_load_b32 s2, s[0:1], 0x44
	s_load_b128 s[12:15], s[0:1], 0x28
	s_bfe_u32 s3, ttmp6, 0x4000c
	v_mov_b32_e32 v2, 0
	s_add_co_i32 s3, s3, 1
	s_and_b32 s4, ttmp6, 15
	s_mul_i32 s3, ttmp9, s3
	s_getreg_b32 s5, hwreg(HW_REG_IB_STS2, 6, 4)
	v_mov_b32_e32 v1, v2
	s_add_co_i32 s4, s4, s3
	s_wait_kmcnt 0x0
	s_and_b32 s2, s2, 0xffff
	s_cmp_eq_u32 s5, 0
	s_mul_u64 s[14:15], s[14:15], s[12:13]
	s_cselect_b32 s3, ttmp9, s4
	s_mov_b32 s4, exec_lo
	v_mad_nc_u64_u32 v[0:1], s2, s3, v[0:1]
	s_mov_b32 s3, 0
	s_delay_alu instid0(VALU_DEP_1)
	v_cmpx_gt_i64_e64 s[14:15], v[0:1]
	s_cbranch_execz .LBB38_13
; %bb.1:
	v_cvt_f32_u32_e32 v3, s12
	s_load_b256 s[4:11], s[0:1], 0x0
	s_wait_xcnt 0x0
	s_add_nc_u64 s[0:1], s[0:1], 56
	s_sub_co_i32 s16, 0, s12
	s_load_b32 s0, s[0:1], 0x0
	v_rcp_iflag_f32_e32 v3, v3
	s_wait_xcnt 0x0
	s_mov_b32 s1, s3
	s_mov_b64 s[18:19], 0xffffffff
	s_ashr_i32 s24, s13, 31
	s_mov_b32 s30, 0
	v_nop
	v_mul_f32_e32 v3, 0x4f7ffffe, v3
	s_delay_alu instid0(VALU_DEP_1) | instskip(SKIP_2) | instid1(VALU_DEP_1)
	v_cvt_u32_f32_e32 v3, v3
	s_wait_kmcnt 0x0
	s_lshl_b64 s[20:21], s[8:9], 1
	v_mul_lo_u32 v4, s16, v3
	s_add_nc_u64 s[20:21], s[20:21], -2
	s_sub_nc_u64 s[16:17], 0, s[12:13]
	s_sub_nc_u64 s[10:11], 0, s[10:11]
	s_ashr_i32 s26, s21, 31
	s_delay_alu instid0(VALU_DEP_1)
	v_mul_hi_u32 v6, v3, v4
	v_lshl_add_u64 v[4:5], v[0:1], 4, s[6:7]
	s_mul_u64 s[6:7], s[2:3], s[0:1]
	v_cmp_gt_i64_e64 s1, s[20:21], 0
	s_lshl_b64 s[22:23], s[6:7], 4
	v_add_nc_u32_e32 v12, v3, v6
	s_branch .LBB38_4
.LBB38_2:                               ;   in Loop: Header=BB38_4 Depth=1
	s_or_b32 exec_lo, exec_lo, s0
	s_delay_alu instid0(VALU_DEP_1) | instskip(NEXT) | instid1(VALU_DEP_1)
	v_ashrrev_i32_e32 v3, 31, v11
	v_and_b32_e32 v9, s21, v3
	v_and_b32_e32 v8, s20, v3
	s_delay_alu instid0(VALU_DEP_1) | instskip(NEXT) | instid1(VALU_DEP_1)
	v_add_nc_u64_e32 v[8:9], v[8:9], v[10:11]
	v_sub_nc_u64_e32 v[10:11], s[20:21], v[8:9]
	v_cmp_gt_i64_e32 vcc_lo, s[8:9], v[8:9]
	s_delay_alu instid0(VALU_DEP_2)
	v_dual_cndmask_b32 v9, v11, v9 :: v_dual_cndmask_b32 v8, v10, v8
.LBB38_3:                               ;   in Loop: Header=BB38_4 Depth=1
	v_mul_u64_e32 v[6:7], s[8:9], v[6:7]
	v_add_nc_u64_e32 v[0:1], s[6:7], v[0:1]
	s_delay_alu instid0(VALU_DEP_1) | instskip(SKIP_1) | instid1(VALU_DEP_3)
	v_cmp_le_i64_e32 vcc_lo, s[14:15], v[0:1]
	s_or_b32 s30, vcc_lo, s30
	v_lshl_add_u64 v[6:7], v[6:7], 4, s[4:5]
	s_delay_alu instid0(VALU_DEP_1)
	v_lshl_add_u64 v[6:7], v[8:9], 4, v[6:7]
	global_load_b128 v[6:9], v[6:7], off
	s_wait_loadcnt 0x0
	global_store_b128 v[4:5], v[6:9], off
	s_wait_xcnt 0x0
	v_add_nc_u64_e32 v[4:5], s[22:23], v[4:5]
	s_and_not1_b32 exec_lo, exec_lo, s30
	s_cbranch_execz .LBB38_13
.LBB38_4:                               ; =>This Inner Loop Header: Depth=1
	v_or_b32_e32 v3, s13, v1
                                        ; implicit-def: $vgpr6_vgpr7
	s_mov_b32 s0, exec_lo
	s_delay_alu instid0(VALU_DEP_1)
	v_cmpx_ne_u64_e32 0, v[2:3]
	s_xor_b32 s27, exec_lo, s0
	s_cbranch_execnz .LBB38_7
; %bb.5:                                ;   in Loop: Header=BB38_4 Depth=1
	s_and_not1_saveexec_b32 s0, s27
	s_cbranch_execnz .LBB38_8
.LBB38_6:                               ;   in Loop: Header=BB38_4 Depth=1
	s_or_b32 exec_lo, exec_lo, s0
	v_mov_b64_e32 v[8:9], 0
	s_and_not1_b32 vcc_lo, exec_lo, s1
	s_cbranch_vccnz .LBB38_3
	s_branch .LBB38_9
.LBB38_7:                               ;   in Loop: Header=BB38_4 Depth=1
	s_mov_b32 s25, s24
	v_dual_mov_b32 v11, v2 :: v_dual_ashrrev_i32 v6, 31, v1
	s_add_nc_u64 s[28:29], s[12:13], s[24:25]
	s_delay_alu instid0(SALU_CYCLE_1) | instskip(NEXT) | instid1(VALU_DEP_1)
	s_xor_b64 s[28:29], s[28:29], s[24:25]
	v_mov_b32_e32 v7, v6
	s_cvt_f32_u32 s0, s28
	s_cvt_f32_u32 s2, s29
	s_sub_nc_u64 s[36:37], 0, s[28:29]
	s_delay_alu instid0(VALU_DEP_1) | instskip(NEXT) | instid1(SALU_CYCLE_1)
	v_add_nc_u64_e32 v[8:9], v[0:1], v[6:7]
	s_fmamk_f32 s0, s2, 0x4f800000, s0
	v_mov_b32_e32 v17, v2
	s_delay_alu instid0(SALU_CYCLE_2) | instskip(NEXT) | instid1(VALU_DEP_2)
	v_s_rcp_f32 s0, s0
	v_xor_b32_e32 v10, v8, v6
	s_delay_alu instid0(VALU_DEP_3) | instskip(NEXT) | instid1(TRANS32_DEP_1)
	v_dual_mov_b32 v21, v2 :: v_dual_bitop2_b32 v16, v9, v6 bitop3:0x14
	s_mul_f32 s0, s0, 0x5f7ffffc
	s_delay_alu instid0(SALU_CYCLE_3) | instskip(NEXT) | instid1(SALU_CYCLE_3)
	s_mul_f32 s2, s0, 0x2f800000
	s_trunc_f32 s2, s2
	s_delay_alu instid0(SALU_CYCLE_3) | instskip(SKIP_1) | instid1(SALU_CYCLE_2)
	s_fmamk_f32 s0, s2, 0xcf800000, s0
	s_cvt_u32_f32 s35, s2
	s_cvt_u32_f32 s34, s0
	s_delay_alu instid0(SALU_CYCLE_3) | instskip(NEXT) | instid1(SALU_CYCLE_1)
	s_mul_u64 s[38:39], s[36:37], s[34:35]
	s_mul_hi_u32 s41, s34, s39
	s_mul_i32 s40, s34, s39
	s_mul_hi_u32 s2, s34, s38
	s_mul_i32 s25, s35, s38
	s_add_nc_u64 s[40:41], s[2:3], s[40:41]
	s_mul_hi_u32 s0, s35, s38
	s_mul_hi_u32 s31, s35, s39
	s_add_co_u32 s2, s40, s25
	s_add_co_ci_u32 s2, s41, s0
	s_mul_i32 s38, s35, s39
	s_add_co_ci_u32 s39, s31, 0
	s_delay_alu instid0(SALU_CYCLE_1) | instskip(NEXT) | instid1(SALU_CYCLE_1)
	s_add_nc_u64 s[38:39], s[2:3], s[38:39]
	s_add_co_u32 s34, s34, s38
	s_cselect_b32 s0, -1, 0
	s_delay_alu instid0(SALU_CYCLE_1) | instskip(SKIP_1) | instid1(SALU_CYCLE_1)
	s_cmp_lg_u32 s0, 0
	s_add_co_ci_u32 s35, s35, s39
	s_mul_u64 s[36:37], s[36:37], s[34:35]
	s_delay_alu instid0(SALU_CYCLE_1)
	s_mul_hi_u32 s39, s34, s37
	s_mul_i32 s38, s34, s37
	s_mul_hi_u32 s2, s34, s36
	s_mul_i32 s25, s35, s36
	s_add_nc_u64 s[38:39], s[2:3], s[38:39]
	s_mul_hi_u32 s0, s35, s36
	s_mul_hi_u32 s31, s35, s37
	s_add_co_u32 s2, s38, s25
	s_add_co_ci_u32 s2, s39, s0
	s_mul_i32 s36, s35, s37
	s_add_co_ci_u32 s37, s31, 0
	s_delay_alu instid0(SALU_CYCLE_1) | instskip(NEXT) | instid1(SALU_CYCLE_1)
	s_add_nc_u64 s[36:37], s[2:3], s[36:37]
	s_add_co_u32 s0, s34, s36
	s_cselect_b32 s2, -1, 0
	v_mul_hi_u32 v20, v10, s0
	s_cmp_lg_u32 s2, 0
	s_add_co_ci_u32 s2, s35, s37
	s_and_b64 s[34:35], s[0:1], s[18:19]
	v_mul_u64_e32 v[14:15], s[2:3], v[10:11]
	v_mul_u64_e32 v[8:9], s[34:35], v[16:17]
	;; [unrolled: 1-line block ×3, first 2 shown]
	s_delay_alu instid0(VALU_DEP_3) | instskip(NEXT) | instid1(VALU_DEP_1)
	v_add_nc_u64_e32 v[14:15], v[20:21], v[14:15]
	v_add_co_u32 v3, vcc_lo, v14, v8
	s_delay_alu instid0(VALU_DEP_2) | instskip(NEXT) | instid1(VALU_DEP_4)
	v_add_co_ci_u32_e32 v20, vcc_lo, v15, v9, vcc_lo
	v_add_co_ci_u32_e32 v19, vcc_lo, 0, v19, vcc_lo
	s_delay_alu instid0(VALU_DEP_1) | instskip(NEXT) | instid1(VALU_DEP_1)
	v_add_nc_u64_e32 v[8:9], v[20:21], v[18:19]
	v_mul_u64_e32 v[14:15], s[28:29], v[8:9]
	s_delay_alu instid0(VALU_DEP_1) | instskip(NEXT) | instid1(VALU_DEP_2)
	v_sub_nc_u32_e32 v3, v16, v15
	v_sub_co_u32 v7, vcc_lo, v10, v14
	s_delay_alu instid0(VALU_DEP_1) | instskip(NEXT) | instid1(VALU_DEP_3)
	v_sub_co_ci_u32_e64 v13, null, v16, v15, vcc_lo
	v_subrev_co_ci_u32_e64 v3, null, s29, v3, vcc_lo
	s_delay_alu instid0(VALU_DEP_3) | instskip(SKIP_1) | instid1(VALU_DEP_3)
	v_sub_co_u32 v10, s0, v7, s28
	v_add_nc_u64_e32 v[14:15], 1, v[8:9]
	v_subrev_co_ci_u32_e64 v3, null, 0, v3, s0
	s_delay_alu instid0(VALU_DEP_3) | instskip(SKIP_1) | instid1(VALU_DEP_3)
	v_cmp_le_u32_e32 vcc_lo, s28, v10
	v_cndmask_b32_e64 v10, 0, -1, vcc_lo
	v_cmp_le_u32_e32 vcc_lo, s29, v3
	v_cndmask_b32_e64 v11, 0, -1, vcc_lo
	v_cmp_le_u32_e32 vcc_lo, s28, v7
	v_cndmask_b32_e64 v7, 0, -1, vcc_lo
	v_cmp_le_u32_e32 vcc_lo, s29, v13
	v_cndmask_b32_e64 v16, 0, -1, vcc_lo
	v_cmp_eq_u32_e32 vcc_lo, s29, v3
	v_cndmask_b32_e32 v3, v11, v10, vcc_lo
	v_cmp_eq_u32_e32 vcc_lo, s29, v13
	v_add_nc_u64_e32 v[10:11], 2, v[8:9]
	v_cndmask_b32_e32 v7, v16, v7, vcc_lo
	s_delay_alu instid0(VALU_DEP_4) | instskip(NEXT) | instid1(VALU_DEP_2)
	v_cmp_ne_u32_e32 vcc_lo, 0, v3
	v_cmp_ne_u32_e64 s0, 0, v7
	s_delay_alu instid0(VALU_DEP_4) | instskip(NEXT) | instid1(VALU_DEP_1)
	v_dual_cndmask_b32 v3, v15, v11, vcc_lo :: v_dual_cndmask_b32 v7, v14, v10, vcc_lo
	v_dual_cndmask_b32 v3, v9, v3, s0 :: v_dual_bitop2_b32 v6, s24, v6 bitop3:0x14
	s_delay_alu instid0(VALU_DEP_1) | instskip(NEXT) | instid1(VALU_DEP_2)
	v_dual_cndmask_b32 v8, v8, v7, s0 :: v_dual_mov_b32 v7, v6
	v_xor_b32_e32 v9, v3, v6
	s_delay_alu instid0(VALU_DEP_2) | instskip(NEXT) | instid1(VALU_DEP_1)
	v_xor_b32_e32 v8, v8, v6
	v_sub_nc_u64_e32 v[6:7], v[8:9], v[6:7]
	s_and_not1_saveexec_b32 s0, s27
	s_cbranch_execz .LBB38_6
.LBB38_8:                               ;   in Loop: Header=BB38_4 Depth=1
	v_mul_hi_u32 v3, v0, v12
	s_delay_alu instid0(VALU_DEP_1) | instskip(NEXT) | instid1(VALU_DEP_1)
	v_mul_lo_u32 v6, v3, s12
	v_dual_add_nc_u32 v7, 1, v3 :: v_dual_sub_nc_u32 v6, v0, v6
	s_delay_alu instid0(VALU_DEP_1) | instskip(SKIP_1) | instid1(VALU_DEP_2)
	v_subrev_nc_u32_e32 v8, s12, v6
	v_cmp_le_u32_e32 vcc_lo, s12, v6
	v_dual_cndmask_b32 v6, v6, v8 :: v_dual_cndmask_b32 v3, v3, v7
	s_delay_alu instid0(VALU_DEP_1) | instskip(NEXT) | instid1(VALU_DEP_2)
	v_cmp_le_u32_e32 vcc_lo, s12, v6
	v_add_nc_u32_e32 v7, 1, v3
	s_delay_alu instid0(VALU_DEP_1)
	v_dual_cndmask_b32 v6, v3, v7 :: v_dual_mov_b32 v7, v2
	s_or_b32 exec_lo, exec_lo, s0
	v_mov_b64_e32 v[8:9], 0
	s_and_not1_b32 vcc_lo, exec_lo, s1
	s_cbranch_vccnz .LBB38_3
.LBB38_9:                               ;   in Loop: Header=BB38_4 Depth=1
	v_add_nc_u64_e32 v[8:9], s[10:11], v[0:1]
                                        ; implicit-def: $vgpr10_vgpr11
	s_mov_b32 s0, exec_lo
	s_delay_alu instid0(VALU_DEP_1) | instskip(NEXT) | instid1(VALU_DEP_1)
	v_mad_nc_u64_u32 v[8:9], s16, v6, v[8:9]
	v_mad_u32 v3, s17, v6, v9
	s_delay_alu instid0(VALU_DEP_1) | instskip(NEXT) | instid1(VALU_DEP_1)
	v_mad_u32 v9, s16, v7, v3
	v_or_b32_e32 v3, s21, v9
	s_delay_alu instid0(VALU_DEP_1)
	v_cmpx_ne_u64_e32 0, v[2:3]
	s_xor_b32 s25, exec_lo, s0
	s_cbranch_execz .LBB38_11
; %bb.10:                               ;   in Loop: Header=BB38_4 Depth=1
	s_mov_b32 s27, s26
	v_dual_mov_b32 v15, v2 :: v_dual_ashrrev_i32 v10, 31, v9
	s_add_nc_u64 s[28:29], s[20:21], s[26:27]
	v_mov_b32_e32 v23, v2
	s_xor_b64 s[28:29], s[28:29], s[26:27]
	s_delay_alu instid0(VALU_DEP_2) | instskip(SKIP_3) | instid1(VALU_DEP_1)
	v_mov_b32_e32 v11, v10
	s_cvt_f32_u32 s0, s28
	s_cvt_f32_u32 s2, s29
	s_sub_nc_u64 s[36:37], 0, s[28:29]
	v_add_nc_u64_e32 v[8:9], v[8:9], v[10:11]
	s_delay_alu instid0(SALU_CYCLE_1) | instskip(SKIP_1) | instid1(SALU_CYCLE_2)
	s_fmamk_f32 s0, s2, 0x4f800000, s0
	v_mov_b32_e32 v19, v2
	v_s_rcp_f32 s0, s0
	s_delay_alu instid0(VALU_DEP_2) | instskip(NEXT) | instid1(VALU_DEP_3)
	v_xor_b32_e32 v14, v8, v10
	v_xor_b32_e32 v18, v9, v10
	s_delay_alu instid0(TRANS32_DEP_1) | instskip(NEXT) | instid1(SALU_CYCLE_3)
	s_mul_f32 s0, s0, 0x5f7ffffc
	s_mul_f32 s2, s0, 0x2f800000
	s_delay_alu instid0(SALU_CYCLE_3) | instskip(NEXT) | instid1(SALU_CYCLE_3)
	s_trunc_f32 s2, s2
	s_fmamk_f32 s0, s2, 0xcf800000, s0
	s_cvt_u32_f32 s35, s2
	s_delay_alu instid0(SALU_CYCLE_2) | instskip(NEXT) | instid1(SALU_CYCLE_3)
	s_cvt_u32_f32 s34, s0
	s_mul_u64 s[38:39], s[36:37], s[34:35]
	s_delay_alu instid0(SALU_CYCLE_1)
	s_mul_hi_u32 s41, s34, s39
	s_mul_i32 s40, s34, s39
	s_mul_hi_u32 s2, s34, s38
	s_mul_i32 s27, s35, s38
	s_add_nc_u64 s[40:41], s[2:3], s[40:41]
	s_mul_hi_u32 s0, s35, s38
	s_mul_hi_u32 s31, s35, s39
	s_add_co_u32 s2, s40, s27
	s_add_co_ci_u32 s2, s41, s0
	s_mul_i32 s38, s35, s39
	s_add_co_ci_u32 s39, s31, 0
	s_delay_alu instid0(SALU_CYCLE_1) | instskip(NEXT) | instid1(SALU_CYCLE_1)
	s_add_nc_u64 s[38:39], s[2:3], s[38:39]
	s_add_co_u32 s34, s34, s38
	s_cselect_b32 s0, -1, 0
	s_delay_alu instid0(SALU_CYCLE_1) | instskip(SKIP_1) | instid1(SALU_CYCLE_1)
	s_cmp_lg_u32 s0, 0
	s_add_co_ci_u32 s35, s35, s39
	s_mul_u64 s[36:37], s[36:37], s[34:35]
	s_delay_alu instid0(SALU_CYCLE_1)
	s_mul_hi_u32 s39, s34, s37
	s_mul_i32 s38, s34, s37
	s_mul_hi_u32 s2, s34, s36
	s_mul_i32 s27, s35, s36
	s_add_nc_u64 s[38:39], s[2:3], s[38:39]
	s_mul_hi_u32 s0, s35, s36
	s_mul_hi_u32 s31, s35, s37
	s_add_co_u32 s2, s38, s27
	s_add_co_ci_u32 s2, s39, s0
	s_mul_i32 s36, s35, s37
	s_add_co_ci_u32 s37, s31, 0
	s_delay_alu instid0(SALU_CYCLE_1) | instskip(NEXT) | instid1(SALU_CYCLE_1)
	s_add_nc_u64 s[36:37], s[2:3], s[36:37]
	s_add_co_u32 s0, s34, s36
	s_cselect_b32 s2, -1, 0
	v_mul_hi_u32 v22, v14, s0
	s_cmp_lg_u32 s2, 0
	s_add_co_ci_u32 s2, s35, s37
	s_and_b64 s[34:35], s[0:1], s[18:19]
	v_mul_u64_e32 v[16:17], s[2:3], v[14:15]
	v_mul_u64_e32 v[8:9], s[34:35], v[18:19]
	;; [unrolled: 1-line block ×3, first 2 shown]
	s_delay_alu instid0(VALU_DEP_3) | instskip(NEXT) | instid1(VALU_DEP_1)
	v_add_nc_u64_e32 v[16:17], v[22:23], v[16:17]
	v_add_co_u32 v3, vcc_lo, v16, v8
	s_delay_alu instid0(VALU_DEP_2) | instskip(NEXT) | instid1(VALU_DEP_4)
	v_add_co_ci_u32_e32 v22, vcc_lo, v17, v9, vcc_lo
	v_add_co_ci_u32_e32 v21, vcc_lo, 0, v21, vcc_lo
	s_delay_alu instid0(VALU_DEP_1) | instskip(NEXT) | instid1(VALU_DEP_1)
	v_add_nc_u64_e32 v[8:9], v[22:23], v[20:21]
	v_mul_u64_e32 v[8:9], s[28:29], v[8:9]
	s_delay_alu instid0(VALU_DEP_1) | instskip(NEXT) | instid1(VALU_DEP_1)
	v_sub_co_u32 v8, vcc_lo, v14, v8
	v_cmp_le_u32_e64 s0, s28, v8
	s_delay_alu instid0(VALU_DEP_1) | instskip(NEXT) | instid1(VALU_DEP_4)
	v_cndmask_b32_e64 v15, 0, -1, s0
	v_sub_nc_u32_e32 v3, v18, v9
	v_sub_co_ci_u32_e64 v9, null, v18, v9, vcc_lo
	s_delay_alu instid0(VALU_DEP_2) | instskip(SKIP_1) | instid1(VALU_DEP_1)
	v_subrev_co_ci_u32_e64 v3, null, s29, v3, vcc_lo
	v_sub_co_u32 v13, vcc_lo, v8, s28
	v_subrev_co_ci_u32_e64 v14, null, 0, v3, vcc_lo
	s_delay_alu instid0(VALU_DEP_2) | instskip(SKIP_2) | instid1(VALU_DEP_3)
	v_cmp_le_u32_e64 s0, s28, v13
	v_subrev_co_ci_u32_e64 v3, null, s29, v3, vcc_lo
	v_cmp_le_u32_e32 vcc_lo, s29, v9
	v_cndmask_b32_e64 v16, 0, -1, s0
	v_cmp_le_u32_e64 s0, s29, v14
	v_cndmask_b32_e64 v18, 0, -1, vcc_lo
	v_cmp_eq_u32_e32 vcc_lo, s29, v14
	s_delay_alu instid0(VALU_DEP_3) | instskip(SKIP_1) | instid1(VALU_DEP_2)
	v_cndmask_b32_e64 v17, 0, -1, s0
	v_cmp_eq_u32_e64 s0, s29, v9
	v_cndmask_b32_e32 v16, v17, v16, vcc_lo
	v_sub_co_u32 v17, vcc_lo, v13, s28
	s_delay_alu instid0(VALU_DEP_1) | instskip(NEXT) | instid1(VALU_DEP_3)
	v_subrev_co_ci_u32_e64 v3, null, 0, v3, vcc_lo
	v_cmp_ne_u32_e32 vcc_lo, 0, v16
	v_cndmask_b32_e64 v15, v18, v15, s0
	s_delay_alu instid0(VALU_DEP_3) | instskip(NEXT) | instid1(VALU_DEP_2)
	v_dual_cndmask_b32 v3, v14, v3, vcc_lo :: v_dual_cndmask_b32 v13, v13, v17, vcc_lo
	v_cmp_ne_u32_e32 vcc_lo, 0, v15
	s_delay_alu instid0(VALU_DEP_2) | instskip(NEXT) | instid1(VALU_DEP_1)
	v_dual_cndmask_b32 v3, v9, v3 :: v_dual_cndmask_b32 v8, v8, v13
	v_xor_b32_e32 v9, v3, v10
	s_delay_alu instid0(VALU_DEP_2) | instskip(NEXT) | instid1(VALU_DEP_1)
	v_xor_b32_e32 v8, v8, v10
	v_sub_nc_u64_e32 v[10:11], v[8:9], v[10:11]
                                        ; implicit-def: $vgpr8_vgpr9
.LBB38_11:                              ;   in Loop: Header=BB38_4 Depth=1
	s_and_not1_saveexec_b32 s0, s25
	s_cbranch_execz .LBB38_2
; %bb.12:                               ;   in Loop: Header=BB38_4 Depth=1
	v_cvt_f32_u32_e32 v3, s20
	s_sub_co_i32 s2, 0, s20
	v_mov_b32_e32 v11, v2
	s_delay_alu instid0(VALU_DEP_2) | instskip(SKIP_1) | instid1(TRANS32_DEP_1)
	v_rcp_iflag_f32_e32 v3, v3
	v_nop
	v_mul_f32_e32 v3, 0x4f7ffffe, v3
	s_delay_alu instid0(VALU_DEP_1) | instskip(NEXT) | instid1(VALU_DEP_1)
	v_cvt_u32_f32_e32 v3, v3
	v_mul_lo_u32 v9, s2, v3
	s_delay_alu instid0(VALU_DEP_1) | instskip(NEXT) | instid1(VALU_DEP_1)
	v_mul_hi_u32 v9, v3, v9
	v_add_nc_u32_e32 v3, v3, v9
	s_delay_alu instid0(VALU_DEP_1) | instskip(NEXT) | instid1(VALU_DEP_1)
	v_mul_hi_u32 v3, v8, v3
	v_mul_lo_u32 v3, v3, s20
	s_delay_alu instid0(VALU_DEP_1) | instskip(NEXT) | instid1(VALU_DEP_1)
	v_sub_nc_u32_e32 v3, v8, v3
	v_subrev_nc_u32_e32 v8, s20, v3
	v_cmp_le_u32_e32 vcc_lo, s20, v3
	s_delay_alu instid0(VALU_DEP_2) | instskip(NEXT) | instid1(VALU_DEP_1)
	v_cndmask_b32_e32 v3, v3, v8, vcc_lo
	v_subrev_nc_u32_e32 v8, s20, v3
	v_cmp_le_u32_e32 vcc_lo, s20, v3
	s_delay_alu instid0(VALU_DEP_2)
	v_cndmask_b32_e32 v10, v3, v8, vcc_lo
	s_branch .LBB38_2
.LBB38_13:
	s_endpgm
	.section	.rodata,"a",@progbits
	.p2align	6, 0x0
	.amdhsa_kernel _ZN2at6native12_GLOBAL__N_121reflection_pad1d_flatIN3c107complexIdEEEEvPKT_PS6_lllll
		.amdhsa_group_segment_fixed_size 0
		.amdhsa_private_segment_fixed_size 0
		.amdhsa_kernarg_size 312
		.amdhsa_user_sgpr_count 2
		.amdhsa_user_sgpr_dispatch_ptr 0
		.amdhsa_user_sgpr_queue_ptr 0
		.amdhsa_user_sgpr_kernarg_segment_ptr 1
		.amdhsa_user_sgpr_dispatch_id 0
		.amdhsa_user_sgpr_kernarg_preload_length 0
		.amdhsa_user_sgpr_kernarg_preload_offset 0
		.amdhsa_user_sgpr_private_segment_size 0
		.amdhsa_wavefront_size32 1
		.amdhsa_uses_dynamic_stack 0
		.amdhsa_enable_private_segment 0
		.amdhsa_system_sgpr_workgroup_id_x 1
		.amdhsa_system_sgpr_workgroup_id_y 0
		.amdhsa_system_sgpr_workgroup_id_z 0
		.amdhsa_system_sgpr_workgroup_info 0
		.amdhsa_system_vgpr_workitem_id 0
		.amdhsa_next_free_vgpr 24
		.amdhsa_next_free_sgpr 42
		.amdhsa_named_barrier_count 0
		.amdhsa_reserve_vcc 1
		.amdhsa_float_round_mode_32 0
		.amdhsa_float_round_mode_16_64 0
		.amdhsa_float_denorm_mode_32 3
		.amdhsa_float_denorm_mode_16_64 3
		.amdhsa_fp16_overflow 0
		.amdhsa_memory_ordered 1
		.amdhsa_forward_progress 1
		.amdhsa_inst_pref_size 15
		.amdhsa_round_robin_scheduling 0
		.amdhsa_exception_fp_ieee_invalid_op 0
		.amdhsa_exception_fp_denorm_src 0
		.amdhsa_exception_fp_ieee_div_zero 0
		.amdhsa_exception_fp_ieee_overflow 0
		.amdhsa_exception_fp_ieee_underflow 0
		.amdhsa_exception_fp_ieee_inexact 0
		.amdhsa_exception_int_div_zero 0
	.end_amdhsa_kernel
	.section	.text._ZN2at6native12_GLOBAL__N_121reflection_pad1d_flatIN3c107complexIdEEEEvPKT_PS6_lllll,"axG",@progbits,_ZN2at6native12_GLOBAL__N_121reflection_pad1d_flatIN3c107complexIdEEEEvPKT_PS6_lllll,comdat
.Lfunc_end38:
	.size	_ZN2at6native12_GLOBAL__N_121reflection_pad1d_flatIN3c107complexIdEEEEvPKT_PS6_lllll, .Lfunc_end38-_ZN2at6native12_GLOBAL__N_121reflection_pad1d_flatIN3c107complexIdEEEEvPKT_PS6_lllll
                                        ; -- End function
	.set _ZN2at6native12_GLOBAL__N_121reflection_pad1d_flatIN3c107complexIdEEEEvPKT_PS6_lllll.num_vgpr, 24
	.set _ZN2at6native12_GLOBAL__N_121reflection_pad1d_flatIN3c107complexIdEEEEvPKT_PS6_lllll.num_agpr, 0
	.set _ZN2at6native12_GLOBAL__N_121reflection_pad1d_flatIN3c107complexIdEEEEvPKT_PS6_lllll.numbered_sgpr, 42
	.set _ZN2at6native12_GLOBAL__N_121reflection_pad1d_flatIN3c107complexIdEEEEvPKT_PS6_lllll.num_named_barrier, 0
	.set _ZN2at6native12_GLOBAL__N_121reflection_pad1d_flatIN3c107complexIdEEEEvPKT_PS6_lllll.private_seg_size, 0
	.set _ZN2at6native12_GLOBAL__N_121reflection_pad1d_flatIN3c107complexIdEEEEvPKT_PS6_lllll.uses_vcc, 1
	.set _ZN2at6native12_GLOBAL__N_121reflection_pad1d_flatIN3c107complexIdEEEEvPKT_PS6_lllll.uses_flat_scratch, 0
	.set _ZN2at6native12_GLOBAL__N_121reflection_pad1d_flatIN3c107complexIdEEEEvPKT_PS6_lllll.has_dyn_sized_stack, 0
	.set _ZN2at6native12_GLOBAL__N_121reflection_pad1d_flatIN3c107complexIdEEEEvPKT_PS6_lllll.has_recursion, 0
	.set _ZN2at6native12_GLOBAL__N_121reflection_pad1d_flatIN3c107complexIdEEEEvPKT_PS6_lllll.has_indirect_call, 0
	.section	.AMDGPU.csdata,"",@progbits
; Kernel info:
; codeLenInByte = 1896
; TotalNumSgprs: 44
; NumVgprs: 24
; ScratchSize: 0
; MemoryBound: 0
; FloatMode: 240
; IeeeMode: 1
; LDSByteSize: 0 bytes/workgroup (compile time only)
; SGPRBlocks: 0
; VGPRBlocks: 1
; NumSGPRsForWavesPerEU: 44
; NumVGPRsForWavesPerEU: 24
; NamedBarCnt: 0
; Occupancy: 16
; WaveLimiterHint : 0
; COMPUTE_PGM_RSRC2:SCRATCH_EN: 0
; COMPUTE_PGM_RSRC2:USER_SGPR: 2
; COMPUTE_PGM_RSRC2:TRAP_HANDLER: 0
; COMPUTE_PGM_RSRC2:TGID_X_EN: 1
; COMPUTE_PGM_RSRC2:TGID_Y_EN: 0
; COMPUTE_PGM_RSRC2:TGID_Z_EN: 0
; COMPUTE_PGM_RSRC2:TIDIG_COMP_CNT: 0
	.section	.text._ZN2at6native12_GLOBAL__N_127reflection_pad1d_out_kernelIN3c107complexIfEEEEvPKT_PS6_lll,"axG",@progbits,_ZN2at6native12_GLOBAL__N_127reflection_pad1d_out_kernelIN3c107complexIfEEEEvPKT_PS6_lll,comdat
	.globl	_ZN2at6native12_GLOBAL__N_127reflection_pad1d_out_kernelIN3c107complexIfEEEEvPKT_PS6_lll ; -- Begin function _ZN2at6native12_GLOBAL__N_127reflection_pad1d_out_kernelIN3c107complexIfEEEEvPKT_PS6_lll
	.p2align	8
	.type	_ZN2at6native12_GLOBAL__N_127reflection_pad1d_out_kernelIN3c107complexIfEEEEvPKT_PS6_lll,@function
_ZN2at6native12_GLOBAL__N_127reflection_pad1d_out_kernelIN3c107complexIfEEEEvPKT_PS6_lll: ; @_ZN2at6native12_GLOBAL__N_127reflection_pad1d_out_kernelIN3c107complexIfEEEEvPKT_PS6_lll
; %bb.0:
	s_clause 0x2
	s_load_b32 s13, s[0:1], 0x34
	s_load_b64 s[2:3], s[0:1], 0x20
	s_load_b256 s[4:11], s[0:1], 0x0
	s_bfe_u32 s12, ttmp6, 0x4000c
	s_and_b32 s14, ttmp6, 15
	s_add_co_i32 s15, s12, 1
	s_getreg_b32 s12, hwreg(HW_REG_IB_STS2, 6, 4)
	s_mul_i32 s15, ttmp9, s15
	v_mov_b32_e32 v1, 0
	s_add_co_i32 s14, s14, s15
	s_mov_b32 s16, exec_lo
	s_wait_kmcnt 0x0
	s_and_b32 s13, s13, 0xffff
	s_cmp_eq_u32 s12, 0
	s_cselect_b32 s14, ttmp9, s14
	s_delay_alu instid0(SALU_CYCLE_1)
	v_mad_nc_u64_u32 v[0:1], s13, s14, v[0:1]
	s_add_nc_u64 s[14:15], s[10:11], s[8:9]
	s_mov_b32 s13, 0
	s_add_nc_u64 s[2:3], s[14:15], s[2:3]
	s_delay_alu instid0(VALU_DEP_1) | instid1(SALU_CYCLE_1)
	v_cmpx_gt_i64_e64 s[2:3], v[0:1]
	s_cbranch_execz .LBB39_2
; %bb.1:
	v_sub_nc_u64_e64 v[2:3], v[0:1], s[14:15]
	v_max_i64 v[4:5], s[10:11], 0
	s_sub_nc_u64 s[16:17], 0, s[10:11]
	v_sub_nc_u64_e64 v[8:9], v[0:1], s[10:11]
	s_add_nc_u64 s[10:11], s[14:15], s[10:11]
	s_add_nc_u64 s[0:1], s[0:1], 40
	s_lshr_b32 s14, ttmp7, 16
	v_add_nc_u64_e32 v[6:7], 1, v[2:3]
	v_not_b32_e32 v3, v3
	v_not_b32_e32 v2, v2
	v_sub_nc_u64_e32 v[10:11], 0, v[8:9]
	s_load_b32 s0, s[0:1], 0x4
	s_wait_xcnt 0x0
	s_bfe_u32 s1, ttmp6, 0x40010
	s_bfe_u32 s15, ttmp6, 0x40004
	v_max_i64 v[2:3], v[6:7], v[2:3]
	v_max_i64 v[6:7], s[16:17], 0
	s_add_co_i32 s1, s1, 1
	v_max_i64 v[8:9], v[8:9], v[10:11]
	s_bfe_u32 s16, ttmp6, 0x40008
	v_not_b32_e32 v4, v4
	v_not_b32_e32 v5, v5
	s_delay_alu instid0(VALU_DEP_1)
	v_add_nc_u64_e32 v[4:5], s[10:11], v[4:5]
	s_bfe_u32 s11, ttmp6, 0x40014
	s_and_b32 s10, ttmp7, 0xffff
	s_add_co_i32 s11, s11, 1
	s_mul_i32 s1, s10, s1
	s_mul_i32 s11, s14, s11
	s_add_co_i32 s15, s15, s1
	v_add_nc_u64_e32 v[2:3], v[0:1], v[2:3]
	v_add_nc_u64_e32 v[4:5], v[4:5], v[6:7]
	s_add_co_i32 s16, s16, s11
	s_cmp_eq_u32 s12, 0
	s_cselect_b32 s1, s14, s16
	s_wait_kmcnt 0x0
	s_mul_i32 s0, s0, s1
	s_delay_alu instid0(VALU_DEP_1) | instskip(SKIP_1) | instid1(SALU_CYCLE_1)
	v_sub_nc_u64_e32 v[2:3], v[4:5], v[2:3]
	s_cselect_b32 s1, s10, s15
	s_add_co_i32 s12, s0, s1
	s_delay_alu instid0(SALU_CYCLE_1) | instskip(NEXT) | instid1(VALU_DEP_1)
	s_mul_u64 s[0:1], s[8:9], s[12:13]
	v_lshl_add_u64 v[2:3], v[2:3], 3, s[4:5]
	s_delay_alu instid0(VALU_DEP_1) | instskip(NEXT) | instid1(VALU_DEP_1)
	v_lshl_add_u64 v[2:3], v[8:9], 3, v[2:3]
	v_lshl_add_u64 v[2:3], s[0:1], 3, v[2:3]
	s_mul_u64 s[0:1], s[2:3], s[12:13]
	s_delay_alu instid0(SALU_CYCLE_1) | instskip(SKIP_2) | instid1(SALU_CYCLE_1)
	s_lshl_b64 s[0:1], s[0:1], 3
	global_load_b64 v[2:3], v[2:3], off
	s_add_nc_u64 s[0:1], s[6:7], s[0:1]
	v_lshl_add_u64 v[0:1], v[0:1], 3, s[0:1]
	s_wait_loadcnt 0x0
	global_store_b64 v[0:1], v[2:3], off
.LBB39_2:
	s_endpgm
	.section	.rodata,"a",@progbits
	.p2align	6, 0x0
	.amdhsa_kernel _ZN2at6native12_GLOBAL__N_127reflection_pad1d_out_kernelIN3c107complexIfEEEEvPKT_PS6_lll
		.amdhsa_group_segment_fixed_size 0
		.amdhsa_private_segment_fixed_size 0
		.amdhsa_kernarg_size 296
		.amdhsa_user_sgpr_count 2
		.amdhsa_user_sgpr_dispatch_ptr 0
		.amdhsa_user_sgpr_queue_ptr 0
		.amdhsa_user_sgpr_kernarg_segment_ptr 1
		.amdhsa_user_sgpr_dispatch_id 0
		.amdhsa_user_sgpr_kernarg_preload_length 0
		.amdhsa_user_sgpr_kernarg_preload_offset 0
		.amdhsa_user_sgpr_private_segment_size 0
		.amdhsa_wavefront_size32 1
		.amdhsa_uses_dynamic_stack 0
		.amdhsa_enable_private_segment 0
		.amdhsa_system_sgpr_workgroup_id_x 1
		.amdhsa_system_sgpr_workgroup_id_y 1
		.amdhsa_system_sgpr_workgroup_id_z 1
		.amdhsa_system_sgpr_workgroup_info 0
		.amdhsa_system_vgpr_workitem_id 0
		.amdhsa_next_free_vgpr 12
		.amdhsa_next_free_sgpr 18
		.amdhsa_named_barrier_count 0
		.amdhsa_reserve_vcc 0
		.amdhsa_float_round_mode_32 0
		.amdhsa_float_round_mode_16_64 0
		.amdhsa_float_denorm_mode_32 3
		.amdhsa_float_denorm_mode_16_64 3
		.amdhsa_fp16_overflow 0
		.amdhsa_memory_ordered 1
		.amdhsa_forward_progress 1
		.amdhsa_inst_pref_size 4
		.amdhsa_round_robin_scheduling 0
		.amdhsa_exception_fp_ieee_invalid_op 0
		.amdhsa_exception_fp_denorm_src 0
		.amdhsa_exception_fp_ieee_div_zero 0
		.amdhsa_exception_fp_ieee_overflow 0
		.amdhsa_exception_fp_ieee_underflow 0
		.amdhsa_exception_fp_ieee_inexact 0
		.amdhsa_exception_int_div_zero 0
	.end_amdhsa_kernel
	.section	.text._ZN2at6native12_GLOBAL__N_127reflection_pad1d_out_kernelIN3c107complexIfEEEEvPKT_PS6_lll,"axG",@progbits,_ZN2at6native12_GLOBAL__N_127reflection_pad1d_out_kernelIN3c107complexIfEEEEvPKT_PS6_lll,comdat
.Lfunc_end39:
	.size	_ZN2at6native12_GLOBAL__N_127reflection_pad1d_out_kernelIN3c107complexIfEEEEvPKT_PS6_lll, .Lfunc_end39-_ZN2at6native12_GLOBAL__N_127reflection_pad1d_out_kernelIN3c107complexIfEEEEvPKT_PS6_lll
                                        ; -- End function
	.set _ZN2at6native12_GLOBAL__N_127reflection_pad1d_out_kernelIN3c107complexIfEEEEvPKT_PS6_lll.num_vgpr, 12
	.set _ZN2at6native12_GLOBAL__N_127reflection_pad1d_out_kernelIN3c107complexIfEEEEvPKT_PS6_lll.num_agpr, 0
	.set _ZN2at6native12_GLOBAL__N_127reflection_pad1d_out_kernelIN3c107complexIfEEEEvPKT_PS6_lll.numbered_sgpr, 18
	.set _ZN2at6native12_GLOBAL__N_127reflection_pad1d_out_kernelIN3c107complexIfEEEEvPKT_PS6_lll.num_named_barrier, 0
	.set _ZN2at6native12_GLOBAL__N_127reflection_pad1d_out_kernelIN3c107complexIfEEEEvPKT_PS6_lll.private_seg_size, 0
	.set _ZN2at6native12_GLOBAL__N_127reflection_pad1d_out_kernelIN3c107complexIfEEEEvPKT_PS6_lll.uses_vcc, 0
	.set _ZN2at6native12_GLOBAL__N_127reflection_pad1d_out_kernelIN3c107complexIfEEEEvPKT_PS6_lll.uses_flat_scratch, 0
	.set _ZN2at6native12_GLOBAL__N_127reflection_pad1d_out_kernelIN3c107complexIfEEEEvPKT_PS6_lll.has_dyn_sized_stack, 0
	.set _ZN2at6native12_GLOBAL__N_127reflection_pad1d_out_kernelIN3c107complexIfEEEEvPKT_PS6_lll.has_recursion, 0
	.set _ZN2at6native12_GLOBAL__N_127reflection_pad1d_out_kernelIN3c107complexIfEEEEvPKT_PS6_lll.has_indirect_call, 0
	.section	.AMDGPU.csdata,"",@progbits
; Kernel info:
; codeLenInByte = 428
; TotalNumSgprs: 18
; NumVgprs: 12
; ScratchSize: 0
; MemoryBound: 0
; FloatMode: 240
; IeeeMode: 1
; LDSByteSize: 0 bytes/workgroup (compile time only)
; SGPRBlocks: 0
; VGPRBlocks: 0
; NumSGPRsForWavesPerEU: 18
; NumVGPRsForWavesPerEU: 12
; NamedBarCnt: 0
; Occupancy: 16
; WaveLimiterHint : 0
; COMPUTE_PGM_RSRC2:SCRATCH_EN: 0
; COMPUTE_PGM_RSRC2:USER_SGPR: 2
; COMPUTE_PGM_RSRC2:TRAP_HANDLER: 0
; COMPUTE_PGM_RSRC2:TGID_X_EN: 1
; COMPUTE_PGM_RSRC2:TGID_Y_EN: 1
; COMPUTE_PGM_RSRC2:TGID_Z_EN: 1
; COMPUTE_PGM_RSRC2:TIDIG_COMP_CNT: 0
	.section	.text._ZN2at6native12_GLOBAL__N_121reflection_pad1d_flatIN3c107complexIfEEEEvPKT_PS6_lllll,"axG",@progbits,_ZN2at6native12_GLOBAL__N_121reflection_pad1d_flatIN3c107complexIfEEEEvPKT_PS6_lllll,comdat
	.globl	_ZN2at6native12_GLOBAL__N_121reflection_pad1d_flatIN3c107complexIfEEEEvPKT_PS6_lllll ; -- Begin function _ZN2at6native12_GLOBAL__N_121reflection_pad1d_flatIN3c107complexIfEEEEvPKT_PS6_lllll
	.p2align	8
	.type	_ZN2at6native12_GLOBAL__N_121reflection_pad1d_flatIN3c107complexIfEEEEvPKT_PS6_lllll,@function
_ZN2at6native12_GLOBAL__N_121reflection_pad1d_flatIN3c107complexIfEEEEvPKT_PS6_lllll: ; @_ZN2at6native12_GLOBAL__N_121reflection_pad1d_flatIN3c107complexIfEEEEvPKT_PS6_lllll
; %bb.0:
	s_clause 0x1
	s_load_b32 s2, s[0:1], 0x44
	s_load_b128 s[12:15], s[0:1], 0x28
	s_bfe_u32 s3, ttmp6, 0x4000c
	v_mov_b32_e32 v2, 0
	s_add_co_i32 s3, s3, 1
	s_and_b32 s4, ttmp6, 15
	s_mul_i32 s3, ttmp9, s3
	s_getreg_b32 s5, hwreg(HW_REG_IB_STS2, 6, 4)
	v_mov_b32_e32 v1, v2
	s_add_co_i32 s4, s4, s3
	s_wait_kmcnt 0x0
	s_and_b32 s2, s2, 0xffff
	s_cmp_eq_u32 s5, 0
	s_mul_u64 s[14:15], s[14:15], s[12:13]
	s_cselect_b32 s3, ttmp9, s4
	s_mov_b32 s4, exec_lo
	v_mad_nc_u64_u32 v[0:1], s2, s3, v[0:1]
	s_mov_b32 s3, 0
	s_delay_alu instid0(VALU_DEP_1)
	v_cmpx_gt_i64_e64 s[14:15], v[0:1]
	s_cbranch_execz .LBB40_13
; %bb.1:
	v_cvt_f32_u32_e32 v3, s12
	s_load_b256 s[4:11], s[0:1], 0x0
	s_wait_xcnt 0x0
	s_add_nc_u64 s[0:1], s[0:1], 56
	s_sub_co_i32 s16, 0, s12
	s_load_b32 s0, s[0:1], 0x0
	v_rcp_iflag_f32_e32 v3, v3
	s_wait_xcnt 0x0
	s_mov_b32 s1, s3
	s_mov_b64 s[18:19], 0xffffffff
	s_ashr_i32 s24, s13, 31
	s_mov_b32 s30, 0
	v_nop
	v_mul_f32_e32 v3, 0x4f7ffffe, v3
	s_delay_alu instid0(VALU_DEP_1) | instskip(SKIP_2) | instid1(VALU_DEP_1)
	v_cvt_u32_f32_e32 v3, v3
	s_wait_kmcnt 0x0
	s_lshl_b64 s[20:21], s[8:9], 1
	v_mul_lo_u32 v4, s16, v3
	s_add_nc_u64 s[20:21], s[20:21], -2
	s_sub_nc_u64 s[16:17], 0, s[12:13]
	s_sub_nc_u64 s[10:11], 0, s[10:11]
	s_ashr_i32 s26, s21, 31
	s_delay_alu instid0(VALU_DEP_1)
	v_mul_hi_u32 v6, v3, v4
	v_lshl_add_u64 v[4:5], v[0:1], 3, s[6:7]
	s_mul_u64 s[6:7], s[2:3], s[0:1]
	v_cmp_gt_i64_e64 s1, s[20:21], 0
	s_lshl_b64 s[22:23], s[6:7], 3
	v_add_nc_u32_e32 v12, v3, v6
	s_branch .LBB40_4
.LBB40_2:                               ;   in Loop: Header=BB40_4 Depth=1
	s_or_b32 exec_lo, exec_lo, s0
	s_delay_alu instid0(VALU_DEP_1) | instskip(NEXT) | instid1(VALU_DEP_1)
	v_ashrrev_i32_e32 v3, 31, v11
	v_and_b32_e32 v9, s21, v3
	v_and_b32_e32 v8, s20, v3
	s_delay_alu instid0(VALU_DEP_1) | instskip(NEXT) | instid1(VALU_DEP_1)
	v_add_nc_u64_e32 v[8:9], v[8:9], v[10:11]
	v_sub_nc_u64_e32 v[10:11], s[20:21], v[8:9]
	v_cmp_gt_i64_e32 vcc_lo, s[8:9], v[8:9]
	s_delay_alu instid0(VALU_DEP_2)
	v_dual_cndmask_b32 v9, v11, v9 :: v_dual_cndmask_b32 v8, v10, v8
.LBB40_3:                               ;   in Loop: Header=BB40_4 Depth=1
	v_mul_u64_e32 v[6:7], s[8:9], v[6:7]
	v_add_nc_u64_e32 v[0:1], s[6:7], v[0:1]
	s_delay_alu instid0(VALU_DEP_1) | instskip(SKIP_1) | instid1(VALU_DEP_3)
	v_cmp_le_i64_e32 vcc_lo, s[14:15], v[0:1]
	s_or_b32 s30, vcc_lo, s30
	v_lshl_add_u64 v[6:7], v[6:7], 3, s[4:5]
	s_delay_alu instid0(VALU_DEP_1)
	v_lshl_add_u64 v[6:7], v[8:9], 3, v[6:7]
	global_load_b64 v[6:7], v[6:7], off
	s_wait_loadcnt 0x0
	global_store_b64 v[4:5], v[6:7], off
	s_wait_xcnt 0x0
	v_add_nc_u64_e32 v[4:5], s[22:23], v[4:5]
	s_and_not1_b32 exec_lo, exec_lo, s30
	s_cbranch_execz .LBB40_13
.LBB40_4:                               ; =>This Inner Loop Header: Depth=1
	v_or_b32_e32 v3, s13, v1
                                        ; implicit-def: $vgpr6_vgpr7
	s_mov_b32 s0, exec_lo
	s_delay_alu instid0(VALU_DEP_1)
	v_cmpx_ne_u64_e32 0, v[2:3]
	s_xor_b32 s27, exec_lo, s0
	s_cbranch_execnz .LBB40_7
; %bb.5:                                ;   in Loop: Header=BB40_4 Depth=1
	s_and_not1_saveexec_b32 s0, s27
	s_cbranch_execnz .LBB40_8
.LBB40_6:                               ;   in Loop: Header=BB40_4 Depth=1
	s_or_b32 exec_lo, exec_lo, s0
	v_mov_b64_e32 v[8:9], 0
	s_and_not1_b32 vcc_lo, exec_lo, s1
	s_cbranch_vccnz .LBB40_3
	s_branch .LBB40_9
.LBB40_7:                               ;   in Loop: Header=BB40_4 Depth=1
	s_mov_b32 s25, s24
	v_dual_mov_b32 v11, v2 :: v_dual_ashrrev_i32 v6, 31, v1
	s_add_nc_u64 s[28:29], s[12:13], s[24:25]
	s_delay_alu instid0(SALU_CYCLE_1) | instskip(NEXT) | instid1(VALU_DEP_1)
	s_xor_b64 s[28:29], s[28:29], s[24:25]
	v_mov_b32_e32 v7, v6
	s_cvt_f32_u32 s0, s28
	s_cvt_f32_u32 s2, s29
	s_sub_nc_u64 s[36:37], 0, s[28:29]
	s_delay_alu instid0(VALU_DEP_1) | instskip(NEXT) | instid1(SALU_CYCLE_1)
	v_add_nc_u64_e32 v[8:9], v[0:1], v[6:7]
	s_fmamk_f32 s0, s2, 0x4f800000, s0
	v_mov_b32_e32 v17, v2
	s_delay_alu instid0(SALU_CYCLE_2) | instskip(NEXT) | instid1(VALU_DEP_2)
	v_s_rcp_f32 s0, s0
	v_xor_b32_e32 v10, v8, v6
	s_delay_alu instid0(VALU_DEP_3) | instskip(NEXT) | instid1(TRANS32_DEP_1)
	v_dual_mov_b32 v21, v2 :: v_dual_bitop2_b32 v16, v9, v6 bitop3:0x14
	s_mul_f32 s0, s0, 0x5f7ffffc
	s_delay_alu instid0(SALU_CYCLE_3) | instskip(NEXT) | instid1(SALU_CYCLE_3)
	s_mul_f32 s2, s0, 0x2f800000
	s_trunc_f32 s2, s2
	s_delay_alu instid0(SALU_CYCLE_3) | instskip(SKIP_1) | instid1(SALU_CYCLE_2)
	s_fmamk_f32 s0, s2, 0xcf800000, s0
	s_cvt_u32_f32 s35, s2
	s_cvt_u32_f32 s34, s0
	s_delay_alu instid0(SALU_CYCLE_3) | instskip(NEXT) | instid1(SALU_CYCLE_1)
	s_mul_u64 s[38:39], s[36:37], s[34:35]
	s_mul_hi_u32 s41, s34, s39
	s_mul_i32 s40, s34, s39
	s_mul_hi_u32 s2, s34, s38
	s_mul_i32 s25, s35, s38
	s_add_nc_u64 s[40:41], s[2:3], s[40:41]
	s_mul_hi_u32 s0, s35, s38
	s_mul_hi_u32 s31, s35, s39
	s_add_co_u32 s2, s40, s25
	s_add_co_ci_u32 s2, s41, s0
	s_mul_i32 s38, s35, s39
	s_add_co_ci_u32 s39, s31, 0
	s_delay_alu instid0(SALU_CYCLE_1) | instskip(NEXT) | instid1(SALU_CYCLE_1)
	s_add_nc_u64 s[38:39], s[2:3], s[38:39]
	s_add_co_u32 s34, s34, s38
	s_cselect_b32 s0, -1, 0
	s_delay_alu instid0(SALU_CYCLE_1) | instskip(SKIP_1) | instid1(SALU_CYCLE_1)
	s_cmp_lg_u32 s0, 0
	s_add_co_ci_u32 s35, s35, s39
	s_mul_u64 s[36:37], s[36:37], s[34:35]
	s_delay_alu instid0(SALU_CYCLE_1)
	s_mul_hi_u32 s39, s34, s37
	s_mul_i32 s38, s34, s37
	s_mul_hi_u32 s2, s34, s36
	s_mul_i32 s25, s35, s36
	s_add_nc_u64 s[38:39], s[2:3], s[38:39]
	s_mul_hi_u32 s0, s35, s36
	s_mul_hi_u32 s31, s35, s37
	s_add_co_u32 s2, s38, s25
	s_add_co_ci_u32 s2, s39, s0
	s_mul_i32 s36, s35, s37
	s_add_co_ci_u32 s37, s31, 0
	s_delay_alu instid0(SALU_CYCLE_1) | instskip(NEXT) | instid1(SALU_CYCLE_1)
	s_add_nc_u64 s[36:37], s[2:3], s[36:37]
	s_add_co_u32 s0, s34, s36
	s_cselect_b32 s2, -1, 0
	v_mul_hi_u32 v20, v10, s0
	s_cmp_lg_u32 s2, 0
	s_add_co_ci_u32 s2, s35, s37
	s_and_b64 s[34:35], s[0:1], s[18:19]
	v_mul_u64_e32 v[14:15], s[2:3], v[10:11]
	v_mul_u64_e32 v[8:9], s[34:35], v[16:17]
	;; [unrolled: 1-line block ×3, first 2 shown]
	s_delay_alu instid0(VALU_DEP_3) | instskip(NEXT) | instid1(VALU_DEP_1)
	v_add_nc_u64_e32 v[14:15], v[20:21], v[14:15]
	v_add_co_u32 v3, vcc_lo, v14, v8
	s_delay_alu instid0(VALU_DEP_2) | instskip(NEXT) | instid1(VALU_DEP_4)
	v_add_co_ci_u32_e32 v20, vcc_lo, v15, v9, vcc_lo
	v_add_co_ci_u32_e32 v19, vcc_lo, 0, v19, vcc_lo
	s_delay_alu instid0(VALU_DEP_1) | instskip(NEXT) | instid1(VALU_DEP_1)
	v_add_nc_u64_e32 v[8:9], v[20:21], v[18:19]
	v_mul_u64_e32 v[14:15], s[28:29], v[8:9]
	s_delay_alu instid0(VALU_DEP_1) | instskip(NEXT) | instid1(VALU_DEP_2)
	v_sub_nc_u32_e32 v3, v16, v15
	v_sub_co_u32 v7, vcc_lo, v10, v14
	s_delay_alu instid0(VALU_DEP_1) | instskip(NEXT) | instid1(VALU_DEP_3)
	v_sub_co_ci_u32_e64 v13, null, v16, v15, vcc_lo
	v_subrev_co_ci_u32_e64 v3, null, s29, v3, vcc_lo
	s_delay_alu instid0(VALU_DEP_3) | instskip(SKIP_1) | instid1(VALU_DEP_3)
	v_sub_co_u32 v10, s0, v7, s28
	v_add_nc_u64_e32 v[14:15], 1, v[8:9]
	v_subrev_co_ci_u32_e64 v3, null, 0, v3, s0
	s_delay_alu instid0(VALU_DEP_3) | instskip(SKIP_1) | instid1(VALU_DEP_3)
	v_cmp_le_u32_e32 vcc_lo, s28, v10
	v_cndmask_b32_e64 v10, 0, -1, vcc_lo
	v_cmp_le_u32_e32 vcc_lo, s29, v3
	v_cndmask_b32_e64 v11, 0, -1, vcc_lo
	;; [unrolled: 2-line block ×4, first 2 shown]
	v_cmp_eq_u32_e32 vcc_lo, s29, v3
	v_cndmask_b32_e32 v3, v11, v10, vcc_lo
	v_cmp_eq_u32_e32 vcc_lo, s29, v13
	v_add_nc_u64_e32 v[10:11], 2, v[8:9]
	v_cndmask_b32_e32 v7, v16, v7, vcc_lo
	s_delay_alu instid0(VALU_DEP_4) | instskip(NEXT) | instid1(VALU_DEP_2)
	v_cmp_ne_u32_e32 vcc_lo, 0, v3
	v_cmp_ne_u32_e64 s0, 0, v7
	s_delay_alu instid0(VALU_DEP_4) | instskip(NEXT) | instid1(VALU_DEP_1)
	v_dual_cndmask_b32 v3, v15, v11, vcc_lo :: v_dual_cndmask_b32 v7, v14, v10, vcc_lo
	v_dual_cndmask_b32 v3, v9, v3, s0 :: v_dual_bitop2_b32 v6, s24, v6 bitop3:0x14
	s_delay_alu instid0(VALU_DEP_1) | instskip(NEXT) | instid1(VALU_DEP_2)
	v_dual_cndmask_b32 v8, v8, v7, s0 :: v_dual_mov_b32 v7, v6
	v_xor_b32_e32 v9, v3, v6
	s_delay_alu instid0(VALU_DEP_2) | instskip(NEXT) | instid1(VALU_DEP_1)
	v_xor_b32_e32 v8, v8, v6
	v_sub_nc_u64_e32 v[6:7], v[8:9], v[6:7]
	s_and_not1_saveexec_b32 s0, s27
	s_cbranch_execz .LBB40_6
.LBB40_8:                               ;   in Loop: Header=BB40_4 Depth=1
	v_mul_hi_u32 v3, v0, v12
	s_delay_alu instid0(VALU_DEP_1) | instskip(NEXT) | instid1(VALU_DEP_1)
	v_mul_lo_u32 v6, v3, s12
	v_dual_add_nc_u32 v7, 1, v3 :: v_dual_sub_nc_u32 v6, v0, v6
	s_delay_alu instid0(VALU_DEP_1) | instskip(SKIP_1) | instid1(VALU_DEP_2)
	v_subrev_nc_u32_e32 v8, s12, v6
	v_cmp_le_u32_e32 vcc_lo, s12, v6
	v_dual_cndmask_b32 v6, v6, v8 :: v_dual_cndmask_b32 v3, v3, v7
	s_delay_alu instid0(VALU_DEP_1) | instskip(NEXT) | instid1(VALU_DEP_2)
	v_cmp_le_u32_e32 vcc_lo, s12, v6
	v_add_nc_u32_e32 v7, 1, v3
	s_delay_alu instid0(VALU_DEP_1)
	v_dual_cndmask_b32 v6, v3, v7 :: v_dual_mov_b32 v7, v2
	s_or_b32 exec_lo, exec_lo, s0
	v_mov_b64_e32 v[8:9], 0
	s_and_not1_b32 vcc_lo, exec_lo, s1
	s_cbranch_vccnz .LBB40_3
.LBB40_9:                               ;   in Loop: Header=BB40_4 Depth=1
	v_add_nc_u64_e32 v[8:9], s[10:11], v[0:1]
                                        ; implicit-def: $vgpr10_vgpr11
	s_mov_b32 s0, exec_lo
	s_delay_alu instid0(VALU_DEP_1) | instskip(NEXT) | instid1(VALU_DEP_1)
	v_mad_nc_u64_u32 v[8:9], s16, v6, v[8:9]
	v_mad_u32 v3, s17, v6, v9
	s_delay_alu instid0(VALU_DEP_1) | instskip(NEXT) | instid1(VALU_DEP_1)
	v_mad_u32 v9, s16, v7, v3
	v_or_b32_e32 v3, s21, v9
	s_delay_alu instid0(VALU_DEP_1)
	v_cmpx_ne_u64_e32 0, v[2:3]
	s_xor_b32 s25, exec_lo, s0
	s_cbranch_execz .LBB40_11
; %bb.10:                               ;   in Loop: Header=BB40_4 Depth=1
	s_mov_b32 s27, s26
	v_dual_mov_b32 v15, v2 :: v_dual_ashrrev_i32 v10, 31, v9
	s_add_nc_u64 s[28:29], s[20:21], s[26:27]
	v_mov_b32_e32 v23, v2
	s_xor_b64 s[28:29], s[28:29], s[26:27]
	s_delay_alu instid0(VALU_DEP_2) | instskip(SKIP_3) | instid1(VALU_DEP_1)
	v_mov_b32_e32 v11, v10
	s_cvt_f32_u32 s0, s28
	s_cvt_f32_u32 s2, s29
	s_sub_nc_u64 s[36:37], 0, s[28:29]
	v_add_nc_u64_e32 v[8:9], v[8:9], v[10:11]
	s_delay_alu instid0(SALU_CYCLE_1) | instskip(SKIP_1) | instid1(SALU_CYCLE_2)
	s_fmamk_f32 s0, s2, 0x4f800000, s0
	v_mov_b32_e32 v19, v2
	v_s_rcp_f32 s0, s0
	s_delay_alu instid0(VALU_DEP_2) | instskip(NEXT) | instid1(VALU_DEP_3)
	v_xor_b32_e32 v14, v8, v10
	v_xor_b32_e32 v18, v9, v10
	s_delay_alu instid0(TRANS32_DEP_1) | instskip(NEXT) | instid1(SALU_CYCLE_3)
	s_mul_f32 s0, s0, 0x5f7ffffc
	s_mul_f32 s2, s0, 0x2f800000
	s_delay_alu instid0(SALU_CYCLE_3) | instskip(NEXT) | instid1(SALU_CYCLE_3)
	s_trunc_f32 s2, s2
	s_fmamk_f32 s0, s2, 0xcf800000, s0
	s_cvt_u32_f32 s35, s2
	s_delay_alu instid0(SALU_CYCLE_2) | instskip(NEXT) | instid1(SALU_CYCLE_3)
	s_cvt_u32_f32 s34, s0
	s_mul_u64 s[38:39], s[36:37], s[34:35]
	s_delay_alu instid0(SALU_CYCLE_1)
	s_mul_hi_u32 s41, s34, s39
	s_mul_i32 s40, s34, s39
	s_mul_hi_u32 s2, s34, s38
	s_mul_i32 s27, s35, s38
	s_add_nc_u64 s[40:41], s[2:3], s[40:41]
	s_mul_hi_u32 s0, s35, s38
	s_mul_hi_u32 s31, s35, s39
	s_add_co_u32 s2, s40, s27
	s_add_co_ci_u32 s2, s41, s0
	s_mul_i32 s38, s35, s39
	s_add_co_ci_u32 s39, s31, 0
	s_delay_alu instid0(SALU_CYCLE_1) | instskip(NEXT) | instid1(SALU_CYCLE_1)
	s_add_nc_u64 s[38:39], s[2:3], s[38:39]
	s_add_co_u32 s34, s34, s38
	s_cselect_b32 s0, -1, 0
	s_delay_alu instid0(SALU_CYCLE_1) | instskip(SKIP_1) | instid1(SALU_CYCLE_1)
	s_cmp_lg_u32 s0, 0
	s_add_co_ci_u32 s35, s35, s39
	s_mul_u64 s[36:37], s[36:37], s[34:35]
	s_delay_alu instid0(SALU_CYCLE_1)
	s_mul_hi_u32 s39, s34, s37
	s_mul_i32 s38, s34, s37
	s_mul_hi_u32 s2, s34, s36
	s_mul_i32 s27, s35, s36
	s_add_nc_u64 s[38:39], s[2:3], s[38:39]
	s_mul_hi_u32 s0, s35, s36
	s_mul_hi_u32 s31, s35, s37
	s_add_co_u32 s2, s38, s27
	s_add_co_ci_u32 s2, s39, s0
	s_mul_i32 s36, s35, s37
	s_add_co_ci_u32 s37, s31, 0
	s_delay_alu instid0(SALU_CYCLE_1) | instskip(NEXT) | instid1(SALU_CYCLE_1)
	s_add_nc_u64 s[36:37], s[2:3], s[36:37]
	s_add_co_u32 s0, s34, s36
	s_cselect_b32 s2, -1, 0
	v_mul_hi_u32 v22, v14, s0
	s_cmp_lg_u32 s2, 0
	s_add_co_ci_u32 s2, s35, s37
	s_and_b64 s[34:35], s[0:1], s[18:19]
	v_mul_u64_e32 v[16:17], s[2:3], v[14:15]
	v_mul_u64_e32 v[8:9], s[34:35], v[18:19]
	v_mul_u64_e32 v[20:21], s[2:3], v[18:19]
	s_delay_alu instid0(VALU_DEP_3) | instskip(NEXT) | instid1(VALU_DEP_1)
	v_add_nc_u64_e32 v[16:17], v[22:23], v[16:17]
	v_add_co_u32 v3, vcc_lo, v16, v8
	s_delay_alu instid0(VALU_DEP_2) | instskip(NEXT) | instid1(VALU_DEP_4)
	v_add_co_ci_u32_e32 v22, vcc_lo, v17, v9, vcc_lo
	v_add_co_ci_u32_e32 v21, vcc_lo, 0, v21, vcc_lo
	s_delay_alu instid0(VALU_DEP_1) | instskip(NEXT) | instid1(VALU_DEP_1)
	v_add_nc_u64_e32 v[8:9], v[22:23], v[20:21]
	v_mul_u64_e32 v[8:9], s[28:29], v[8:9]
	s_delay_alu instid0(VALU_DEP_1) | instskip(NEXT) | instid1(VALU_DEP_1)
	v_sub_co_u32 v8, vcc_lo, v14, v8
	v_cmp_le_u32_e64 s0, s28, v8
	s_delay_alu instid0(VALU_DEP_1) | instskip(NEXT) | instid1(VALU_DEP_4)
	v_cndmask_b32_e64 v15, 0, -1, s0
	v_sub_nc_u32_e32 v3, v18, v9
	v_sub_co_ci_u32_e64 v9, null, v18, v9, vcc_lo
	s_delay_alu instid0(VALU_DEP_2) | instskip(SKIP_1) | instid1(VALU_DEP_1)
	v_subrev_co_ci_u32_e64 v3, null, s29, v3, vcc_lo
	v_sub_co_u32 v13, vcc_lo, v8, s28
	v_subrev_co_ci_u32_e64 v14, null, 0, v3, vcc_lo
	s_delay_alu instid0(VALU_DEP_2) | instskip(SKIP_2) | instid1(VALU_DEP_3)
	v_cmp_le_u32_e64 s0, s28, v13
	v_subrev_co_ci_u32_e64 v3, null, s29, v3, vcc_lo
	v_cmp_le_u32_e32 vcc_lo, s29, v9
	v_cndmask_b32_e64 v16, 0, -1, s0
	v_cmp_le_u32_e64 s0, s29, v14
	v_cndmask_b32_e64 v18, 0, -1, vcc_lo
	v_cmp_eq_u32_e32 vcc_lo, s29, v14
	s_delay_alu instid0(VALU_DEP_3) | instskip(SKIP_1) | instid1(VALU_DEP_2)
	v_cndmask_b32_e64 v17, 0, -1, s0
	v_cmp_eq_u32_e64 s0, s29, v9
	v_cndmask_b32_e32 v16, v17, v16, vcc_lo
	v_sub_co_u32 v17, vcc_lo, v13, s28
	s_delay_alu instid0(VALU_DEP_1) | instskip(NEXT) | instid1(VALU_DEP_3)
	v_subrev_co_ci_u32_e64 v3, null, 0, v3, vcc_lo
	v_cmp_ne_u32_e32 vcc_lo, 0, v16
	v_cndmask_b32_e64 v15, v18, v15, s0
	s_delay_alu instid0(VALU_DEP_3) | instskip(NEXT) | instid1(VALU_DEP_2)
	v_dual_cndmask_b32 v3, v14, v3, vcc_lo :: v_dual_cndmask_b32 v13, v13, v17, vcc_lo
	v_cmp_ne_u32_e32 vcc_lo, 0, v15
	s_delay_alu instid0(VALU_DEP_2) | instskip(NEXT) | instid1(VALU_DEP_1)
	v_dual_cndmask_b32 v3, v9, v3 :: v_dual_cndmask_b32 v8, v8, v13
	v_xor_b32_e32 v9, v3, v10
	s_delay_alu instid0(VALU_DEP_2) | instskip(NEXT) | instid1(VALU_DEP_1)
	v_xor_b32_e32 v8, v8, v10
	v_sub_nc_u64_e32 v[10:11], v[8:9], v[10:11]
                                        ; implicit-def: $vgpr8_vgpr9
.LBB40_11:                              ;   in Loop: Header=BB40_4 Depth=1
	s_and_not1_saveexec_b32 s0, s25
	s_cbranch_execz .LBB40_2
; %bb.12:                               ;   in Loop: Header=BB40_4 Depth=1
	v_cvt_f32_u32_e32 v3, s20
	s_sub_co_i32 s2, 0, s20
	v_mov_b32_e32 v11, v2
	s_delay_alu instid0(VALU_DEP_2) | instskip(SKIP_1) | instid1(TRANS32_DEP_1)
	v_rcp_iflag_f32_e32 v3, v3
	v_nop
	v_mul_f32_e32 v3, 0x4f7ffffe, v3
	s_delay_alu instid0(VALU_DEP_1) | instskip(NEXT) | instid1(VALU_DEP_1)
	v_cvt_u32_f32_e32 v3, v3
	v_mul_lo_u32 v9, s2, v3
	s_delay_alu instid0(VALU_DEP_1) | instskip(NEXT) | instid1(VALU_DEP_1)
	v_mul_hi_u32 v9, v3, v9
	v_add_nc_u32_e32 v3, v3, v9
	s_delay_alu instid0(VALU_DEP_1) | instskip(NEXT) | instid1(VALU_DEP_1)
	v_mul_hi_u32 v3, v8, v3
	v_mul_lo_u32 v3, v3, s20
	s_delay_alu instid0(VALU_DEP_1) | instskip(NEXT) | instid1(VALU_DEP_1)
	v_sub_nc_u32_e32 v3, v8, v3
	v_subrev_nc_u32_e32 v8, s20, v3
	v_cmp_le_u32_e32 vcc_lo, s20, v3
	s_delay_alu instid0(VALU_DEP_2) | instskip(NEXT) | instid1(VALU_DEP_1)
	v_cndmask_b32_e32 v3, v3, v8, vcc_lo
	v_subrev_nc_u32_e32 v8, s20, v3
	v_cmp_le_u32_e32 vcc_lo, s20, v3
	s_delay_alu instid0(VALU_DEP_2)
	v_cndmask_b32_e32 v10, v3, v8, vcc_lo
	s_branch .LBB40_2
.LBB40_13:
	s_endpgm
	.section	.rodata,"a",@progbits
	.p2align	6, 0x0
	.amdhsa_kernel _ZN2at6native12_GLOBAL__N_121reflection_pad1d_flatIN3c107complexIfEEEEvPKT_PS6_lllll
		.amdhsa_group_segment_fixed_size 0
		.amdhsa_private_segment_fixed_size 0
		.amdhsa_kernarg_size 312
		.amdhsa_user_sgpr_count 2
		.amdhsa_user_sgpr_dispatch_ptr 0
		.amdhsa_user_sgpr_queue_ptr 0
		.amdhsa_user_sgpr_kernarg_segment_ptr 1
		.amdhsa_user_sgpr_dispatch_id 0
		.amdhsa_user_sgpr_kernarg_preload_length 0
		.amdhsa_user_sgpr_kernarg_preload_offset 0
		.amdhsa_user_sgpr_private_segment_size 0
		.amdhsa_wavefront_size32 1
		.amdhsa_uses_dynamic_stack 0
		.amdhsa_enable_private_segment 0
		.amdhsa_system_sgpr_workgroup_id_x 1
		.amdhsa_system_sgpr_workgroup_id_y 0
		.amdhsa_system_sgpr_workgroup_id_z 0
		.amdhsa_system_sgpr_workgroup_info 0
		.amdhsa_system_vgpr_workitem_id 0
		.amdhsa_next_free_vgpr 24
		.amdhsa_next_free_sgpr 42
		.amdhsa_named_barrier_count 0
		.amdhsa_reserve_vcc 1
		.amdhsa_float_round_mode_32 0
		.amdhsa_float_round_mode_16_64 0
		.amdhsa_float_denorm_mode_32 3
		.amdhsa_float_denorm_mode_16_64 3
		.amdhsa_fp16_overflow 0
		.amdhsa_memory_ordered 1
		.amdhsa_forward_progress 1
		.amdhsa_inst_pref_size 15
		.amdhsa_round_robin_scheduling 0
		.amdhsa_exception_fp_ieee_invalid_op 0
		.amdhsa_exception_fp_denorm_src 0
		.amdhsa_exception_fp_ieee_div_zero 0
		.amdhsa_exception_fp_ieee_overflow 0
		.amdhsa_exception_fp_ieee_underflow 0
		.amdhsa_exception_fp_ieee_inexact 0
		.amdhsa_exception_int_div_zero 0
	.end_amdhsa_kernel
	.section	.text._ZN2at6native12_GLOBAL__N_121reflection_pad1d_flatIN3c107complexIfEEEEvPKT_PS6_lllll,"axG",@progbits,_ZN2at6native12_GLOBAL__N_121reflection_pad1d_flatIN3c107complexIfEEEEvPKT_PS6_lllll,comdat
.Lfunc_end40:
	.size	_ZN2at6native12_GLOBAL__N_121reflection_pad1d_flatIN3c107complexIfEEEEvPKT_PS6_lllll, .Lfunc_end40-_ZN2at6native12_GLOBAL__N_121reflection_pad1d_flatIN3c107complexIfEEEEvPKT_PS6_lllll
                                        ; -- End function
	.set _ZN2at6native12_GLOBAL__N_121reflection_pad1d_flatIN3c107complexIfEEEEvPKT_PS6_lllll.num_vgpr, 24
	.set _ZN2at6native12_GLOBAL__N_121reflection_pad1d_flatIN3c107complexIfEEEEvPKT_PS6_lllll.num_agpr, 0
	.set _ZN2at6native12_GLOBAL__N_121reflection_pad1d_flatIN3c107complexIfEEEEvPKT_PS6_lllll.numbered_sgpr, 42
	.set _ZN2at6native12_GLOBAL__N_121reflection_pad1d_flatIN3c107complexIfEEEEvPKT_PS6_lllll.num_named_barrier, 0
	.set _ZN2at6native12_GLOBAL__N_121reflection_pad1d_flatIN3c107complexIfEEEEvPKT_PS6_lllll.private_seg_size, 0
	.set _ZN2at6native12_GLOBAL__N_121reflection_pad1d_flatIN3c107complexIfEEEEvPKT_PS6_lllll.uses_vcc, 1
	.set _ZN2at6native12_GLOBAL__N_121reflection_pad1d_flatIN3c107complexIfEEEEvPKT_PS6_lllll.uses_flat_scratch, 0
	.set _ZN2at6native12_GLOBAL__N_121reflection_pad1d_flatIN3c107complexIfEEEEvPKT_PS6_lllll.has_dyn_sized_stack, 0
	.set _ZN2at6native12_GLOBAL__N_121reflection_pad1d_flatIN3c107complexIfEEEEvPKT_PS6_lllll.has_recursion, 0
	.set _ZN2at6native12_GLOBAL__N_121reflection_pad1d_flatIN3c107complexIfEEEEvPKT_PS6_lllll.has_indirect_call, 0
	.section	.AMDGPU.csdata,"",@progbits
; Kernel info:
; codeLenInByte = 1896
; TotalNumSgprs: 44
; NumVgprs: 24
; ScratchSize: 0
; MemoryBound: 0
; FloatMode: 240
; IeeeMode: 1
; LDSByteSize: 0 bytes/workgroup (compile time only)
; SGPRBlocks: 0
; VGPRBlocks: 1
; NumSGPRsForWavesPerEU: 44
; NumVGPRsForWavesPerEU: 24
; NamedBarCnt: 0
; Occupancy: 16
; WaveLimiterHint : 0
; COMPUTE_PGM_RSRC2:SCRATCH_EN: 0
; COMPUTE_PGM_RSRC2:USER_SGPR: 2
; COMPUTE_PGM_RSRC2:TRAP_HANDLER: 0
; COMPUTE_PGM_RSRC2:TGID_X_EN: 1
; COMPUTE_PGM_RSRC2:TGID_Y_EN: 0
; COMPUTE_PGM_RSRC2:TGID_Z_EN: 0
; COMPUTE_PGM_RSRC2:TIDIG_COMP_CNT: 0
	.section	.text._ZN2at6native12_GLOBAL__N_127reflection_pad1d_out_kernelIN3c104HalfEEEvPKT_PS5_lll,"axG",@progbits,_ZN2at6native12_GLOBAL__N_127reflection_pad1d_out_kernelIN3c104HalfEEEvPKT_PS5_lll,comdat
	.globl	_ZN2at6native12_GLOBAL__N_127reflection_pad1d_out_kernelIN3c104HalfEEEvPKT_PS5_lll ; -- Begin function _ZN2at6native12_GLOBAL__N_127reflection_pad1d_out_kernelIN3c104HalfEEEvPKT_PS5_lll
	.p2align	8
	.type	_ZN2at6native12_GLOBAL__N_127reflection_pad1d_out_kernelIN3c104HalfEEEvPKT_PS5_lll,@function
_ZN2at6native12_GLOBAL__N_127reflection_pad1d_out_kernelIN3c104HalfEEEvPKT_PS5_lll: ; @_ZN2at6native12_GLOBAL__N_127reflection_pad1d_out_kernelIN3c104HalfEEEvPKT_PS5_lll
; %bb.0:
	s_clause 0x2
	s_load_b32 s13, s[0:1], 0x34
	s_load_b64 s[2:3], s[0:1], 0x20
	s_load_b256 s[4:11], s[0:1], 0x0
	s_bfe_u32 s12, ttmp6, 0x4000c
	s_and_b32 s14, ttmp6, 15
	s_add_co_i32 s15, s12, 1
	s_getreg_b32 s12, hwreg(HW_REG_IB_STS2, 6, 4)
	s_mul_i32 s15, ttmp9, s15
	v_mov_b32_e32 v1, 0
	s_add_co_i32 s14, s14, s15
	s_mov_b32 s16, exec_lo
	s_wait_kmcnt 0x0
	s_and_b32 s13, s13, 0xffff
	s_cmp_eq_u32 s12, 0
	s_cselect_b32 s14, ttmp9, s14
	s_delay_alu instid0(SALU_CYCLE_1)
	v_mad_nc_u64_u32 v[0:1], s13, s14, v[0:1]
	s_add_nc_u64 s[14:15], s[10:11], s[8:9]
	s_mov_b32 s13, 0
	s_add_nc_u64 s[2:3], s[14:15], s[2:3]
	s_delay_alu instid0(VALU_DEP_1) | instid1(SALU_CYCLE_1)
	v_cmpx_gt_i64_e64 s[2:3], v[0:1]
	s_cbranch_execz .LBB41_2
; %bb.1:
	v_sub_nc_u64_e64 v[2:3], v[0:1], s[14:15]
	v_max_i64 v[4:5], s[10:11], 0
	s_sub_nc_u64 s[16:17], 0, s[10:11]
	v_sub_nc_u64_e64 v[8:9], v[0:1], s[10:11]
	s_add_nc_u64 s[10:11], s[14:15], s[10:11]
	s_add_nc_u64 s[0:1], s[0:1], 40
	s_lshr_b32 s14, ttmp7, 16
	v_add_nc_u64_e32 v[6:7], 1, v[2:3]
	v_not_b32_e32 v3, v3
	v_not_b32_e32 v2, v2
	v_sub_nc_u64_e32 v[10:11], 0, v[8:9]
	s_load_b32 s0, s[0:1], 0x4
	s_wait_xcnt 0x0
	s_bfe_u32 s1, ttmp6, 0x40010
	s_bfe_u32 s15, ttmp6, 0x40004
	v_max_i64 v[2:3], v[6:7], v[2:3]
	v_max_i64 v[6:7], s[16:17], 0
	s_add_co_i32 s1, s1, 1
	v_max_i64 v[8:9], v[8:9], v[10:11]
	s_bfe_u32 s16, ttmp6, 0x40008
	v_not_b32_e32 v4, v4
	v_not_b32_e32 v5, v5
	s_delay_alu instid0(VALU_DEP_1)
	v_add_nc_u64_e32 v[4:5], s[10:11], v[4:5]
	s_bfe_u32 s11, ttmp6, 0x40014
	s_and_b32 s10, ttmp7, 0xffff
	s_add_co_i32 s11, s11, 1
	s_mul_i32 s1, s10, s1
	s_mul_i32 s11, s14, s11
	s_add_co_i32 s15, s15, s1
	v_add_nc_u64_e32 v[2:3], v[0:1], v[2:3]
	v_add_nc_u64_e32 v[4:5], v[4:5], v[6:7]
	s_add_co_i32 s16, s16, s11
	s_cmp_eq_u32 s12, 0
	s_cselect_b32 s1, s14, s16
	s_wait_kmcnt 0x0
	s_mul_i32 s0, s0, s1
	s_delay_alu instid0(VALU_DEP_1) | instskip(SKIP_1) | instid1(SALU_CYCLE_1)
	v_sub_nc_u64_e32 v[2:3], v[4:5], v[2:3]
	s_cselect_b32 s1, s10, s15
	s_add_co_i32 s12, s0, s1
	s_delay_alu instid0(SALU_CYCLE_1) | instskip(NEXT) | instid1(VALU_DEP_1)
	s_mul_u64 s[0:1], s[8:9], s[12:13]
	v_lshl_add_u64 v[2:3], v[2:3], 1, s[4:5]
	s_delay_alu instid0(VALU_DEP_1) | instskip(NEXT) | instid1(VALU_DEP_1)
	v_lshl_add_u64 v[2:3], v[8:9], 1, v[2:3]
	v_lshl_add_u64 v[2:3], s[0:1], 1, v[2:3]
	s_mul_u64 s[0:1], s[2:3], s[12:13]
	s_delay_alu instid0(SALU_CYCLE_1) | instskip(SKIP_2) | instid1(SALU_CYCLE_1)
	s_lshl_b64 s[0:1], s[0:1], 1
	global_load_u16 v2, v[2:3], off
	s_add_nc_u64 s[0:1], s[6:7], s[0:1]
	v_lshl_add_u64 v[0:1], v[0:1], 1, s[0:1]
	s_wait_loadcnt 0x0
	global_store_b16 v[0:1], v2, off
.LBB41_2:
	s_endpgm
	.section	.rodata,"a",@progbits
	.p2align	6, 0x0
	.amdhsa_kernel _ZN2at6native12_GLOBAL__N_127reflection_pad1d_out_kernelIN3c104HalfEEEvPKT_PS5_lll
		.amdhsa_group_segment_fixed_size 0
		.amdhsa_private_segment_fixed_size 0
		.amdhsa_kernarg_size 296
		.amdhsa_user_sgpr_count 2
		.amdhsa_user_sgpr_dispatch_ptr 0
		.amdhsa_user_sgpr_queue_ptr 0
		.amdhsa_user_sgpr_kernarg_segment_ptr 1
		.amdhsa_user_sgpr_dispatch_id 0
		.amdhsa_user_sgpr_kernarg_preload_length 0
		.amdhsa_user_sgpr_kernarg_preload_offset 0
		.amdhsa_user_sgpr_private_segment_size 0
		.amdhsa_wavefront_size32 1
		.amdhsa_uses_dynamic_stack 0
		.amdhsa_enable_private_segment 0
		.amdhsa_system_sgpr_workgroup_id_x 1
		.amdhsa_system_sgpr_workgroup_id_y 1
		.amdhsa_system_sgpr_workgroup_id_z 1
		.amdhsa_system_sgpr_workgroup_info 0
		.amdhsa_system_vgpr_workitem_id 0
		.amdhsa_next_free_vgpr 12
		.amdhsa_next_free_sgpr 18
		.amdhsa_named_barrier_count 0
		.amdhsa_reserve_vcc 0
		.amdhsa_float_round_mode_32 0
		.amdhsa_float_round_mode_16_64 0
		.amdhsa_float_denorm_mode_32 3
		.amdhsa_float_denorm_mode_16_64 3
		.amdhsa_fp16_overflow 0
		.amdhsa_memory_ordered 1
		.amdhsa_forward_progress 1
		.amdhsa_inst_pref_size 4
		.amdhsa_round_robin_scheduling 0
		.amdhsa_exception_fp_ieee_invalid_op 0
		.amdhsa_exception_fp_denorm_src 0
		.amdhsa_exception_fp_ieee_div_zero 0
		.amdhsa_exception_fp_ieee_overflow 0
		.amdhsa_exception_fp_ieee_underflow 0
		.amdhsa_exception_fp_ieee_inexact 0
		.amdhsa_exception_int_div_zero 0
	.end_amdhsa_kernel
	.section	.text._ZN2at6native12_GLOBAL__N_127reflection_pad1d_out_kernelIN3c104HalfEEEvPKT_PS5_lll,"axG",@progbits,_ZN2at6native12_GLOBAL__N_127reflection_pad1d_out_kernelIN3c104HalfEEEvPKT_PS5_lll,comdat
.Lfunc_end41:
	.size	_ZN2at6native12_GLOBAL__N_127reflection_pad1d_out_kernelIN3c104HalfEEEvPKT_PS5_lll, .Lfunc_end41-_ZN2at6native12_GLOBAL__N_127reflection_pad1d_out_kernelIN3c104HalfEEEvPKT_PS5_lll
                                        ; -- End function
	.set _ZN2at6native12_GLOBAL__N_127reflection_pad1d_out_kernelIN3c104HalfEEEvPKT_PS5_lll.num_vgpr, 12
	.set _ZN2at6native12_GLOBAL__N_127reflection_pad1d_out_kernelIN3c104HalfEEEvPKT_PS5_lll.num_agpr, 0
	.set _ZN2at6native12_GLOBAL__N_127reflection_pad1d_out_kernelIN3c104HalfEEEvPKT_PS5_lll.numbered_sgpr, 18
	.set _ZN2at6native12_GLOBAL__N_127reflection_pad1d_out_kernelIN3c104HalfEEEvPKT_PS5_lll.num_named_barrier, 0
	.set _ZN2at6native12_GLOBAL__N_127reflection_pad1d_out_kernelIN3c104HalfEEEvPKT_PS5_lll.private_seg_size, 0
	.set _ZN2at6native12_GLOBAL__N_127reflection_pad1d_out_kernelIN3c104HalfEEEvPKT_PS5_lll.uses_vcc, 0
	.set _ZN2at6native12_GLOBAL__N_127reflection_pad1d_out_kernelIN3c104HalfEEEvPKT_PS5_lll.uses_flat_scratch, 0
	.set _ZN2at6native12_GLOBAL__N_127reflection_pad1d_out_kernelIN3c104HalfEEEvPKT_PS5_lll.has_dyn_sized_stack, 0
	.set _ZN2at6native12_GLOBAL__N_127reflection_pad1d_out_kernelIN3c104HalfEEEvPKT_PS5_lll.has_recursion, 0
	.set _ZN2at6native12_GLOBAL__N_127reflection_pad1d_out_kernelIN3c104HalfEEEvPKT_PS5_lll.has_indirect_call, 0
	.section	.AMDGPU.csdata,"",@progbits
; Kernel info:
; codeLenInByte = 428
; TotalNumSgprs: 18
; NumVgprs: 12
; ScratchSize: 0
; MemoryBound: 0
; FloatMode: 240
; IeeeMode: 1
; LDSByteSize: 0 bytes/workgroup (compile time only)
; SGPRBlocks: 0
; VGPRBlocks: 0
; NumSGPRsForWavesPerEU: 18
; NumVGPRsForWavesPerEU: 12
; NamedBarCnt: 0
; Occupancy: 16
; WaveLimiterHint : 0
; COMPUTE_PGM_RSRC2:SCRATCH_EN: 0
; COMPUTE_PGM_RSRC2:USER_SGPR: 2
; COMPUTE_PGM_RSRC2:TRAP_HANDLER: 0
; COMPUTE_PGM_RSRC2:TGID_X_EN: 1
; COMPUTE_PGM_RSRC2:TGID_Y_EN: 1
; COMPUTE_PGM_RSRC2:TGID_Z_EN: 1
; COMPUTE_PGM_RSRC2:TIDIG_COMP_CNT: 0
	.section	.text._ZN2at6native12_GLOBAL__N_121reflection_pad1d_flatIN3c104HalfEEEvPKT_PS5_lllll,"axG",@progbits,_ZN2at6native12_GLOBAL__N_121reflection_pad1d_flatIN3c104HalfEEEvPKT_PS5_lllll,comdat
	.globl	_ZN2at6native12_GLOBAL__N_121reflection_pad1d_flatIN3c104HalfEEEvPKT_PS5_lllll ; -- Begin function _ZN2at6native12_GLOBAL__N_121reflection_pad1d_flatIN3c104HalfEEEvPKT_PS5_lllll
	.p2align	8
	.type	_ZN2at6native12_GLOBAL__N_121reflection_pad1d_flatIN3c104HalfEEEvPKT_PS5_lllll,@function
_ZN2at6native12_GLOBAL__N_121reflection_pad1d_flatIN3c104HalfEEEvPKT_PS5_lllll: ; @_ZN2at6native12_GLOBAL__N_121reflection_pad1d_flatIN3c104HalfEEEvPKT_PS5_lllll
; %bb.0:
	s_clause 0x1
	s_load_b32 s2, s[0:1], 0x44
	s_load_b128 s[12:15], s[0:1], 0x28
	s_bfe_u32 s3, ttmp6, 0x4000c
	s_and_b32 s4, ttmp6, 15
	s_add_co_i32 s3, s3, 1
	s_getreg_b32 s5, hwreg(HW_REG_IB_STS2, 6, 4)
	s_mul_i32 s3, ttmp9, s3
	v_mov_b32_e32 v1, 0
	s_add_co_i32 s4, s4, s3
	s_mov_b32 s41, 0
	s_wait_kmcnt 0x0
	s_and_b32 s40, s2, 0xffff
	s_cmp_eq_u32 s5, 0
	s_mul_u64 s[14:15], s[14:15], s[12:13]
	s_cselect_b32 s34, ttmp9, s4
	s_mov_b32 s2, exec_lo
	v_mad_nc_u64_u32 v[2:3], s40, s34, v[0:1]
	s_delay_alu instid0(VALU_DEP_1)
	v_cmpx_gt_i64_e64 s[14:15], v[2:3]
	s_cbranch_execz .LBB42_64
; %bb.1:
	s_add_nc_u64 s[2:3], s[0:1], 56
	s_mov_b32 s35, s41
	s_load_b32 s36, s[2:3], 0x0
	s_mov_b32 s37, s41
	s_wait_kmcnt 0x0
	s_add_nc_u64 s[2:3], s[34:35], s[36:37]
	s_mul_u64 s[16:17], s[40:41], s[36:37]
	v_mad_nc_u64_u32 v[10:11], s2, s40, v[0:1]
	v_mov_b32_e32 v5, s41
	s_delay_alu instid0(VALU_DEP_2) | instskip(NEXT) | instid1(VALU_DEP_1)
	v_mad_u32 v11, s3, s40, v11
	v_max_i64 v[6:7], s[14:15], v[10:11]
	v_cmp_gt_i64_e32 vcc_lo, s[14:15], v[10:11]
	v_cndmask_b32_e64 v4, 0, 1, vcc_lo
	s_delay_alu instid0(VALU_DEP_1) | instskip(NEXT) | instid1(VALU_DEP_1)
	v_add_nc_u64_e32 v[8:9], v[10:11], v[4:5]
	v_sub_nc_u64_e32 v[6:7], v[6:7], v[8:9]
	s_delay_alu instid0(VALU_DEP_1) | instskip(NEXT) | instid1(VALU_DEP_1)
	v_dual_mov_b32 v8, v1 :: v_dual_bitop2_b32 v9, s17, v7 bitop3:0x54
	v_cmp_ne_u64_e32 vcc_lo, 0, v[8:9]
                                        ; implicit-def: $vgpr8_vgpr9
	s_and_saveexec_b32 s2, vcc_lo
	s_delay_alu instid0(SALU_CYCLE_1)
	s_xor_b32 s3, exec_lo, s2
	s_cbranch_execz .LBB42_3
; %bb.2:
	s_cvt_f32_u32 s2, s16
	s_cvt_f32_u32 s4, s17
	s_sub_nc_u64 s[6:7], 0, s[16:17]
	s_mov_b32 s11, 0
	v_dual_mov_b32 v9, 0 :: v_dual_mov_b32 v8, v6
	s_fmamk_f32 s2, s4, 0x4f800000, s2
	s_delay_alu instid0(SALU_CYCLE_3) | instskip(NEXT) | instid1(TRANS32_DEP_1)
	v_s_rcp_f32 s2, s2
	s_mul_f32 s2, s2, 0x5f7ffffc
	s_delay_alu instid0(SALU_CYCLE_3) | instskip(NEXT) | instid1(SALU_CYCLE_3)
	s_mul_f32 s4, s2, 0x2f800000
	s_trunc_f32 s4, s4
	s_delay_alu instid0(SALU_CYCLE_3) | instskip(SKIP_1) | instid1(SALU_CYCLE_2)
	s_fmamk_f32 s2, s4, 0xcf800000, s2
	s_cvt_u32_f32 s5, s4
	s_cvt_u32_f32 s4, s2
	s_delay_alu instid0(SALU_CYCLE_3) | instskip(NEXT) | instid1(SALU_CYCLE_1)
	s_mul_u64 s[8:9], s[6:7], s[4:5]
	s_mul_hi_u32 s19, s4, s9
	s_mul_i32 s18, s4, s9
	s_mul_hi_u32 s10, s4, s8
	s_mul_i32 s20, s5, s8
	s_add_nc_u64 s[18:19], s[10:11], s[18:19]
	s_mul_hi_u32 s2, s5, s8
	s_mul_hi_u32 s21, s5, s9
	s_mul_i32 s8, s5, s9
	s_add_co_u32 s9, s18, s20
	s_add_co_ci_u32 s10, s19, s2
	s_add_co_ci_u32 s9, s21, 0
	s_delay_alu instid0(SALU_CYCLE_1) | instskip(NEXT) | instid1(SALU_CYCLE_1)
	s_add_nc_u64 s[8:9], s[10:11], s[8:9]
	s_add_co_u32 s4, s4, s8
	s_cselect_b32 s2, -1, 0
	s_delay_alu instid0(SALU_CYCLE_1) | instskip(SKIP_1) | instid1(SALU_CYCLE_1)
	s_cmp_lg_u32 s2, 0
	s_add_co_ci_u32 s5, s5, s9
	s_mul_u64 s[6:7], s[6:7], s[4:5]
	s_delay_alu instid0(SALU_CYCLE_1)
	s_mul_hi_u32 s9, s4, s7
	s_mul_i32 s8, s4, s7
	s_mul_hi_u32 s10, s4, s6
	s_mul_i32 s18, s5, s6
	s_add_nc_u64 s[8:9], s[10:11], s[8:9]
	s_mul_hi_u32 s2, s5, s6
	s_mul_hi_u32 s19, s5, s7
	s_mul_i32 s6, s5, s7
	s_add_co_u32 s7, s8, s18
	s_add_co_ci_u32 s10, s9, s2
	s_add_co_ci_u32 s7, s19, 0
	s_delay_alu instid0(SALU_CYCLE_1) | instskip(NEXT) | instid1(SALU_CYCLE_1)
	s_add_nc_u64 s[6:7], s[10:11], s[6:7]
	s_add_co_u32 s2, s4, s6
	s_cselect_b32 s4, -1, 0
	s_delay_alu instid0(SALU_CYCLE_1)
	s_cmp_lg_u32 s4, 0
	s_add_co_ci_u32 s10, s5, s7
	s_mov_b64 s[4:5], 0xffffffff
	v_mul_u64_e32 v[12:13], s[10:11], v[8:9]
	v_mul_hi_u32 v8, v6, s2
	s_and_b64 s[4:5], s[2:3], s[4:5]
	s_delay_alu instid0(VALU_DEP_1) | instskip(SKIP_1) | instid1(VALU_DEP_1)
	v_add_nc_u64_e32 v[12:13], v[8:9], v[12:13]
	v_mov_b32_e32 v8, v7
	v_mul_u64_e32 v[14:15], s[4:5], v[8:9]
	v_mul_u64_e32 v[16:17], s[10:11], v[8:9]
	s_delay_alu instid0(VALU_DEP_2) | instskip(NEXT) | instid1(VALU_DEP_3)
	v_add_co_u32 v8, vcc_lo, v12, v14
	v_add_co_ci_u32_e32 v8, vcc_lo, v13, v15, vcc_lo
	s_delay_alu instid0(VALU_DEP_3) | instskip(NEXT) | instid1(VALU_DEP_1)
	v_add_co_ci_u32_e32 v17, vcc_lo, 0, v17, vcc_lo
	v_add_nc_u64_e32 v[8:9], v[8:9], v[16:17]
	s_delay_alu instid0(VALU_DEP_1) | instskip(NEXT) | instid1(VALU_DEP_1)
	v_mul_u64_e32 v[12:13], s[16:17], v[8:9]
	v_sub_nc_u32_e32 v14, v7, v13
	s_delay_alu instid0(VALU_DEP_2) | instskip(NEXT) | instid1(VALU_DEP_1)
	v_sub_co_u32 v6, vcc_lo, v6, v12
	v_sub_co_ci_u32_e64 v13, null, v7, v13, vcc_lo
	s_delay_alu instid0(VALU_DEP_3) | instskip(NEXT) | instid1(VALU_DEP_3)
	v_subrev_co_ci_u32_e64 v12, null, s17, v14, vcc_lo
	v_sub_co_u32 v16, s2, v6, s16
	v_cmp_le_u32_e32 vcc_lo, s16, v6
	s_delay_alu instid0(VALU_DEP_3) | instskip(NEXT) | instid1(VALU_DEP_3)
	v_subrev_co_ci_u32_e64 v12, null, 0, v12, s2
	v_cmp_le_u32_e64 s2, s16, v16
	v_add_nc_u64_e32 v[14:15], 2, v[8:9]
	v_cndmask_b32_e64 v18, 0, -1, vcc_lo
	s_delay_alu instid0(VALU_DEP_4) | instskip(SKIP_3) | instid1(VALU_DEP_1)
	v_cmp_eq_u32_e32 vcc_lo, s17, v12
	v_add_nc_u64_e32 v[6:7], 1, v[8:9]
	v_cndmask_b32_e64 v16, 0, -1, s2
	v_cmp_le_u32_e64 s2, s17, v12
	v_cndmask_b32_e64 v17, 0, -1, s2
	v_cmp_eq_u32_e64 s2, s17, v13
	s_delay_alu instid0(VALU_DEP_2) | instskip(SKIP_2) | instid1(VALU_DEP_3)
	v_cndmask_b32_e32 v12, v17, v16, vcc_lo
	v_cmp_le_u32_e32 vcc_lo, s17, v13
	v_cndmask_b32_e64 v16, 0, -1, vcc_lo
	v_cmp_ne_u32_e32 vcc_lo, 0, v12
	s_delay_alu instid0(VALU_DEP_2) | instskip(SKIP_1) | instid1(VALU_DEP_2)
	v_dual_cndmask_b32 v7, v7, v15, vcc_lo :: v_dual_cndmask_b32 v12, v16, v18, s2
	v_cndmask_b32_e32 v6, v6, v14, vcc_lo
	v_cmp_ne_u32_e32 vcc_lo, 0, v12
	s_delay_alu instid0(VALU_DEP_2)
	v_dual_cndmask_b32 v9, v9, v7 :: v_dual_cndmask_b32 v8, v8, v6
                                        ; implicit-def: $vgpr6_vgpr7
.LBB42_3:
	s_and_not1_saveexec_b32 s2, s3
	s_cbranch_execz .LBB42_5
; %bb.4:
	v_cvt_f32_u32_e32 v7, s16
	s_sub_co_i32 s3, 0, s16
	s_delay_alu instid0(VALU_DEP_1) | instskip(SKIP_1) | instid1(TRANS32_DEP_1)
	v_rcp_iflag_f32_e32 v7, v7
	v_nop
	v_mul_f32_e32 v7, 0x4f7ffffe, v7
	s_delay_alu instid0(VALU_DEP_1) | instskip(NEXT) | instid1(VALU_DEP_1)
	v_cvt_u32_f32_e32 v7, v7
	v_mul_lo_u32 v8, s3, v7
	s_delay_alu instid0(VALU_DEP_1) | instskip(NEXT) | instid1(VALU_DEP_1)
	v_mul_hi_u32 v8, v7, v8
	v_add_nc_u32_e32 v7, v7, v8
	s_delay_alu instid0(VALU_DEP_1) | instskip(NEXT) | instid1(VALU_DEP_1)
	v_mul_hi_u32 v7, v6, v7
	v_mul_lo_u32 v8, v7, s16
	s_delay_alu instid0(VALU_DEP_1) | instskip(NEXT) | instid1(VALU_DEP_1)
	v_dual_sub_nc_u32 v6, v6, v8 :: v_dual_add_nc_u32 v8, 1, v7
	v_subrev_nc_u32_e32 v9, s16, v6
	v_cmp_le_u32_e32 vcc_lo, s16, v6
	s_delay_alu instid0(VALU_DEP_2) | instskip(NEXT) | instid1(VALU_DEP_4)
	v_dual_cndmask_b32 v6, v6, v9 :: v_dual_mov_b32 v9, 0
	v_cndmask_b32_e32 v7, v7, v8, vcc_lo
	s_delay_alu instid0(VALU_DEP_2) | instskip(NEXT) | instid1(VALU_DEP_2)
	v_cmp_le_u32_e32 vcc_lo, s16, v6
	v_add_nc_u32_e32 v8, 1, v7
	s_delay_alu instid0(VALU_DEP_1)
	v_cndmask_b32_e32 v8, v7, v8, vcc_lo
.LBB42_5:
	s_or_b32 exec_lo, exec_lo, s2
	s_load_b256 s[4:11], s[0:1], 0x0
	s_delay_alu instid0(VALU_DEP_1) | instskip(SKIP_1) | instid1(VALU_DEP_1)
	v_add_nc_u64_e32 v[4:5], v[8:9], v[4:5]
	s_sub_nc_u64 s[20:21], 0, s[12:13]
                                        ; implicit-def: $vgpr6_vgpr7
	v_add_nc_u64_e32 v[20:21], 1, v[4:5]
                                        ; implicit-def: $vgpr4_vgpr5
	s_wait_kmcnt 0x0
	s_lshl_b64 s[0:1], s[8:9], 1
	s_delay_alu instid0(SALU_CYCLE_1)
	s_add_nc_u64 s[18:19], s[0:1], -2
	s_mov_b32 s0, 0
	v_cmp_lt_i64_e64 s57, s[18:19], 1
	v_cmp_gt_i64_e64 s33, s[18:19], 0
	s_mov_b32 s1, exec_lo
	v_cmpx_lt_u64_e32 3, v[20:21]
	s_xor_b32 s56, exec_lo, s1
	s_cbranch_execnz .LBB42_8
; %bb.6:
	s_and_not1_saveexec_b32 s1, s56
	s_cbranch_execnz .LBB42_51
.LBB42_7:
	s_or_b32 exec_lo, exec_lo, s1
	s_delay_alu instid0(SALU_CYCLE_1)
	s_and_b32 exec_lo, exec_lo, s0
	s_cbranch_execnz .LBB42_52
	s_branch .LBB42_64
.LBB42_8:
	s_lshl_b64 s[0:1], s[36:37], 1
	s_mul_u64 s[2:3], s[36:37], 3
	s_add_nc_u64 s[0:1], s[0:1], s[34:35]
	s_add_nc_u64 s[2:3], s[2:3], s[34:35]
	v_mad_nc_u64_u32 v[8:9], s16, 3, v[2:3]
	v_mad_nc_u64_u32 v[12:13], s0, s40, v[0:1]
	;; [unrolled: 1-line block ×5, first 2 shown]
	v_dual_mov_b32 v23, v21 :: v_dual_bitop2_b32 v22, -4, v20 bitop3:0x40
	v_sub_nc_u64_e64 v[30:31], v[10:11], s[10:11]
	v_mov_b32_e32 v32, 0
	v_sub_nc_u64_e64 v[0:1], v[2:3], s[10:11]
	v_lshl_add_u64 v[24:25], v[2:3], 1, s[6:7]
	v_mad_u32 v9, s17, 3, v9
	v_mad_u32 v13, s1, s40, v13
	;; [unrolled: 1-line block ×3, first 2 shown]
	v_lshl_add_u32 v7, s17, 1, v7
	v_add_nc_u32_e32 v5, s17, v5
	v_mov_b64_e32 v[34:35], v[22:23]
	s_lshl_b64 s[36:37], s[16:17], 2
	s_xor_b32 s58, s57, -1
	s_mov_b32 s22, s18
	s_mov_b32 s23, s19
	s_mov_b32 s24, s18
	v_mov_b64_e32 v[10:11], v[8:9]
	v_sub_nc_u64_e64 v[26:27], v[12:13], s[10:11]
	v_sub_nc_u64_e64 v[28:29], v[14:15], s[10:11]
	v_mov_b64_e32 v[8:9], v[6:7]
	v_mov_b64_e32 v[6:7], v[4:5]
	;; [unrolled: 1-line block ×3, first 2 shown]
	s_mov_b32 s25, s19
	s_mov_b32 s26, s18
	;; [unrolled: 1-line block ×15, first 2 shown]
	s_mul_u64 s[46:47], s[16:17], 6
	s_lshl_b64 s[48:49], s[16:17], 3
	s_lshl_b64 s[40:41], s[16:17], 1
	s_mov_b64 s[50:51], 0xffffffff
	s_mov_b32 s3, 0
	s_ashr_i32 s52, s13, 31
	s_mov_b32 s59, 0
	s_branch .LBB42_11
.LBB42_9:                               ;   in Loop: Header=BB42_11 Depth=1
	s_or_b32 exec_lo, exec_lo, s0
.LBB42_10:                              ;   in Loop: Header=BB42_11 Depth=1
	s_delay_alu instid0(VALU_DEP_1) | instskip(SKIP_3) | instid1(VALU_DEP_4)
	v_dual_ashrrev_i32 v33, 31, v19 :: v_dual_ashrrev_i32 v46, 31, v17
	v_mul_u64_e32 v[36:37], s[8:9], v[36:37]
	v_ashrrev_i32_e32 v48, 31, v13
	v_mul_u64_e32 v[38:39], s[28:29], v[38:39]
	v_and_b32_e32 v45, s27, v33
	v_dual_ashrrev_i32 v33, 31, v15 :: v_dual_bitop2_b32 v44, s26, v33 bitop3:0x40
	v_and_b32_e32 v47, s25, v46
	v_and_b32_e32 v46, s24, v46
	;; [unrolled: 1-line block ×3, first 2 shown]
	s_delay_alu instid0(VALU_DEP_4)
	v_add_nc_u64_e32 v[18:19], v[44:45], v[18:19]
	v_mul_u64_e32 v[40:41], s[30:31], v[40:41]
	v_mul_u64_e32 v[42:43], s[34:35], v[42:43]
	v_add_nc_u64_e32 v[16:17], v[46:47], v[16:17]
	v_and_b32_e32 v51, s23, v33
	v_and_b32_e32 v50, s22, v33
	v_add_nc_u64_e32 v[34:35], -4, v[34:35]
	v_sub_nc_u64_e32 v[46:47], s[26:27], v[18:19]
	v_cmp_gt_i64_e64 s0, s[34:35], v[18:19]
	v_and_b32_e32 v48, s18, v48
	v_add_nc_u64_e32 v[14:15], v[50:51], v[14:15]
	v_sub_nc_u64_e32 v[50:51], s[24:25], v[16:17]
	v_cmp_gt_i64_e64 s2, s[30:31], v[16:17]
	v_add_nc_u64_e32 v[10:11], s[44:45], v[10:11]
	v_add_nc_u64_e32 v[12:13], v[48:49], v[12:13]
	;; [unrolled: 1-line block ×4, first 2 shown]
	v_sub_nc_u64_e32 v[48:49], s[22:23], v[14:15]
	v_cmp_gt_i64_e64 s1, s[28:29], v[14:15]
	v_add_nc_u64_e32 v[4:5], s[36:37], v[4:5]
	v_add_nc_u64_e32 v[0:1], s[36:37], v[0:1]
	v_sub_nc_u64_e32 v[44:45], s[18:19], v[12:13]
	v_cmp_gt_i64_e32 vcc_lo, s[8:9], v[12:13]
	v_add_nc_u64_e32 v[26:27], s[36:37], v[26:27]
	v_add_nc_u64_e32 v[28:29], s[36:37], v[28:29]
	v_lshl_add_u64 v[38:39], v[38:39], 1, s[4:5]
	v_add_nc_u64_e32 v[30:31], s[36:37], v[30:31]
	v_dual_cndmask_b32 v33, v44, v12 :: v_dual_cndmask_b32 v44, v45, v13
	v_dual_cndmask_b32 v12, v46, v18, s0 :: v_dual_cndmask_b32 v13, v47, v19, s0
	v_dual_cndmask_b32 v18, v48, v14, s1 :: v_dual_cndmask_b32 v45, v49, v15, s1
	;; [unrolled: 1-line block ×3, first 2 shown]
	s_delay_alu instid0(VALU_DEP_4)
	v_cndmask_b32_e64 v15, v44, 0, s57
	v_cndmask_b32_e64 v14, v33, 0, s57
	v_lshl_add_u64 v[16:17], v[36:37], 1, s[4:5]
	v_cndmask_b32_e64 v37, v45, 0, s57
	v_cndmask_b32_e64 v36, v18, 0, s57
	;; [unrolled: 1-line block ×4, first 2 shown]
	v_lshl_add_u64 v[14:15], v[14:15], 1, v[16:17]
	v_lshl_add_u64 v[16:17], v[40:41], 1, s[4:5]
	v_cndmask_b32_e64 v13, v13, 0, s57
	v_cndmask_b32_e64 v12, v12, 0, s57
	v_lshl_add_u64 v[40:41], v[42:43], 1, s[4:5]
	global_load_u16 v33, v[14:15], off
	v_lshl_add_u64 v[36:37], v[36:37], 1, v[38:39]
	s_wait_xcnt 0x0
	v_lshl_add_u64 v[14:15], v[18:19], 1, v[16:17]
	v_cmp_eq_u64_e32 vcc_lo, 0, v[34:35]
	v_lshl_add_u64 v[12:13], v[12:13], 1, v[40:41]
	s_clause 0x2
	global_load_u16 v18, v[36:37], off
	global_load_u16 v19, v[14:15], off
	;; [unrolled: 1-line block ×3, first 2 shown]
	s_wait_xcnt 0x0
	v_add_nc_u64_e32 v[12:13], s[40:41], v[24:25]
	v_add_nc_u64_e32 v[14:15], s[36:37], v[24:25]
	;; [unrolled: 1-line block ×3, first 2 shown]
	s_or_b32 s59, vcc_lo, s59
	s_wait_loadcnt 0x3
	global_store_b16 v[24:25], v33, off
	s_wait_xcnt 0x0
	v_add_nc_u64_e32 v[24:25], s[48:49], v[24:25]
	s_wait_loadcnt 0x2
	global_store_b16 v[12:13], v18, off
	s_wait_loadcnt 0x1
	global_store_b16 v[14:15], v19, off
	;; [unrolled: 2-line block ×3, first 2 shown]
	s_wait_xcnt 0x0
	s_and_not1_b32 exec_lo, exec_lo, s59
	s_cbranch_execz .LBB42_50
.LBB42_11:                              ; =>This Inner Loop Header: Depth=1
	v_or_b32_e32 v33, s13, v5
                                        ; implicit-def: $vgpr36_vgpr37
	s_mov_b32 s0, exec_lo
	s_delay_alu instid0(VALU_DEP_1)
	v_cmpx_ne_u64_e32 0, v[32:33]
	s_xor_b32 s1, exec_lo, s0
	s_cbranch_execz .LBB42_13
; %bb.12:                               ;   in Loop: Header=BB42_11 Depth=1
	s_mov_b32 s53, s52
	v_dual_mov_b32 v17, v32 :: v_dual_ashrrev_i32 v12, 31, v5
	s_add_nc_u64 s[54:55], s[12:13], s[52:53]
	v_mov_b32_e32 v41, v32
	s_xor_b64 s[54:55], s[54:55], s[52:53]
	s_delay_alu instid0(VALU_DEP_2) | instskip(SKIP_3) | instid1(VALU_DEP_1)
	v_mov_b32_e32 v13, v12
	s_cvt_f32_u32 s0, s54
	s_cvt_f32_u32 s2, s55
	s_sub_nc_u64 s[62:63], 0, s[54:55]
	v_add_nc_u64_e32 v[14:15], v[4:5], v[12:13]
	s_delay_alu instid0(SALU_CYCLE_1) | instskip(SKIP_1) | instid1(SALU_CYCLE_2)
	s_fmamk_f32 s0, s2, 0x4f800000, s0
	v_mov_b32_e32 v37, v32
	v_s_rcp_f32 s0, s0
	s_delay_alu instid0(VALU_DEP_2) | instskip(NEXT) | instid1(VALU_DEP_3)
	v_xor_b32_e32 v16, v14, v12
	v_xor_b32_e32 v36, v15, v12
	s_delay_alu instid0(TRANS32_DEP_1) | instskip(NEXT) | instid1(SALU_CYCLE_3)
	s_mul_f32 s0, s0, 0x5f7ffffc
	s_mul_f32 s2, s0, 0x2f800000
	s_delay_alu instid0(SALU_CYCLE_3) | instskip(NEXT) | instid1(SALU_CYCLE_3)
	s_trunc_f32 s2, s2
	s_fmamk_f32 s0, s2, 0xcf800000, s0
	s_cvt_u32_f32 s61, s2
	s_delay_alu instid0(SALU_CYCLE_2) | instskip(NEXT) | instid1(SALU_CYCLE_3)
	s_cvt_u32_f32 s60, s0
	s_mul_u64 s[64:65], s[62:63], s[60:61]
	s_delay_alu instid0(SALU_CYCLE_1)
	s_mul_hi_u32 s67, s60, s65
	s_mul_i32 s66, s60, s65
	s_mul_hi_u32 s2, s60, s64
	s_mul_i32 s53, s61, s64
	s_add_nc_u64 s[66:67], s[2:3], s[66:67]
	s_mul_hi_u32 s0, s61, s64
	s_mul_hi_u32 s68, s61, s65
	s_add_co_u32 s2, s66, s53
	s_add_co_ci_u32 s2, s67, s0
	s_mul_i32 s64, s61, s65
	s_add_co_ci_u32 s65, s68, 0
	s_delay_alu instid0(SALU_CYCLE_1) | instskip(NEXT) | instid1(SALU_CYCLE_1)
	s_add_nc_u64 s[64:65], s[2:3], s[64:65]
	s_add_co_u32 s60, s60, s64
	s_cselect_b32 s0, -1, 0
	s_delay_alu instid0(SALU_CYCLE_1) | instskip(SKIP_1) | instid1(SALU_CYCLE_1)
	s_cmp_lg_u32 s0, 0
	s_add_co_ci_u32 s61, s61, s65
	s_mul_u64 s[62:63], s[62:63], s[60:61]
	s_delay_alu instid0(SALU_CYCLE_1)
	s_mul_hi_u32 s65, s60, s63
	s_mul_i32 s64, s60, s63
	s_mul_hi_u32 s2, s60, s62
	s_mul_i32 s53, s61, s62
	s_add_nc_u64 s[64:65], s[2:3], s[64:65]
	s_mul_hi_u32 s0, s61, s62
	s_mul_hi_u32 s66, s61, s63
	s_add_co_u32 s2, s64, s53
	s_add_co_ci_u32 s2, s65, s0
	s_mul_i32 s62, s61, s63
	s_add_co_ci_u32 s63, s66, 0
	s_delay_alu instid0(SALU_CYCLE_1) | instskip(NEXT) | instid1(SALU_CYCLE_1)
	s_add_nc_u64 s[62:63], s[2:3], s[62:63]
	s_add_co_u32 s0, s60, s62
	s_cselect_b32 s2, -1, 0
	v_mul_hi_u32 v40, v16, s0
	s_cmp_lg_u32 s2, 0
	s_add_co_ci_u32 s2, s61, s63
	s_and_b64 s[60:61], s[0:1], s[50:51]
	v_mul_u64_e32 v[18:19], s[2:3], v[16:17]
	v_mul_u64_e32 v[14:15], s[60:61], v[36:37]
	;; [unrolled: 1-line block ×3, first 2 shown]
	s_delay_alu instid0(VALU_DEP_3) | instskip(NEXT) | instid1(VALU_DEP_1)
	v_add_nc_u64_e32 v[18:19], v[40:41], v[18:19]
	v_add_co_u32 v13, vcc_lo, v18, v14
	s_delay_alu instid0(VALU_DEP_2) | instskip(NEXT) | instid1(VALU_DEP_4)
	v_add_co_ci_u32_e32 v40, vcc_lo, v19, v15, vcc_lo
	v_add_co_ci_u32_e32 v39, vcc_lo, 0, v39, vcc_lo
	s_delay_alu instid0(VALU_DEP_1) | instskip(NEXT) | instid1(VALU_DEP_1)
	v_add_nc_u64_e32 v[14:15], v[40:41], v[38:39]
	v_mul_u64_e32 v[18:19], s[54:55], v[14:15]
	s_delay_alu instid0(VALU_DEP_1) | instskip(NEXT) | instid1(VALU_DEP_2)
	v_sub_nc_u32_e32 v13, v36, v19
	v_sub_co_u32 v16, vcc_lo, v16, v18
	s_delay_alu instid0(VALU_DEP_1) | instskip(NEXT) | instid1(VALU_DEP_3)
	v_sub_co_ci_u32_e64 v33, null, v36, v19, vcc_lo
	v_subrev_co_ci_u32_e64 v13, null, s55, v13, vcc_lo
	s_delay_alu instid0(VALU_DEP_3) | instskip(NEXT) | instid1(VALU_DEP_1)
	v_sub_co_u32 v17, s0, v16, s54
	v_subrev_co_ci_u32_e64 v13, null, 0, v13, s0
	s_delay_alu instid0(VALU_DEP_2) | instskip(SKIP_1) | instid1(VALU_DEP_3)
	v_cmp_le_u32_e32 vcc_lo, s54, v17
	v_cndmask_b32_e64 v17, 0, -1, vcc_lo
	v_cmp_le_u32_e32 vcc_lo, s55, v13
	v_cndmask_b32_e64 v18, 0, -1, vcc_lo
	;; [unrolled: 2-line block ×4, first 2 shown]
	v_cmp_eq_u32_e32 vcc_lo, s55, v13
	v_cndmask_b32_e32 v13, v18, v17, vcc_lo
	v_cmp_eq_u32_e32 vcc_lo, s55, v33
	v_add_nc_u64_e32 v[16:17], 2, v[14:15]
	v_add_nc_u64_e32 v[18:19], 1, v[14:15]
	v_cndmask_b32_e32 v33, v37, v36, vcc_lo
	v_cmp_ne_u32_e32 vcc_lo, 0, v13
	s_delay_alu instid0(VALU_DEP_2) | instskip(NEXT) | instid1(VALU_DEP_4)
	v_cmp_ne_u32_e64 s0, 0, v33
	v_dual_cndmask_b32 v13, v19, v17 :: v_dual_cndmask_b32 v16, v18, v16
	s_delay_alu instid0(VALU_DEP_1) | instskip(NEXT) | instid1(VALU_DEP_1)
	v_dual_cndmask_b32 v15, v15, v13, s0 :: v_dual_bitop2_b32 v12, s52, v12 bitop3:0x14
	v_dual_cndmask_b32 v14, v14, v16, s0 :: v_dual_mov_b32 v13, v12
	s_delay_alu instid0(VALU_DEP_2) | instskip(NEXT) | instid1(VALU_DEP_2)
	v_xor_b32_e32 v15, v15, v12
	v_xor_b32_e32 v14, v14, v12
	s_delay_alu instid0(VALU_DEP_1)
	v_sub_nc_u64_e32 v[36:37], v[14:15], v[12:13]
.LBB42_13:                              ;   in Loop: Header=BB42_11 Depth=1
	s_or_saveexec_b32 s0, s1
	v_cvt_f32_u32_e32 v12, s12
	s_delay_alu instid0(VALU_DEP_1)
	v_rcp_iflag_f32_e32 v12, v12
	s_xor_b32 exec_lo, exec_lo, s0
	s_cbranch_execz .LBB42_15
; %bb.14:                               ;   in Loop: Header=BB42_11 Depth=1
	v_nop
	s_delay_alu instid0(TRANS32_DEP_1) | instskip(SKIP_2) | instid1(VALU_DEP_2)
	v_mul_f32_e32 v13, 0x4f7ffffe, v12
	s_sub_co_i32 s1, 0, s12
	v_mov_b32_e32 v37, v32
	v_cvt_u32_f32_e32 v13, v13
	s_delay_alu instid0(VALU_DEP_1) | instskip(NEXT) | instid1(VALU_DEP_1)
	v_mul_lo_u32 v14, s1, v13
	v_mul_hi_u32 v14, v13, v14
	s_delay_alu instid0(VALU_DEP_1) | instskip(NEXT) | instid1(VALU_DEP_1)
	v_add_nc_u32_e32 v13, v13, v14
	v_mul_hi_u32 v13, v4, v13
	s_delay_alu instid0(VALU_DEP_1) | instskip(NEXT) | instid1(VALU_DEP_1)
	v_mul_lo_u32 v14, v13, s12
	v_dual_add_nc_u32 v15, 1, v13 :: v_dual_sub_nc_u32 v14, v4, v14
	s_delay_alu instid0(VALU_DEP_1) | instskip(SKIP_1) | instid1(VALU_DEP_2)
	v_subrev_nc_u32_e32 v16, s12, v14
	v_cmp_le_u32_e32 vcc_lo, s12, v14
	v_dual_cndmask_b32 v14, v14, v16 :: v_dual_cndmask_b32 v13, v13, v15
	s_delay_alu instid0(VALU_DEP_1) | instskip(NEXT) | instid1(VALU_DEP_2)
	v_cmp_le_u32_e32 vcc_lo, s12, v14
	v_add_nc_u32_e32 v15, 1, v13
	s_delay_alu instid0(VALU_DEP_1)
	v_cndmask_b32_e32 v36, v13, v15, vcc_lo
.LBB42_15:                              ;   in Loop: Header=BB42_11 Depth=1
	s_or_b32 exec_lo, exec_lo, s0
	v_or_b32_e32 v33, s13, v7
                                        ; implicit-def: $vgpr38_vgpr39
	s_mov_b32 s0, exec_lo
	s_delay_alu instid0(VALU_DEP_1)
	v_cmpx_ne_u64_e32 0, v[32:33]
	s_xor_b32 s1, exec_lo, s0
	s_cbranch_execz .LBB42_17
; %bb.16:                               ;   in Loop: Header=BB42_11 Depth=1
	s_mov_b32 s53, s52
	v_dual_mov_b32 v19, v32 :: v_dual_ashrrev_i32 v14, 31, v7
	s_add_nc_u64 s[54:55], s[12:13], s[52:53]
	v_mov_b32_e32 v45, v32
	s_xor_b64 s[54:55], s[54:55], s[52:53]
	s_delay_alu instid0(VALU_DEP_2) | instskip(SKIP_3) | instid1(VALU_DEP_1)
	v_mov_b32_e32 v15, v14
	s_cvt_f32_u32 s0, s54
	s_cvt_f32_u32 s2, s55
	s_sub_nc_u64 s[62:63], 0, s[54:55]
	v_add_nc_u64_e32 v[16:17], v[6:7], v[14:15]
	s_delay_alu instid0(SALU_CYCLE_1) | instskip(SKIP_1) | instid1(SALU_CYCLE_2)
	s_fmamk_f32 s0, s2, 0x4f800000, s0
	v_mov_b32_e32 v41, v32
	v_s_rcp_f32 s0, s0
	s_delay_alu instid0(VALU_DEP_2) | instskip(NEXT) | instid1(VALU_DEP_3)
	v_xor_b32_e32 v18, v16, v14
	v_xor_b32_e32 v40, v17, v14
	;; [unrolled: 1-line block ×3, first 2 shown]
	s_delay_alu instid0(TRANS32_DEP_1) | instskip(NEXT) | instid1(SALU_CYCLE_3)
	s_mul_f32 s0, s0, 0x5f7ffffc
	s_mul_f32 s2, s0, 0x2f800000
	s_delay_alu instid0(SALU_CYCLE_3) | instskip(NEXT) | instid1(SALU_CYCLE_3)
	s_trunc_f32 s2, s2
	s_fmamk_f32 s0, s2, 0xcf800000, s0
	s_cvt_u32_f32 s61, s2
	s_delay_alu instid0(SALU_CYCLE_2) | instskip(NEXT) | instid1(SALU_CYCLE_3)
	s_cvt_u32_f32 s60, s0
	s_mul_u64 s[64:65], s[62:63], s[60:61]
	s_delay_alu instid0(SALU_CYCLE_1)
	s_mul_hi_u32 s67, s60, s65
	s_mul_i32 s66, s60, s65
	s_mul_hi_u32 s2, s60, s64
	s_mul_i32 s53, s61, s64
	s_add_nc_u64 s[66:67], s[2:3], s[66:67]
	s_mul_hi_u32 s0, s61, s64
	s_mul_hi_u32 s68, s61, s65
	s_add_co_u32 s2, s66, s53
	s_add_co_ci_u32 s2, s67, s0
	s_mul_i32 s64, s61, s65
	s_add_co_ci_u32 s65, s68, 0
	s_delay_alu instid0(SALU_CYCLE_1) | instskip(NEXT) | instid1(SALU_CYCLE_1)
	s_add_nc_u64 s[64:65], s[2:3], s[64:65]
	s_add_co_u32 s60, s60, s64
	s_cselect_b32 s0, -1, 0
	s_delay_alu instid0(SALU_CYCLE_1) | instskip(SKIP_1) | instid1(SALU_CYCLE_1)
	s_cmp_lg_u32 s0, 0
	s_add_co_ci_u32 s61, s61, s65
	s_mul_u64 s[62:63], s[62:63], s[60:61]
	s_delay_alu instid0(SALU_CYCLE_1)
	s_mul_hi_u32 s65, s60, s63
	s_mul_i32 s64, s60, s63
	s_mul_hi_u32 s2, s60, s62
	s_mul_i32 s53, s61, s62
	s_add_nc_u64 s[64:65], s[2:3], s[64:65]
	s_mul_hi_u32 s0, s61, s62
	s_mul_hi_u32 s66, s61, s63
	s_add_co_u32 s2, s64, s53
	s_add_co_ci_u32 s2, s65, s0
	s_mul_i32 s62, s61, s63
	s_add_co_ci_u32 s63, s66, 0
	s_delay_alu instid0(SALU_CYCLE_1) | instskip(NEXT) | instid1(SALU_CYCLE_1)
	s_add_nc_u64 s[62:63], s[2:3], s[62:63]
	s_add_co_u32 s0, s60, s62
	s_cselect_b32 s2, -1, 0
	v_mul_hi_u32 v44, v18, s0
	s_cmp_lg_u32 s2, 0
	s_add_co_ci_u32 s2, s61, s63
	s_and_b64 s[60:61], s[0:1], s[50:51]
	v_mul_u64_e32 v[38:39], s[2:3], v[18:19]
	v_mul_u64_e32 v[16:17], s[60:61], v[40:41]
	;; [unrolled: 1-line block ×3, first 2 shown]
	s_delay_alu instid0(VALU_DEP_3) | instskip(NEXT) | instid1(VALU_DEP_1)
	v_add_nc_u64_e32 v[38:39], v[44:45], v[38:39]
	v_add_co_u32 v13, vcc_lo, v38, v16
	s_delay_alu instid0(VALU_DEP_2) | instskip(NEXT) | instid1(VALU_DEP_4)
	v_add_co_ci_u32_e32 v44, vcc_lo, v39, v17, vcc_lo
	v_add_co_ci_u32_e32 v43, vcc_lo, 0, v43, vcc_lo
	s_delay_alu instid0(VALU_DEP_1) | instskip(NEXT) | instid1(VALU_DEP_1)
	v_add_nc_u64_e32 v[16:17], v[44:45], v[42:43]
	v_mul_u64_e32 v[38:39], s[54:55], v[16:17]
	s_delay_alu instid0(VALU_DEP_1) | instskip(NEXT) | instid1(VALU_DEP_2)
	v_sub_nc_u32_e32 v13, v40, v39
	v_sub_co_u32 v15, vcc_lo, v18, v38
	s_delay_alu instid0(VALU_DEP_1) | instskip(NEXT) | instid1(VALU_DEP_3)
	v_sub_co_ci_u32_e64 v33, null, v40, v39, vcc_lo
	v_subrev_co_ci_u32_e64 v13, null, s55, v13, vcc_lo
	s_delay_alu instid0(VALU_DEP_3) | instskip(SKIP_1) | instid1(VALU_DEP_3)
	v_sub_co_u32 v18, s0, v15, s54
	v_add_nc_u64_e32 v[38:39], 1, v[16:17]
	v_subrev_co_ci_u32_e64 v13, null, 0, v13, s0
	s_delay_alu instid0(VALU_DEP_3) | instskip(SKIP_1) | instid1(VALU_DEP_3)
	v_cmp_le_u32_e32 vcc_lo, s54, v18
	v_cndmask_b32_e64 v18, 0, -1, vcc_lo
	v_cmp_le_u32_e32 vcc_lo, s55, v13
	v_cndmask_b32_e64 v19, 0, -1, vcc_lo
	;; [unrolled: 2-line block ×4, first 2 shown]
	v_cmp_eq_u32_e32 vcc_lo, s55, v13
	v_cndmask_b32_e32 v13, v19, v18, vcc_lo
	v_cmp_eq_u32_e32 vcc_lo, s55, v33
	v_add_nc_u64_e32 v[18:19], 2, v[16:17]
	v_cndmask_b32_e32 v15, v40, v15, vcc_lo
	s_delay_alu instid0(VALU_DEP_4) | instskip(NEXT) | instid1(VALU_DEP_2)
	v_cmp_ne_u32_e32 vcc_lo, 0, v13
	v_cmp_ne_u32_e64 s0, 0, v15
	s_delay_alu instid0(VALU_DEP_4) | instskip(NEXT) | instid1(VALU_DEP_1)
	v_dual_cndmask_b32 v13, v39, v19, vcc_lo :: v_dual_cndmask_b32 v15, v38, v18, vcc_lo
	v_dual_cndmask_b32 v16, v16, v15, s0 :: v_dual_mov_b32 v15, v14
	s_delay_alu instid0(VALU_DEP_1) | instskip(NEXT) | instid1(VALU_DEP_1)
	v_dual_cndmask_b32 v13, v17, v13, s0 :: v_dual_bitop2_b32 v16, v16, v14 bitop3:0x14
	v_xor_b32_e32 v17, v13, v14
	s_delay_alu instid0(VALU_DEP_1)
	v_sub_nc_u64_e32 v[38:39], v[16:17], v[14:15]
.LBB42_17:                              ;   in Loop: Header=BB42_11 Depth=1
	s_and_not1_saveexec_b32 s0, s1
	s_cbranch_execz .LBB42_19
; %bb.18:                               ;   in Loop: Header=BB42_11 Depth=1
	v_mul_f32_e32 v13, 0x4f7ffffe, v12
	s_sub_co_i32 s1, 0, s12
	v_mov_b32_e32 v39, v32
	s_delay_alu instid0(VALU_DEP_2) | instskip(NEXT) | instid1(VALU_DEP_1)
	v_cvt_u32_f32_e32 v13, v13
	v_mul_lo_u32 v14, s1, v13
	s_delay_alu instid0(VALU_DEP_1) | instskip(NEXT) | instid1(VALU_DEP_1)
	v_mul_hi_u32 v14, v13, v14
	v_add_nc_u32_e32 v13, v13, v14
	s_delay_alu instid0(VALU_DEP_1) | instskip(NEXT) | instid1(VALU_DEP_1)
	v_mul_hi_u32 v13, v6, v13
	v_mul_lo_u32 v14, v13, s12
	s_delay_alu instid0(VALU_DEP_1) | instskip(NEXT) | instid1(VALU_DEP_1)
	v_dual_add_nc_u32 v15, 1, v13 :: v_dual_sub_nc_u32 v14, v6, v14
	v_subrev_nc_u32_e32 v16, s12, v14
	v_cmp_le_u32_e32 vcc_lo, s12, v14
	s_delay_alu instid0(VALU_DEP_2) | instskip(NEXT) | instid1(VALU_DEP_1)
	v_dual_cndmask_b32 v14, v14, v16 :: v_dual_cndmask_b32 v13, v13, v15
	v_cmp_le_u32_e32 vcc_lo, s12, v14
	s_delay_alu instid0(VALU_DEP_2) | instskip(NEXT) | instid1(VALU_DEP_1)
	v_add_nc_u32_e32 v15, 1, v13
	v_cndmask_b32_e32 v38, v13, v15, vcc_lo
.LBB42_19:                              ;   in Loop: Header=BB42_11 Depth=1
	s_or_b32 exec_lo, exec_lo, s0
	v_or_b32_e32 v33, s13, v9
                                        ; implicit-def: $vgpr40_vgpr41
	s_mov_b32 s0, exec_lo
	s_delay_alu instid0(VALU_DEP_1)
	v_cmpx_ne_u64_e32 0, v[32:33]
	s_xor_b32 s1, exec_lo, s0
	s_cbranch_execz .LBB42_21
; %bb.20:                               ;   in Loop: Header=BB42_11 Depth=1
	s_mov_b32 s53, s52
	v_dual_mov_b32 v19, v32 :: v_dual_ashrrev_i32 v14, 31, v9
	s_add_nc_u64 s[54:55], s[12:13], s[52:53]
	s_delay_alu instid0(SALU_CYCLE_1) | instskip(NEXT) | instid1(VALU_DEP_1)
	s_xor_b64 s[54:55], s[54:55], s[52:53]
	v_mov_b32_e32 v15, v14
	s_cvt_f32_u32 s0, s54
	s_cvt_f32_u32 s2, s55
	s_sub_nc_u64 s[62:63], 0, s[54:55]
	s_delay_alu instid0(VALU_DEP_1) | instskip(NEXT) | instid1(SALU_CYCLE_1)
	v_add_nc_u64_e32 v[16:17], v[8:9], v[14:15]
	s_fmamk_f32 s0, s2, 0x4f800000, s0
	v_mov_b32_e32 v43, v32
	s_delay_alu instid0(SALU_CYCLE_2) | instskip(NEXT) | instid1(VALU_DEP_2)
	v_s_rcp_f32 s0, s0
	v_xor_b32_e32 v18, v16, v14
	s_delay_alu instid0(VALU_DEP_3) | instskip(NEXT) | instid1(TRANS32_DEP_1)
	v_dual_mov_b32 v47, v32 :: v_dual_bitop2_b32 v42, v17, v14 bitop3:0x14
	s_mul_f32 s0, s0, 0x5f7ffffc
	s_delay_alu instid0(SALU_CYCLE_3) | instskip(NEXT) | instid1(SALU_CYCLE_3)
	s_mul_f32 s2, s0, 0x2f800000
	s_trunc_f32 s2, s2
	s_delay_alu instid0(SALU_CYCLE_3) | instskip(SKIP_1) | instid1(SALU_CYCLE_2)
	s_fmamk_f32 s0, s2, 0xcf800000, s0
	s_cvt_u32_f32 s61, s2
	s_cvt_u32_f32 s60, s0
	s_delay_alu instid0(SALU_CYCLE_3) | instskip(NEXT) | instid1(SALU_CYCLE_1)
	s_mul_u64 s[64:65], s[62:63], s[60:61]
	s_mul_hi_u32 s67, s60, s65
	s_mul_i32 s66, s60, s65
	s_mul_hi_u32 s2, s60, s64
	s_mul_i32 s53, s61, s64
	s_add_nc_u64 s[66:67], s[2:3], s[66:67]
	s_mul_hi_u32 s0, s61, s64
	s_mul_hi_u32 s68, s61, s65
	s_add_co_u32 s2, s66, s53
	s_add_co_ci_u32 s2, s67, s0
	s_mul_i32 s64, s61, s65
	s_add_co_ci_u32 s65, s68, 0
	s_delay_alu instid0(SALU_CYCLE_1) | instskip(NEXT) | instid1(SALU_CYCLE_1)
	s_add_nc_u64 s[64:65], s[2:3], s[64:65]
	s_add_co_u32 s60, s60, s64
	s_cselect_b32 s0, -1, 0
	s_delay_alu instid0(SALU_CYCLE_1) | instskip(SKIP_1) | instid1(SALU_CYCLE_1)
	s_cmp_lg_u32 s0, 0
	s_add_co_ci_u32 s61, s61, s65
	s_mul_u64 s[62:63], s[62:63], s[60:61]
	s_delay_alu instid0(SALU_CYCLE_1)
	s_mul_hi_u32 s65, s60, s63
	s_mul_i32 s64, s60, s63
	s_mul_hi_u32 s2, s60, s62
	s_mul_i32 s53, s61, s62
	s_add_nc_u64 s[64:65], s[2:3], s[64:65]
	s_mul_hi_u32 s0, s61, s62
	s_mul_hi_u32 s66, s61, s63
	s_add_co_u32 s2, s64, s53
	s_add_co_ci_u32 s2, s65, s0
	s_mul_i32 s62, s61, s63
	s_add_co_ci_u32 s63, s66, 0
	s_delay_alu instid0(SALU_CYCLE_1) | instskip(NEXT) | instid1(SALU_CYCLE_1)
	s_add_nc_u64 s[62:63], s[2:3], s[62:63]
	s_add_co_u32 s0, s60, s62
	s_cselect_b32 s2, -1, 0
	v_mul_hi_u32 v46, v18, s0
	s_cmp_lg_u32 s2, 0
	s_add_co_ci_u32 s2, s61, s63
	s_and_b64 s[60:61], s[0:1], s[50:51]
	v_mul_u64_e32 v[40:41], s[2:3], v[18:19]
	v_mul_u64_e32 v[16:17], s[60:61], v[42:43]
	;; [unrolled: 1-line block ×3, first 2 shown]
	s_delay_alu instid0(VALU_DEP_3) | instskip(NEXT) | instid1(VALU_DEP_1)
	v_add_nc_u64_e32 v[40:41], v[46:47], v[40:41]
	v_add_co_u32 v13, vcc_lo, v40, v16
	s_delay_alu instid0(VALU_DEP_2) | instskip(NEXT) | instid1(VALU_DEP_4)
	v_add_co_ci_u32_e32 v46, vcc_lo, v41, v17, vcc_lo
	v_add_co_ci_u32_e32 v45, vcc_lo, 0, v45, vcc_lo
	s_delay_alu instid0(VALU_DEP_1) | instskip(NEXT) | instid1(VALU_DEP_1)
	v_add_nc_u64_e32 v[16:17], v[46:47], v[44:45]
	v_mul_u64_e32 v[40:41], s[54:55], v[16:17]
	s_delay_alu instid0(VALU_DEP_1) | instskip(NEXT) | instid1(VALU_DEP_2)
	v_sub_nc_u32_e32 v13, v42, v41
	v_sub_co_u32 v15, vcc_lo, v18, v40
	s_delay_alu instid0(VALU_DEP_1) | instskip(NEXT) | instid1(VALU_DEP_3)
	v_sub_co_ci_u32_e64 v33, null, v42, v41, vcc_lo
	v_subrev_co_ci_u32_e64 v13, null, s55, v13, vcc_lo
	s_delay_alu instid0(VALU_DEP_3) | instskip(SKIP_1) | instid1(VALU_DEP_3)
	v_sub_co_u32 v18, s0, v15, s54
	v_add_nc_u64_e32 v[40:41], 1, v[16:17]
	v_subrev_co_ci_u32_e64 v13, null, 0, v13, s0
	s_delay_alu instid0(VALU_DEP_3) | instskip(SKIP_1) | instid1(VALU_DEP_3)
	v_cmp_le_u32_e32 vcc_lo, s54, v18
	v_cndmask_b32_e64 v18, 0, -1, vcc_lo
	v_cmp_le_u32_e32 vcc_lo, s55, v13
	v_cndmask_b32_e64 v19, 0, -1, vcc_lo
	;; [unrolled: 2-line block ×4, first 2 shown]
	v_cmp_eq_u32_e32 vcc_lo, s55, v13
	v_cndmask_b32_e32 v13, v19, v18, vcc_lo
	v_cmp_eq_u32_e32 vcc_lo, s55, v33
	v_add_nc_u64_e32 v[18:19], 2, v[16:17]
	v_cndmask_b32_e32 v15, v42, v15, vcc_lo
	s_delay_alu instid0(VALU_DEP_4) | instskip(NEXT) | instid1(VALU_DEP_2)
	v_cmp_ne_u32_e32 vcc_lo, 0, v13
	v_cmp_ne_u32_e64 s0, 0, v15
	s_delay_alu instid0(VALU_DEP_4) | instskip(NEXT) | instid1(VALU_DEP_1)
	v_dual_cndmask_b32 v13, v41, v19, vcc_lo :: v_dual_cndmask_b32 v15, v40, v18, vcc_lo
	v_dual_cndmask_b32 v13, v17, v13, s0 :: v_dual_bitop2_b32 v14, s52, v14 bitop3:0x14
	s_delay_alu instid0(VALU_DEP_1) | instskip(NEXT) | instid1(VALU_DEP_2)
	v_dual_cndmask_b32 v16, v16, v15, s0 :: v_dual_mov_b32 v15, v14
	v_xor_b32_e32 v17, v13, v14
	s_delay_alu instid0(VALU_DEP_2) | instskip(NEXT) | instid1(VALU_DEP_1)
	v_xor_b32_e32 v16, v16, v14
	v_sub_nc_u64_e32 v[40:41], v[16:17], v[14:15]
.LBB42_21:                              ;   in Loop: Header=BB42_11 Depth=1
	s_and_not1_saveexec_b32 s0, s1
	s_cbranch_execz .LBB42_23
; %bb.22:                               ;   in Loop: Header=BB42_11 Depth=1
	v_mul_f32_e32 v13, 0x4f7ffffe, v12
	s_sub_co_i32 s1, 0, s12
	v_mov_b32_e32 v41, v32
	s_delay_alu instid0(VALU_DEP_2) | instskip(NEXT) | instid1(VALU_DEP_1)
	v_cvt_u32_f32_e32 v13, v13
	v_mul_lo_u32 v14, s1, v13
	s_delay_alu instid0(VALU_DEP_1) | instskip(NEXT) | instid1(VALU_DEP_1)
	v_mul_hi_u32 v14, v13, v14
	v_add_nc_u32_e32 v13, v13, v14
	s_delay_alu instid0(VALU_DEP_1) | instskip(NEXT) | instid1(VALU_DEP_1)
	v_mul_hi_u32 v13, v8, v13
	v_mul_lo_u32 v14, v13, s12
	s_delay_alu instid0(VALU_DEP_1) | instskip(NEXT) | instid1(VALU_DEP_1)
	v_dual_add_nc_u32 v15, 1, v13 :: v_dual_sub_nc_u32 v14, v8, v14
	v_subrev_nc_u32_e32 v16, s12, v14
	v_cmp_le_u32_e32 vcc_lo, s12, v14
	s_delay_alu instid0(VALU_DEP_2) | instskip(NEXT) | instid1(VALU_DEP_1)
	v_dual_cndmask_b32 v14, v14, v16 :: v_dual_cndmask_b32 v13, v13, v15
	v_cmp_le_u32_e32 vcc_lo, s12, v14
	s_delay_alu instid0(VALU_DEP_2) | instskip(NEXT) | instid1(VALU_DEP_1)
	v_add_nc_u32_e32 v15, 1, v13
	v_cndmask_b32_e32 v40, v13, v15, vcc_lo
.LBB42_23:                              ;   in Loop: Header=BB42_11 Depth=1
	s_or_b32 exec_lo, exec_lo, s0
	v_or_b32_e32 v33, s13, v11
                                        ; implicit-def: $vgpr42_vgpr43
	s_mov_b32 s0, exec_lo
	s_delay_alu instid0(VALU_DEP_1)
	v_cmpx_ne_u64_e32 0, v[32:33]
	s_xor_b32 s1, exec_lo, s0
	s_cbranch_execnz .LBB42_29
; %bb.24:                               ;   in Loop: Header=BB42_11 Depth=1
	s_and_not1_saveexec_b32 s0, s1
	s_cbranch_execnz .LBB42_30
.LBB42_25:                              ;   in Loop: Header=BB42_11 Depth=1
	s_or_b32 exec_lo, exec_lo, s0
	s_delay_alu instid0(SALU_CYCLE_1)
	s_and_not1_b32 vcc_lo, exec_lo, s58
                                        ; implicit-def: $vgpr12_vgpr13_vgpr14_vgpr15_vgpr16_vgpr17_vgpr18_vgpr19
	s_cbranch_vccz .LBB42_31
.LBB42_26:                              ;   in Loop: Header=BB42_11 Depth=1
	s_and_not1_b32 vcc_lo, exec_lo, s58
	s_cbranch_vccz .LBB42_36
.LBB42_27:                              ;   in Loop: Header=BB42_11 Depth=1
	s_and_not1_b32 vcc_lo, exec_lo, s58
	s_cbranch_vccz .LBB42_41
.LBB42_28:                              ;   in Loop: Header=BB42_11 Depth=1
	s_and_not1_b32 vcc_lo, exec_lo, s58
	s_cbranch_vccnz .LBB42_10
	s_branch .LBB42_46
.LBB42_29:                              ;   in Loop: Header=BB42_11 Depth=1
	s_mov_b32 s53, s52
	v_dual_mov_b32 v17, v32 :: v_dual_ashrrev_i32 v12, 31, v11
	s_add_nc_u64 s[54:55], s[12:13], s[52:53]
	s_delay_alu instid0(SALU_CYCLE_1) | instskip(NEXT) | instid1(VALU_DEP_1)
	s_xor_b64 s[54:55], s[54:55], s[52:53]
	v_mov_b32_e32 v13, v12
	s_cvt_f32_u32 s0, s54
	s_cvt_f32_u32 s2, s55
	s_sub_nc_u64 s[62:63], 0, s[54:55]
	s_delay_alu instid0(VALU_DEP_1) | instskip(NEXT) | instid1(SALU_CYCLE_1)
	v_add_nc_u64_e32 v[14:15], v[10:11], v[12:13]
	s_fmamk_f32 s0, s2, 0x4f800000, s0
	v_mov_b32_e32 v43, v32
	s_delay_alu instid0(SALU_CYCLE_2) | instskip(NEXT) | instid1(VALU_DEP_2)
	v_s_rcp_f32 s0, s0
	v_xor_b32_e32 v16, v14, v12
	s_delay_alu instid0(VALU_DEP_3) | instskip(NEXT) | instid1(TRANS32_DEP_1)
	v_dual_mov_b32 v47, v32 :: v_dual_bitop2_b32 v42, v15, v12 bitop3:0x14
	s_mul_f32 s0, s0, 0x5f7ffffc
	s_delay_alu instid0(SALU_CYCLE_3) | instskip(NEXT) | instid1(SALU_CYCLE_3)
	s_mul_f32 s2, s0, 0x2f800000
	s_trunc_f32 s2, s2
	s_delay_alu instid0(SALU_CYCLE_3) | instskip(SKIP_1) | instid1(SALU_CYCLE_2)
	s_fmamk_f32 s0, s2, 0xcf800000, s0
	s_cvt_u32_f32 s61, s2
	s_cvt_u32_f32 s60, s0
	s_delay_alu instid0(SALU_CYCLE_3) | instskip(NEXT) | instid1(SALU_CYCLE_1)
	s_mul_u64 s[64:65], s[62:63], s[60:61]
	s_mul_hi_u32 s67, s60, s65
	s_mul_i32 s66, s60, s65
	s_mul_hi_u32 s2, s60, s64
	s_mul_i32 s53, s61, s64
	s_add_nc_u64 s[66:67], s[2:3], s[66:67]
	s_mul_hi_u32 s0, s61, s64
	s_mul_hi_u32 s68, s61, s65
	s_add_co_u32 s2, s66, s53
	s_add_co_ci_u32 s2, s67, s0
	s_mul_i32 s64, s61, s65
	s_add_co_ci_u32 s65, s68, 0
	s_delay_alu instid0(SALU_CYCLE_1) | instskip(NEXT) | instid1(SALU_CYCLE_1)
	s_add_nc_u64 s[64:65], s[2:3], s[64:65]
	s_add_co_u32 s60, s60, s64
	s_cselect_b32 s0, -1, 0
	s_delay_alu instid0(SALU_CYCLE_1) | instskip(SKIP_1) | instid1(SALU_CYCLE_1)
	s_cmp_lg_u32 s0, 0
	s_add_co_ci_u32 s61, s61, s65
	s_mul_u64 s[62:63], s[62:63], s[60:61]
	s_delay_alu instid0(SALU_CYCLE_1)
	s_mul_hi_u32 s65, s60, s63
	s_mul_i32 s64, s60, s63
	s_mul_hi_u32 s2, s60, s62
	s_mul_i32 s53, s61, s62
	s_add_nc_u64 s[64:65], s[2:3], s[64:65]
	s_mul_hi_u32 s0, s61, s62
	s_mul_hi_u32 s66, s61, s63
	s_add_co_u32 s2, s64, s53
	s_add_co_ci_u32 s2, s65, s0
	s_mul_i32 s62, s61, s63
	s_add_co_ci_u32 s63, s66, 0
	s_delay_alu instid0(SALU_CYCLE_1) | instskip(NEXT) | instid1(SALU_CYCLE_1)
	s_add_nc_u64 s[62:63], s[2:3], s[62:63]
	s_add_co_u32 s0, s60, s62
	s_cselect_b32 s2, -1, 0
	v_mul_hi_u32 v46, v16, s0
	s_cmp_lg_u32 s2, 0
	s_add_co_ci_u32 s2, s61, s63
	s_and_b64 s[60:61], s[0:1], s[50:51]
	v_mul_u64_e32 v[18:19], s[2:3], v[16:17]
	v_mul_u64_e32 v[14:15], s[60:61], v[42:43]
	;; [unrolled: 1-line block ×3, first 2 shown]
	s_delay_alu instid0(VALU_DEP_3) | instskip(NEXT) | instid1(VALU_DEP_1)
	v_add_nc_u64_e32 v[18:19], v[46:47], v[18:19]
	v_add_co_u32 v13, vcc_lo, v18, v14
	s_delay_alu instid0(VALU_DEP_2) | instskip(NEXT) | instid1(VALU_DEP_4)
	v_add_co_ci_u32_e32 v46, vcc_lo, v19, v15, vcc_lo
	v_add_co_ci_u32_e32 v45, vcc_lo, 0, v45, vcc_lo
	s_delay_alu instid0(VALU_DEP_1) | instskip(NEXT) | instid1(VALU_DEP_1)
	v_add_nc_u64_e32 v[14:15], v[46:47], v[44:45]
	v_mul_u64_e32 v[18:19], s[54:55], v[14:15]
	s_delay_alu instid0(VALU_DEP_1) | instskip(NEXT) | instid1(VALU_DEP_2)
	v_sub_nc_u32_e32 v13, v42, v19
	v_sub_co_u32 v16, vcc_lo, v16, v18
	s_delay_alu instid0(VALU_DEP_1) | instskip(NEXT) | instid1(VALU_DEP_3)
	v_sub_co_ci_u32_e64 v33, null, v42, v19, vcc_lo
	v_subrev_co_ci_u32_e64 v13, null, s55, v13, vcc_lo
	s_delay_alu instid0(VALU_DEP_3) | instskip(NEXT) | instid1(VALU_DEP_1)
	v_sub_co_u32 v17, s0, v16, s54
	v_subrev_co_ci_u32_e64 v13, null, 0, v13, s0
	s_delay_alu instid0(VALU_DEP_2) | instskip(SKIP_1) | instid1(VALU_DEP_3)
	v_cmp_le_u32_e32 vcc_lo, s54, v17
	v_cndmask_b32_e64 v17, 0, -1, vcc_lo
	v_cmp_le_u32_e32 vcc_lo, s55, v13
	v_cndmask_b32_e64 v18, 0, -1, vcc_lo
	;; [unrolled: 2-line block ×4, first 2 shown]
	v_cmp_eq_u32_e32 vcc_lo, s55, v13
	v_cndmask_b32_e32 v13, v18, v17, vcc_lo
	v_cmp_eq_u32_e32 vcc_lo, s55, v33
	v_add_nc_u64_e32 v[16:17], 2, v[14:15]
	v_add_nc_u64_e32 v[18:19], 1, v[14:15]
	v_cndmask_b32_e32 v33, v43, v42, vcc_lo
	v_cmp_ne_u32_e32 vcc_lo, 0, v13
	s_delay_alu instid0(VALU_DEP_2) | instskip(NEXT) | instid1(VALU_DEP_4)
	v_cmp_ne_u32_e64 s0, 0, v33
	v_dual_cndmask_b32 v13, v19, v17 :: v_dual_cndmask_b32 v16, v18, v16
	s_delay_alu instid0(VALU_DEP_1) | instskip(NEXT) | instid1(VALU_DEP_1)
	v_dual_cndmask_b32 v15, v15, v13, s0 :: v_dual_bitop2_b32 v12, s52, v12 bitop3:0x14
	v_dual_cndmask_b32 v14, v14, v16, s0 :: v_dual_mov_b32 v13, v12
	s_delay_alu instid0(VALU_DEP_2) | instskip(NEXT) | instid1(VALU_DEP_2)
	v_xor_b32_e32 v15, v15, v12
	v_xor_b32_e32 v14, v14, v12
	s_delay_alu instid0(VALU_DEP_1)
	v_sub_nc_u64_e32 v[42:43], v[14:15], v[12:13]
                                        ; implicit-def: $vgpr12
	s_and_not1_saveexec_b32 s0, s1
	s_cbranch_execz .LBB42_25
.LBB42_30:                              ;   in Loop: Header=BB42_11 Depth=1
	v_mul_f32_e32 v12, 0x4f7ffffe, v12
	s_sub_co_i32 s1, 0, s12
	v_mov_b32_e32 v43, v32
	s_delay_alu instid0(VALU_DEP_2) | instskip(NEXT) | instid1(VALU_DEP_1)
	v_cvt_u32_f32_e32 v12, v12
	v_mul_lo_u32 v13, s1, v12
	s_delay_alu instid0(VALU_DEP_1) | instskip(NEXT) | instid1(VALU_DEP_1)
	v_mul_hi_u32 v13, v12, v13
	v_add_nc_u32_e32 v12, v12, v13
	s_delay_alu instid0(VALU_DEP_1) | instskip(NEXT) | instid1(VALU_DEP_1)
	v_mul_hi_u32 v12, v10, v12
	v_mul_lo_u32 v13, v12, s12
	s_delay_alu instid0(VALU_DEP_1) | instskip(NEXT) | instid1(VALU_DEP_1)
	v_dual_add_nc_u32 v14, 1, v12 :: v_dual_sub_nc_u32 v13, v10, v13
	v_subrev_nc_u32_e32 v15, s12, v13
	v_cmp_le_u32_e32 vcc_lo, s12, v13
	s_delay_alu instid0(VALU_DEP_2) | instskip(NEXT) | instid1(VALU_DEP_1)
	v_dual_cndmask_b32 v13, v13, v15 :: v_dual_cndmask_b32 v12, v12, v14
	v_cmp_le_u32_e32 vcc_lo, s12, v13
	s_delay_alu instid0(VALU_DEP_2) | instskip(NEXT) | instid1(VALU_DEP_1)
	v_add_nc_u32_e32 v14, 1, v12
	v_cndmask_b32_e32 v42, v12, v14, vcc_lo
	s_or_b32 exec_lo, exec_lo, s0
	s_delay_alu instid0(SALU_CYCLE_1)
	s_and_not1_b32 vcc_lo, exec_lo, s58
                                        ; implicit-def: $vgpr12_vgpr13_vgpr14_vgpr15_vgpr16_vgpr17_vgpr18_vgpr19
	s_cbranch_vccnz .LBB42_26
.LBB42_31:                              ;   in Loop: Header=BB42_11 Depth=1
	v_mad_nc_u64_u32 v[14:15], s20, v36, v[0:1]
	s_mov_b32 s0, exec_lo
	s_delay_alu instid0(VALU_DEP_1) | instskip(NEXT) | instid1(VALU_DEP_1)
	v_mad_u32 v12, s21, v36, v15
	v_mad_u32 v15, s20, v37, v12
                                        ; implicit-def: $vgpr12_vgpr13
	s_delay_alu instid0(VALU_DEP_1) | instskip(NEXT) | instid1(VALU_DEP_1)
	v_or_b32_e32 v33, s19, v15
	v_cmpx_ne_u64_e32 0, v[32:33]
	s_xor_b32 s1, exec_lo, s0
	s_cbranch_execz .LBB42_33
; %bb.32:                               ;   in Loop: Header=BB42_11 Depth=1
	s_ashr_i32 s54, s19, 31
	v_dual_mov_b32 v17, v32 :: v_dual_ashrrev_i32 v12, 31, v15
	s_mov_b32 s55, s54
	v_mov_b32_e32 v49, v32
	s_add_nc_u64 s[60:61], s[18:19], s[54:55]
	s_delay_alu instid0(VALU_DEP_2) | instskip(SKIP_1) | instid1(SALU_CYCLE_1)
	v_mov_b32_e32 v13, v12
	s_xor_b64 s[54:55], s[60:61], s[54:55]
	s_cvt_f32_u32 s0, s54
	s_cvt_f32_u32 s2, s55
	s_sub_nc_u64 s[62:63], 0, s[54:55]
	v_add_nc_u64_e32 v[14:15], v[14:15], v[12:13]
	v_mov_b32_e32 v45, v32
	s_fmamk_f32 s0, s2, 0x4f800000, s0
	s_delay_alu instid0(SALU_CYCLE_3) | instskip(NEXT) | instid1(VALU_DEP_2)
	v_s_rcp_f32 s0, s0
	v_xor_b32_e32 v16, v14, v12
	s_delay_alu instid0(VALU_DEP_3) | instskip(NEXT) | instid1(TRANS32_DEP_1)
	v_xor_b32_e32 v44, v15, v12
	s_mul_f32 s0, s0, 0x5f7ffffc
	s_delay_alu instid0(SALU_CYCLE_3) | instskip(NEXT) | instid1(SALU_CYCLE_3)
	s_mul_f32 s2, s0, 0x2f800000
	s_trunc_f32 s2, s2
	s_delay_alu instid0(SALU_CYCLE_3) | instskip(SKIP_1) | instid1(SALU_CYCLE_2)
	s_fmamk_f32 s0, s2, 0xcf800000, s0
	s_cvt_u32_f32 s61, s2
	s_cvt_u32_f32 s60, s0
	s_delay_alu instid0(SALU_CYCLE_3) | instskip(NEXT) | instid1(SALU_CYCLE_1)
	s_mul_u64 s[64:65], s[62:63], s[60:61]
	s_mul_hi_u32 s67, s60, s65
	s_mul_i32 s66, s60, s65
	s_mul_hi_u32 s2, s60, s64
	s_mul_i32 s53, s61, s64
	s_add_nc_u64 s[66:67], s[2:3], s[66:67]
	s_mul_hi_u32 s0, s61, s64
	s_mul_hi_u32 s68, s61, s65
	s_add_co_u32 s2, s66, s53
	s_add_co_ci_u32 s2, s67, s0
	s_mul_i32 s64, s61, s65
	s_add_co_ci_u32 s65, s68, 0
	s_delay_alu instid0(SALU_CYCLE_1) | instskip(NEXT) | instid1(SALU_CYCLE_1)
	s_add_nc_u64 s[64:65], s[2:3], s[64:65]
	s_add_co_u32 s60, s60, s64
	s_cselect_b32 s0, -1, 0
	s_delay_alu instid0(SALU_CYCLE_1) | instskip(SKIP_1) | instid1(SALU_CYCLE_1)
	s_cmp_lg_u32 s0, 0
	s_add_co_ci_u32 s61, s61, s65
	s_mul_u64 s[62:63], s[62:63], s[60:61]
	s_delay_alu instid0(SALU_CYCLE_1)
	s_mul_hi_u32 s65, s60, s63
	s_mul_i32 s64, s60, s63
	s_mul_hi_u32 s2, s60, s62
	s_mul_i32 s53, s61, s62
	s_add_nc_u64 s[64:65], s[2:3], s[64:65]
	s_mul_hi_u32 s0, s61, s62
	s_mul_hi_u32 s66, s61, s63
	s_add_co_u32 s2, s64, s53
	s_add_co_ci_u32 s2, s65, s0
	s_mul_i32 s62, s61, s63
	s_add_co_ci_u32 s63, s66, 0
	s_delay_alu instid0(SALU_CYCLE_1) | instskip(NEXT) | instid1(SALU_CYCLE_1)
	s_add_nc_u64 s[62:63], s[2:3], s[62:63]
	s_add_co_u32 s0, s60, s62
	s_cselect_b32 s2, -1, 0
	v_mul_hi_u32 v48, v16, s0
	s_cmp_lg_u32 s2, 0
	s_add_co_ci_u32 s2, s61, s63
	s_and_b64 s[60:61], s[0:1], s[50:51]
	v_mul_u64_e32 v[18:19], s[2:3], v[16:17]
	v_mul_u64_e32 v[14:15], s[60:61], v[44:45]
	;; [unrolled: 1-line block ×3, first 2 shown]
	s_delay_alu instid0(VALU_DEP_3) | instskip(NEXT) | instid1(VALU_DEP_1)
	v_add_nc_u64_e32 v[18:19], v[48:49], v[18:19]
	v_add_co_u32 v14, vcc_lo, v18, v14
	s_delay_alu instid0(VALU_DEP_2) | instskip(NEXT) | instid1(VALU_DEP_4)
	v_add_co_ci_u32_e32 v48, vcc_lo, v19, v15, vcc_lo
	v_add_co_ci_u32_e32 v47, vcc_lo, 0, v47, vcc_lo
	s_delay_alu instid0(VALU_DEP_1) | instskip(NEXT) | instid1(VALU_DEP_1)
	v_add_nc_u64_e32 v[14:15], v[48:49], v[46:47]
	v_mul_u64_e32 v[14:15], s[54:55], v[14:15]
	s_delay_alu instid0(VALU_DEP_1) | instskip(NEXT) | instid1(VALU_DEP_2)
	v_sub_nc_u32_e32 v17, v44, v15
	v_sub_co_u32 v14, vcc_lo, v16, v14
	s_delay_alu instid0(VALU_DEP_1) | instskip(NEXT) | instid1(VALU_DEP_3)
	v_sub_co_ci_u32_e64 v15, null, v44, v15, vcc_lo
	v_subrev_co_ci_u32_e64 v16, null, s55, v17, vcc_lo
	s_delay_alu instid0(VALU_DEP_3) | instskip(SKIP_1) | instid1(VALU_DEP_3)
	v_sub_co_u32 v17, vcc_lo, v14, s54
	v_cmp_le_u32_e64 s0, s54, v14
	v_subrev_co_ci_u32_e64 v18, null, 0, v16, vcc_lo
	v_subrev_co_ci_u32_e64 v16, null, s55, v16, vcc_lo
	s_delay_alu instid0(VALU_DEP_3) | instskip(SKIP_2) | instid1(VALU_DEP_2)
	v_cndmask_b32_e64 v19, 0, -1, s0
	v_cmp_le_u32_e64 s0, s54, v17
	v_cmp_le_u32_e32 vcc_lo, s55, v15
	v_cndmask_b32_e64 v33, 0, -1, s0
	v_cmp_le_u32_e64 s0, s55, v18
	v_cndmask_b32_e64 v45, 0, -1, vcc_lo
	v_cmp_eq_u32_e32 vcc_lo, s55, v18
	s_delay_alu instid0(VALU_DEP_3) | instskip(SKIP_1) | instid1(VALU_DEP_2)
	v_cndmask_b32_e64 v44, 0, -1, s0
	v_cmp_eq_u32_e64 s0, s55, v15
	v_cndmask_b32_e32 v33, v44, v33, vcc_lo
	v_sub_co_u32 v44, vcc_lo, v17, s54
	s_delay_alu instid0(VALU_DEP_1) | instskip(NEXT) | instid1(VALU_DEP_3)
	v_subrev_co_ci_u32_e64 v16, null, 0, v16, vcc_lo
	v_cmp_ne_u32_e32 vcc_lo, 0, v33
	s_delay_alu instid0(VALU_DEP_2) | instskip(NEXT) | instid1(VALU_DEP_4)
	v_dual_cndmask_b32 v19, v45, v19, s0 :: v_dual_cndmask_b32 v16, v18, v16, vcc_lo
	v_cndmask_b32_e32 v17, v17, v44, vcc_lo
	s_delay_alu instid0(VALU_DEP_2) | instskip(NEXT) | instid1(VALU_DEP_2)
	v_cmp_ne_u32_e32 vcc_lo, 0, v19
	v_dual_cndmask_b32 v15, v15, v16 :: v_dual_cndmask_b32 v14, v14, v17
	s_delay_alu instid0(VALU_DEP_1) | instskip(NEXT) | instid1(VALU_DEP_2)
	v_xor_b32_e32 v15, v15, v12
	v_xor_b32_e32 v14, v14, v12
	s_delay_alu instid0(VALU_DEP_1)
	v_sub_nc_u64_e32 v[12:13], v[14:15], v[12:13]
                                        ; implicit-def: $vgpr14_vgpr15
.LBB42_33:                              ;   in Loop: Header=BB42_11 Depth=1
	s_and_not1_saveexec_b32 s0, s1
	s_cbranch_execz .LBB42_35
; %bb.34:                               ;   in Loop: Header=BB42_11 Depth=1
	v_cvt_f32_u32_e32 v12, s18
	s_sub_co_i32 s1, 0, s18
	s_delay_alu instid0(VALU_DEP_1) | instskip(SKIP_1) | instid1(TRANS32_DEP_1)
	v_rcp_iflag_f32_e32 v12, v12
	v_nop
	v_mul_f32_e32 v12, 0x4f7ffffe, v12
	s_delay_alu instid0(VALU_DEP_1) | instskip(NEXT) | instid1(VALU_DEP_1)
	v_cvt_u32_f32_e32 v12, v12
	v_mul_lo_u32 v13, s1, v12
	s_delay_alu instid0(VALU_DEP_1) | instskip(NEXT) | instid1(VALU_DEP_1)
	v_mul_hi_u32 v13, v12, v13
	v_add_nc_u32_e32 v12, v12, v13
	s_delay_alu instid0(VALU_DEP_1) | instskip(NEXT) | instid1(VALU_DEP_1)
	v_mul_hi_u32 v12, v14, v12
	v_mul_lo_u32 v12, v12, s18
	s_delay_alu instid0(VALU_DEP_1) | instskip(NEXT) | instid1(VALU_DEP_1)
	v_sub_nc_u32_e32 v12, v14, v12
	v_subrev_nc_u32_e32 v13, s18, v12
	v_cmp_le_u32_e32 vcc_lo, s18, v12
	s_delay_alu instid0(VALU_DEP_2) | instskip(NEXT) | instid1(VALU_DEP_1)
	v_cndmask_b32_e32 v12, v12, v13, vcc_lo
	v_subrev_nc_u32_e32 v13, s18, v12
	v_cmp_le_u32_e32 vcc_lo, s18, v12
	s_delay_alu instid0(VALU_DEP_2)
	v_cndmask_b32_e32 v12, v12, v13, vcc_lo
	v_mov_b32_e32 v13, v32
.LBB42_35:                              ;   in Loop: Header=BB42_11 Depth=1
	s_or_b32 exec_lo, exec_lo, s0
	s_delay_alu instid0(SALU_CYCLE_1)
	s_and_not1_b32 vcc_lo, exec_lo, s58
	s_cbranch_vccnz .LBB42_27
.LBB42_36:                              ;   in Loop: Header=BB42_11 Depth=1
	v_mad_nc_u64_u32 v[44:45], s20, v38, v[30:31]
	s_mov_b32 s0, exec_lo
	s_delay_alu instid0(VALU_DEP_1) | instskip(NEXT) | instid1(VALU_DEP_1)
	v_mad_u32 v14, s21, v38, v45
	v_mad_u32 v45, s20, v39, v14
	s_delay_alu instid0(VALU_DEP_1) | instskip(NEXT) | instid1(VALU_DEP_1)
	v_or_b32_e32 v33, s19, v45
	v_cmpx_ne_u64_e32 0, v[32:33]
	s_xor_b32 s1, exec_lo, s0
	s_cbranch_execz .LBB42_38
; %bb.37:                               ;   in Loop: Header=BB42_11 Depth=1
	s_ashr_i32 s54, s19, 31
	v_dual_mov_b32 v47, v32 :: v_dual_ashrrev_i32 v14, 31, v45
	s_mov_b32 s55, s54
	s_delay_alu instid0(SALU_CYCLE_1) | instskip(NEXT) | instid1(VALU_DEP_1)
	s_add_nc_u64 s[60:61], s[18:19], s[54:55]
	v_mov_b32_e32 v15, v14
	s_xor_b64 s[54:55], s[60:61], s[54:55]
	s_delay_alu instid0(SALU_CYCLE_1)
	s_cvt_f32_u32 s0, s54
	s_cvt_f32_u32 s2, s55
	s_sub_nc_u64 s[62:63], 0, s[54:55]
	v_add_nc_u64_e32 v[44:45], v[44:45], v[14:15]
	v_mov_b32_e32 v51, v32
	s_fmamk_f32 s0, s2, 0x4f800000, s0
	s_delay_alu instid0(SALU_CYCLE_3) | instskip(NEXT) | instid1(VALU_DEP_2)
	v_s_rcp_f32 s0, s0
	v_xor_b32_e32 v46, v44, v14
	s_delay_alu instid0(VALU_DEP_3) | instskip(NEXT) | instid1(TRANS32_DEP_1)
	v_dual_mov_b32 v55, v32 :: v_dual_bitop2_b32 v50, v45, v14 bitop3:0x14
	s_mul_f32 s0, s0, 0x5f7ffffc
	s_delay_alu instid0(SALU_CYCLE_3) | instskip(NEXT) | instid1(SALU_CYCLE_3)
	s_mul_f32 s2, s0, 0x2f800000
	s_trunc_f32 s2, s2
	s_delay_alu instid0(SALU_CYCLE_3) | instskip(SKIP_1) | instid1(SALU_CYCLE_2)
	s_fmamk_f32 s0, s2, 0xcf800000, s0
	s_cvt_u32_f32 s61, s2
	s_cvt_u32_f32 s60, s0
	s_delay_alu instid0(SALU_CYCLE_3) | instskip(NEXT) | instid1(SALU_CYCLE_1)
	s_mul_u64 s[64:65], s[62:63], s[60:61]
	s_mul_hi_u32 s67, s60, s65
	s_mul_i32 s66, s60, s65
	s_mul_hi_u32 s2, s60, s64
	s_mul_i32 s53, s61, s64
	s_add_nc_u64 s[66:67], s[2:3], s[66:67]
	s_mul_hi_u32 s0, s61, s64
	s_mul_hi_u32 s68, s61, s65
	s_add_co_u32 s2, s66, s53
	s_add_co_ci_u32 s2, s67, s0
	s_mul_i32 s64, s61, s65
	s_add_co_ci_u32 s65, s68, 0
	s_delay_alu instid0(SALU_CYCLE_1) | instskip(NEXT) | instid1(SALU_CYCLE_1)
	s_add_nc_u64 s[64:65], s[2:3], s[64:65]
	s_add_co_u32 s60, s60, s64
	s_cselect_b32 s0, -1, 0
	s_delay_alu instid0(SALU_CYCLE_1) | instskip(SKIP_1) | instid1(SALU_CYCLE_1)
	s_cmp_lg_u32 s0, 0
	s_add_co_ci_u32 s61, s61, s65
	s_mul_u64 s[62:63], s[62:63], s[60:61]
	s_delay_alu instid0(SALU_CYCLE_1)
	s_mul_hi_u32 s65, s60, s63
	s_mul_i32 s64, s60, s63
	s_mul_hi_u32 s2, s60, s62
	s_mul_i32 s53, s61, s62
	s_add_nc_u64 s[64:65], s[2:3], s[64:65]
	s_mul_hi_u32 s0, s61, s62
	s_mul_hi_u32 s66, s61, s63
	s_add_co_u32 s2, s64, s53
	s_add_co_ci_u32 s2, s65, s0
	s_mul_i32 s62, s61, s63
	s_add_co_ci_u32 s63, s66, 0
	s_delay_alu instid0(SALU_CYCLE_1) | instskip(NEXT) | instid1(SALU_CYCLE_1)
	s_add_nc_u64 s[62:63], s[2:3], s[62:63]
	s_add_co_u32 s0, s60, s62
	s_cselect_b32 s2, -1, 0
	v_mul_hi_u32 v54, v46, s0
	s_cmp_lg_u32 s2, 0
	s_add_co_ci_u32 s2, s61, s63
	s_and_b64 s[60:61], s[0:1], s[50:51]
	v_mul_u64_e32 v[48:49], s[2:3], v[46:47]
	v_mul_u64_e32 v[44:45], s[60:61], v[50:51]
	;; [unrolled: 1-line block ×3, first 2 shown]
	s_delay_alu instid0(VALU_DEP_3) | instskip(NEXT) | instid1(VALU_DEP_1)
	v_add_nc_u64_e32 v[48:49], v[54:55], v[48:49]
	v_add_co_u32 v33, vcc_lo, v48, v44
	s_delay_alu instid0(VALU_DEP_2) | instskip(NEXT) | instid1(VALU_DEP_4)
	v_add_co_ci_u32_e32 v54, vcc_lo, v49, v45, vcc_lo
	v_add_co_ci_u32_e32 v53, vcc_lo, 0, v53, vcc_lo
	s_delay_alu instid0(VALU_DEP_1) | instskip(NEXT) | instid1(VALU_DEP_1)
	v_add_nc_u64_e32 v[44:45], v[54:55], v[52:53]
	v_mul_u64_e32 v[44:45], s[54:55], v[44:45]
	s_delay_alu instid0(VALU_DEP_1) | instskip(NEXT) | instid1(VALU_DEP_2)
	v_sub_nc_u32_e32 v33, v50, v45
	v_sub_co_u32 v44, vcc_lo, v46, v44
	s_delay_alu instid0(VALU_DEP_1) | instskip(NEXT) | instid1(VALU_DEP_3)
	v_sub_co_ci_u32_e64 v45, null, v50, v45, vcc_lo
	v_subrev_co_ci_u32_e64 v33, null, s55, v33, vcc_lo
	s_delay_alu instid0(VALU_DEP_3) | instskip(SKIP_1) | instid1(VALU_DEP_3)
	v_sub_co_u32 v46, vcc_lo, v44, s54
	v_cmp_le_u32_e64 s0, s54, v44
	v_subrev_co_ci_u32_e64 v47, null, 0, v33, vcc_lo
	v_subrev_co_ci_u32_e64 v33, null, s55, v33, vcc_lo
	s_delay_alu instid0(VALU_DEP_3) | instskip(SKIP_2) | instid1(VALU_DEP_2)
	v_cndmask_b32_e64 v48, 0, -1, s0
	v_cmp_le_u32_e64 s0, s54, v46
	v_cmp_le_u32_e32 vcc_lo, s55, v45
	v_cndmask_b32_e64 v49, 0, -1, s0
	v_cmp_le_u32_e64 s0, s55, v47
	v_cndmask_b32_e64 v51, 0, -1, vcc_lo
	v_cmp_eq_u32_e32 vcc_lo, s55, v47
	s_delay_alu instid0(VALU_DEP_3) | instskip(SKIP_1) | instid1(VALU_DEP_1)
	v_cndmask_b32_e64 v50, 0, -1, s0
	v_cmp_eq_u32_e64 s0, s55, v45
	v_dual_cndmask_b32 v49, v50, v49, vcc_lo :: v_dual_cndmask_b32 v48, v51, v48, s0
	v_sub_co_u32 v50, vcc_lo, v46, s54
	s_delay_alu instid0(VALU_DEP_1) | instskip(NEXT) | instid1(VALU_DEP_3)
	v_subrev_co_ci_u32_e64 v33, null, 0, v33, vcc_lo
	v_cmp_ne_u32_e32 vcc_lo, 0, v49
	s_delay_alu instid0(VALU_DEP_2) | instskip(SKIP_1) | instid1(VALU_DEP_2)
	v_dual_cndmask_b32 v33, v47, v33 :: v_dual_cndmask_b32 v46, v46, v50
	v_cmp_ne_u32_e32 vcc_lo, 0, v48
	v_dual_cndmask_b32 v33, v45, v33 :: v_dual_cndmask_b32 v44, v44, v46
	s_delay_alu instid0(VALU_DEP_1) | instskip(NEXT) | instid1(VALU_DEP_2)
	v_xor_b32_e32 v45, v33, v14
	v_xor_b32_e32 v44, v44, v14
	s_delay_alu instid0(VALU_DEP_1)
	v_sub_nc_u64_e32 v[14:15], v[44:45], v[14:15]
                                        ; implicit-def: $vgpr44_vgpr45
.LBB42_38:                              ;   in Loop: Header=BB42_11 Depth=1
	s_and_not1_saveexec_b32 s0, s1
	s_cbranch_execz .LBB42_40
; %bb.39:                               ;   in Loop: Header=BB42_11 Depth=1
	v_cvt_f32_u32_e32 v14, s18
	s_sub_co_i32 s1, 0, s18
	s_delay_alu instid0(VALU_DEP_1) | instskip(SKIP_1) | instid1(TRANS32_DEP_1)
	v_rcp_iflag_f32_e32 v14, v14
	v_nop
	v_mul_f32_e32 v14, 0x4f7ffffe, v14
	s_delay_alu instid0(VALU_DEP_1) | instskip(NEXT) | instid1(VALU_DEP_1)
	v_cvt_u32_f32_e32 v14, v14
	v_mul_lo_u32 v15, s1, v14
	s_delay_alu instid0(VALU_DEP_1) | instskip(NEXT) | instid1(VALU_DEP_1)
	v_mul_hi_u32 v15, v14, v15
	v_add_nc_u32_e32 v14, v14, v15
	s_delay_alu instid0(VALU_DEP_1) | instskip(NEXT) | instid1(VALU_DEP_1)
	v_mul_hi_u32 v14, v44, v14
	v_mul_lo_u32 v14, v14, s18
	s_delay_alu instid0(VALU_DEP_1) | instskip(NEXT) | instid1(VALU_DEP_1)
	v_sub_nc_u32_e32 v14, v44, v14
	v_subrev_nc_u32_e32 v15, s18, v14
	v_cmp_le_u32_e32 vcc_lo, s18, v14
	s_delay_alu instid0(VALU_DEP_2) | instskip(NEXT) | instid1(VALU_DEP_1)
	v_cndmask_b32_e32 v14, v14, v15, vcc_lo
	v_subrev_nc_u32_e32 v15, s18, v14
	v_cmp_le_u32_e32 vcc_lo, s18, v14
	s_delay_alu instid0(VALU_DEP_2)
	v_dual_cndmask_b32 v14, v14, v15 :: v_dual_mov_b32 v15, v32
.LBB42_40:                              ;   in Loop: Header=BB42_11 Depth=1
	s_or_b32 exec_lo, exec_lo, s0
	s_delay_alu instid0(SALU_CYCLE_1)
	s_and_not1_b32 vcc_lo, exec_lo, s58
	s_cbranch_vccnz .LBB42_28
.LBB42_41:                              ;   in Loop: Header=BB42_11 Depth=1
	v_mad_nc_u64_u32 v[44:45], s20, v40, v[26:27]
	s_mov_b32 s0, exec_lo
	s_delay_alu instid0(VALU_DEP_1) | instskip(NEXT) | instid1(VALU_DEP_1)
	v_mad_u32 v16, s21, v40, v45
	v_mad_u32 v45, s20, v41, v16
	s_delay_alu instid0(VALU_DEP_1) | instskip(NEXT) | instid1(VALU_DEP_1)
	v_or_b32_e32 v33, s19, v45
	v_cmpx_ne_u64_e32 0, v[32:33]
	s_xor_b32 s1, exec_lo, s0
	s_cbranch_execz .LBB42_43
; %bb.42:                               ;   in Loop: Header=BB42_11 Depth=1
	s_ashr_i32 s54, s19, 31
	v_dual_mov_b32 v47, v32 :: v_dual_ashrrev_i32 v16, 31, v45
	s_mov_b32 s55, s54
	v_mov_b32_e32 v51, v32
	s_add_nc_u64 s[60:61], s[18:19], s[54:55]
	s_delay_alu instid0(VALU_DEP_2)
	v_mov_b32_e32 v17, v16
	s_xor_b64 s[54:55], s[60:61], s[54:55]
	v_mov_b32_e32 v55, v32
	s_cvt_f32_u32 s0, s54
	s_cvt_f32_u32 s2, s55
	s_sub_nc_u64 s[62:63], 0, s[54:55]
	v_add_nc_u64_e32 v[44:45], v[44:45], v[16:17]
	s_delay_alu instid0(SALU_CYCLE_1) | instskip(NEXT) | instid1(SALU_CYCLE_3)
	s_fmamk_f32 s0, s2, 0x4f800000, s0
	v_s_rcp_f32 s0, s0
	s_delay_alu instid0(VALU_DEP_1) | instskip(NEXT) | instid1(VALU_DEP_2)
	v_xor_b32_e32 v50, v45, v16
	v_xor_b32_e32 v46, v44, v16
	s_delay_alu instid0(TRANS32_DEP_1) | instskip(NEXT) | instid1(SALU_CYCLE_3)
	s_mul_f32 s0, s0, 0x5f7ffffc
	s_mul_f32 s2, s0, 0x2f800000
	s_delay_alu instid0(SALU_CYCLE_3) | instskip(NEXT) | instid1(SALU_CYCLE_3)
	s_trunc_f32 s2, s2
	s_fmamk_f32 s0, s2, 0xcf800000, s0
	s_cvt_u32_f32 s61, s2
	s_delay_alu instid0(SALU_CYCLE_2) | instskip(NEXT) | instid1(SALU_CYCLE_3)
	s_cvt_u32_f32 s60, s0
	s_mul_u64 s[64:65], s[62:63], s[60:61]
	s_delay_alu instid0(SALU_CYCLE_1)
	s_mul_hi_u32 s67, s60, s65
	s_mul_i32 s66, s60, s65
	s_mul_hi_u32 s2, s60, s64
	s_mul_i32 s53, s61, s64
	s_add_nc_u64 s[66:67], s[2:3], s[66:67]
	s_mul_hi_u32 s0, s61, s64
	s_mul_hi_u32 s68, s61, s65
	s_add_co_u32 s2, s66, s53
	s_add_co_ci_u32 s2, s67, s0
	s_mul_i32 s64, s61, s65
	s_add_co_ci_u32 s65, s68, 0
	s_delay_alu instid0(SALU_CYCLE_1) | instskip(NEXT) | instid1(SALU_CYCLE_1)
	s_add_nc_u64 s[64:65], s[2:3], s[64:65]
	s_add_co_u32 s60, s60, s64
	s_cselect_b32 s0, -1, 0
	s_delay_alu instid0(SALU_CYCLE_1) | instskip(SKIP_1) | instid1(SALU_CYCLE_1)
	s_cmp_lg_u32 s0, 0
	s_add_co_ci_u32 s61, s61, s65
	s_mul_u64 s[62:63], s[62:63], s[60:61]
	s_delay_alu instid0(SALU_CYCLE_1)
	s_mul_hi_u32 s65, s60, s63
	s_mul_i32 s64, s60, s63
	s_mul_hi_u32 s2, s60, s62
	s_mul_i32 s53, s61, s62
	s_add_nc_u64 s[64:65], s[2:3], s[64:65]
	s_mul_hi_u32 s0, s61, s62
	s_mul_hi_u32 s66, s61, s63
	s_add_co_u32 s2, s64, s53
	s_add_co_ci_u32 s2, s65, s0
	s_mul_i32 s62, s61, s63
	s_add_co_ci_u32 s63, s66, 0
	s_delay_alu instid0(SALU_CYCLE_1) | instskip(NEXT) | instid1(SALU_CYCLE_1)
	s_add_nc_u64 s[62:63], s[2:3], s[62:63]
	s_add_co_u32 s0, s60, s62
	s_cselect_b32 s2, -1, 0
	v_mul_hi_u32 v54, v46, s0
	s_cmp_lg_u32 s2, 0
	s_add_co_ci_u32 s2, s61, s63
	s_and_b64 s[60:61], s[0:1], s[50:51]
	v_mul_u64_e32 v[48:49], s[2:3], v[46:47]
	v_mul_u64_e32 v[44:45], s[60:61], v[50:51]
	v_mul_u64_e32 v[52:53], s[2:3], v[50:51]
	s_delay_alu instid0(VALU_DEP_3) | instskip(NEXT) | instid1(VALU_DEP_1)
	v_add_nc_u64_e32 v[48:49], v[54:55], v[48:49]
	v_add_co_u32 v33, vcc_lo, v48, v44
	s_delay_alu instid0(VALU_DEP_2) | instskip(NEXT) | instid1(VALU_DEP_4)
	v_add_co_ci_u32_e32 v54, vcc_lo, v49, v45, vcc_lo
	v_add_co_ci_u32_e32 v53, vcc_lo, 0, v53, vcc_lo
	s_delay_alu instid0(VALU_DEP_1) | instskip(NEXT) | instid1(VALU_DEP_1)
	v_add_nc_u64_e32 v[44:45], v[54:55], v[52:53]
	v_mul_u64_e32 v[44:45], s[54:55], v[44:45]
	s_delay_alu instid0(VALU_DEP_1) | instskip(NEXT) | instid1(VALU_DEP_2)
	v_sub_nc_u32_e32 v33, v50, v45
	v_sub_co_u32 v44, vcc_lo, v46, v44
	s_delay_alu instid0(VALU_DEP_1) | instskip(NEXT) | instid1(VALU_DEP_3)
	v_sub_co_ci_u32_e64 v45, null, v50, v45, vcc_lo
	v_subrev_co_ci_u32_e64 v33, null, s55, v33, vcc_lo
	s_delay_alu instid0(VALU_DEP_3) | instskip(SKIP_1) | instid1(VALU_DEP_3)
	v_sub_co_u32 v46, vcc_lo, v44, s54
	v_cmp_le_u32_e64 s0, s54, v44
	v_subrev_co_ci_u32_e64 v47, null, 0, v33, vcc_lo
	v_subrev_co_ci_u32_e64 v33, null, s55, v33, vcc_lo
	s_delay_alu instid0(VALU_DEP_3) | instskip(SKIP_2) | instid1(VALU_DEP_2)
	v_cndmask_b32_e64 v48, 0, -1, s0
	v_cmp_le_u32_e64 s0, s54, v46
	v_cmp_le_u32_e32 vcc_lo, s55, v45
	v_cndmask_b32_e64 v49, 0, -1, s0
	v_cmp_le_u32_e64 s0, s55, v47
	v_cndmask_b32_e64 v51, 0, -1, vcc_lo
	v_cmp_eq_u32_e32 vcc_lo, s55, v47
	s_delay_alu instid0(VALU_DEP_3) | instskip(SKIP_1) | instid1(VALU_DEP_1)
	v_cndmask_b32_e64 v50, 0, -1, s0
	v_cmp_eq_u32_e64 s0, s55, v45
	v_dual_cndmask_b32 v49, v50, v49, vcc_lo :: v_dual_cndmask_b32 v48, v51, v48, s0
	v_sub_co_u32 v50, vcc_lo, v46, s54
	s_delay_alu instid0(VALU_DEP_1) | instskip(NEXT) | instid1(VALU_DEP_3)
	v_subrev_co_ci_u32_e64 v33, null, 0, v33, vcc_lo
	v_cmp_ne_u32_e32 vcc_lo, 0, v49
	s_delay_alu instid0(VALU_DEP_2) | instskip(SKIP_1) | instid1(VALU_DEP_2)
	v_dual_cndmask_b32 v33, v47, v33 :: v_dual_cndmask_b32 v46, v46, v50
	v_cmp_ne_u32_e32 vcc_lo, 0, v48
	v_dual_cndmask_b32 v33, v45, v33 :: v_dual_cndmask_b32 v44, v44, v46
	s_delay_alu instid0(VALU_DEP_1) | instskip(NEXT) | instid1(VALU_DEP_2)
	v_xor_b32_e32 v45, v33, v16
	v_xor_b32_e32 v44, v44, v16
	s_delay_alu instid0(VALU_DEP_1)
	v_sub_nc_u64_e32 v[16:17], v[44:45], v[16:17]
                                        ; implicit-def: $vgpr44_vgpr45
.LBB42_43:                              ;   in Loop: Header=BB42_11 Depth=1
	s_and_not1_saveexec_b32 s0, s1
	s_cbranch_execz .LBB42_45
; %bb.44:                               ;   in Loop: Header=BB42_11 Depth=1
	v_cvt_f32_u32_e32 v16, s18
	s_sub_co_i32 s1, 0, s18
	s_delay_alu instid0(VALU_DEP_1) | instskip(SKIP_1) | instid1(TRANS32_DEP_1)
	v_rcp_iflag_f32_e32 v16, v16
	v_nop
	v_mul_f32_e32 v16, 0x4f7ffffe, v16
	s_delay_alu instid0(VALU_DEP_1) | instskip(NEXT) | instid1(VALU_DEP_1)
	v_cvt_u32_f32_e32 v16, v16
	v_mul_lo_u32 v17, s1, v16
	s_delay_alu instid0(VALU_DEP_1) | instskip(NEXT) | instid1(VALU_DEP_1)
	v_mul_hi_u32 v17, v16, v17
	v_add_nc_u32_e32 v16, v16, v17
	s_delay_alu instid0(VALU_DEP_1) | instskip(NEXT) | instid1(VALU_DEP_1)
	v_mul_hi_u32 v16, v44, v16
	v_mul_lo_u32 v16, v16, s18
	s_delay_alu instid0(VALU_DEP_1) | instskip(NEXT) | instid1(VALU_DEP_1)
	v_sub_nc_u32_e32 v16, v44, v16
	v_subrev_nc_u32_e32 v17, s18, v16
	v_cmp_le_u32_e32 vcc_lo, s18, v16
	s_delay_alu instid0(VALU_DEP_2) | instskip(NEXT) | instid1(VALU_DEP_1)
	v_cndmask_b32_e32 v16, v16, v17, vcc_lo
	v_subrev_nc_u32_e32 v17, s18, v16
	v_cmp_le_u32_e32 vcc_lo, s18, v16
	s_delay_alu instid0(VALU_DEP_2)
	v_cndmask_b32_e32 v16, v16, v17, vcc_lo
	v_mov_b32_e32 v17, v32
.LBB42_45:                              ;   in Loop: Header=BB42_11 Depth=1
	s_or_b32 exec_lo, exec_lo, s0
	s_delay_alu instid0(SALU_CYCLE_1)
	s_and_not1_b32 vcc_lo, exec_lo, s58
	s_cbranch_vccnz .LBB42_10
.LBB42_46:                              ;   in Loop: Header=BB42_11 Depth=1
	v_mad_nc_u64_u32 v[44:45], s20, v42, v[28:29]
	s_mov_b32 s0, exec_lo
	s_delay_alu instid0(VALU_DEP_1) | instskip(NEXT) | instid1(VALU_DEP_1)
	v_mad_u32 v18, s21, v42, v45
	v_mad_u32 v45, s20, v43, v18
	s_delay_alu instid0(VALU_DEP_1) | instskip(NEXT) | instid1(VALU_DEP_1)
	v_or_b32_e32 v33, s19, v45
	v_cmpx_ne_u64_e32 0, v[32:33]
	s_xor_b32 s1, exec_lo, s0
	s_cbranch_execz .LBB42_48
; %bb.47:                               ;   in Loop: Header=BB42_11 Depth=1
	s_ashr_i32 s54, s19, 31
	v_dual_mov_b32 v47, v32 :: v_dual_ashrrev_i32 v18, 31, v45
	s_mov_b32 s55, s54
	s_delay_alu instid0(SALU_CYCLE_1) | instskip(NEXT) | instid1(VALU_DEP_1)
	s_add_nc_u64 s[60:61], s[18:19], s[54:55]
	v_mov_b32_e32 v19, v18
	s_xor_b64 s[54:55], s[60:61], s[54:55]
	s_delay_alu instid0(SALU_CYCLE_1)
	s_cvt_f32_u32 s0, s54
	s_cvt_f32_u32 s2, s55
	s_sub_nc_u64 s[62:63], 0, s[54:55]
	v_add_nc_u64_e32 v[44:45], v[44:45], v[18:19]
	v_mov_b32_e32 v51, v32
	s_fmamk_f32 s0, s2, 0x4f800000, s0
	s_delay_alu instid0(SALU_CYCLE_3) | instskip(NEXT) | instid1(VALU_DEP_2)
	v_s_rcp_f32 s0, s0
	v_xor_b32_e32 v46, v44, v18
	s_delay_alu instid0(VALU_DEP_3) | instskip(NEXT) | instid1(TRANS32_DEP_1)
	v_dual_mov_b32 v55, v32 :: v_dual_bitop2_b32 v50, v45, v18 bitop3:0x14
	s_mul_f32 s0, s0, 0x5f7ffffc
	s_delay_alu instid0(SALU_CYCLE_3) | instskip(NEXT) | instid1(SALU_CYCLE_3)
	s_mul_f32 s2, s0, 0x2f800000
	s_trunc_f32 s2, s2
	s_delay_alu instid0(SALU_CYCLE_3) | instskip(SKIP_1) | instid1(SALU_CYCLE_2)
	s_fmamk_f32 s0, s2, 0xcf800000, s0
	s_cvt_u32_f32 s61, s2
	s_cvt_u32_f32 s60, s0
	s_delay_alu instid0(SALU_CYCLE_3) | instskip(NEXT) | instid1(SALU_CYCLE_1)
	s_mul_u64 s[64:65], s[62:63], s[60:61]
	s_mul_hi_u32 s67, s60, s65
	s_mul_i32 s66, s60, s65
	s_mul_hi_u32 s2, s60, s64
	s_mul_i32 s53, s61, s64
	s_add_nc_u64 s[66:67], s[2:3], s[66:67]
	s_mul_hi_u32 s0, s61, s64
	s_mul_hi_u32 s68, s61, s65
	s_add_co_u32 s2, s66, s53
	s_add_co_ci_u32 s2, s67, s0
	s_mul_i32 s64, s61, s65
	s_add_co_ci_u32 s65, s68, 0
	s_delay_alu instid0(SALU_CYCLE_1) | instskip(NEXT) | instid1(SALU_CYCLE_1)
	s_add_nc_u64 s[64:65], s[2:3], s[64:65]
	s_add_co_u32 s60, s60, s64
	s_cselect_b32 s0, -1, 0
	s_delay_alu instid0(SALU_CYCLE_1) | instskip(SKIP_1) | instid1(SALU_CYCLE_1)
	s_cmp_lg_u32 s0, 0
	s_add_co_ci_u32 s61, s61, s65
	s_mul_u64 s[62:63], s[62:63], s[60:61]
	s_delay_alu instid0(SALU_CYCLE_1)
	s_mul_hi_u32 s65, s60, s63
	s_mul_i32 s64, s60, s63
	s_mul_hi_u32 s2, s60, s62
	s_mul_i32 s53, s61, s62
	s_add_nc_u64 s[64:65], s[2:3], s[64:65]
	s_mul_hi_u32 s0, s61, s62
	s_mul_hi_u32 s66, s61, s63
	s_add_co_u32 s2, s64, s53
	s_add_co_ci_u32 s2, s65, s0
	s_mul_i32 s62, s61, s63
	s_add_co_ci_u32 s63, s66, 0
	s_delay_alu instid0(SALU_CYCLE_1) | instskip(NEXT) | instid1(SALU_CYCLE_1)
	s_add_nc_u64 s[62:63], s[2:3], s[62:63]
	s_add_co_u32 s0, s60, s62
	s_cselect_b32 s2, -1, 0
	v_mul_hi_u32 v54, v46, s0
	s_cmp_lg_u32 s2, 0
	s_add_co_ci_u32 s2, s61, s63
	s_and_b64 s[60:61], s[0:1], s[50:51]
	v_mul_u64_e32 v[48:49], s[2:3], v[46:47]
	v_mul_u64_e32 v[44:45], s[60:61], v[50:51]
	;; [unrolled: 1-line block ×3, first 2 shown]
	s_delay_alu instid0(VALU_DEP_3) | instskip(NEXT) | instid1(VALU_DEP_1)
	v_add_nc_u64_e32 v[48:49], v[54:55], v[48:49]
	v_add_co_u32 v33, vcc_lo, v48, v44
	s_delay_alu instid0(VALU_DEP_2) | instskip(NEXT) | instid1(VALU_DEP_4)
	v_add_co_ci_u32_e32 v54, vcc_lo, v49, v45, vcc_lo
	v_add_co_ci_u32_e32 v53, vcc_lo, 0, v53, vcc_lo
	s_delay_alu instid0(VALU_DEP_1) | instskip(NEXT) | instid1(VALU_DEP_1)
	v_add_nc_u64_e32 v[44:45], v[54:55], v[52:53]
	v_mul_u64_e32 v[44:45], s[54:55], v[44:45]
	s_delay_alu instid0(VALU_DEP_1) | instskip(NEXT) | instid1(VALU_DEP_2)
	v_sub_nc_u32_e32 v33, v50, v45
	v_sub_co_u32 v44, vcc_lo, v46, v44
	s_delay_alu instid0(VALU_DEP_1) | instskip(NEXT) | instid1(VALU_DEP_3)
	v_sub_co_ci_u32_e64 v45, null, v50, v45, vcc_lo
	v_subrev_co_ci_u32_e64 v33, null, s55, v33, vcc_lo
	s_delay_alu instid0(VALU_DEP_3) | instskip(SKIP_1) | instid1(VALU_DEP_3)
	v_sub_co_u32 v46, vcc_lo, v44, s54
	v_cmp_le_u32_e64 s0, s54, v44
	v_subrev_co_ci_u32_e64 v47, null, 0, v33, vcc_lo
	v_subrev_co_ci_u32_e64 v33, null, s55, v33, vcc_lo
	s_delay_alu instid0(VALU_DEP_3) | instskip(SKIP_2) | instid1(VALU_DEP_2)
	v_cndmask_b32_e64 v48, 0, -1, s0
	v_cmp_le_u32_e64 s0, s54, v46
	v_cmp_le_u32_e32 vcc_lo, s55, v45
	v_cndmask_b32_e64 v49, 0, -1, s0
	v_cmp_le_u32_e64 s0, s55, v47
	v_cndmask_b32_e64 v51, 0, -1, vcc_lo
	v_cmp_eq_u32_e32 vcc_lo, s55, v47
	s_delay_alu instid0(VALU_DEP_3) | instskip(SKIP_1) | instid1(VALU_DEP_1)
	v_cndmask_b32_e64 v50, 0, -1, s0
	v_cmp_eq_u32_e64 s0, s55, v45
	v_dual_cndmask_b32 v49, v50, v49, vcc_lo :: v_dual_cndmask_b32 v48, v51, v48, s0
	v_sub_co_u32 v50, vcc_lo, v46, s54
	s_delay_alu instid0(VALU_DEP_1) | instskip(NEXT) | instid1(VALU_DEP_3)
	v_subrev_co_ci_u32_e64 v33, null, 0, v33, vcc_lo
	v_cmp_ne_u32_e32 vcc_lo, 0, v49
	s_delay_alu instid0(VALU_DEP_2) | instskip(SKIP_1) | instid1(VALU_DEP_2)
	v_dual_cndmask_b32 v33, v47, v33 :: v_dual_cndmask_b32 v46, v46, v50
	v_cmp_ne_u32_e32 vcc_lo, 0, v48
	v_dual_cndmask_b32 v33, v45, v33 :: v_dual_cndmask_b32 v44, v44, v46
	s_delay_alu instid0(VALU_DEP_1) | instskip(NEXT) | instid1(VALU_DEP_2)
	v_xor_b32_e32 v45, v33, v18
	v_xor_b32_e32 v44, v44, v18
	s_delay_alu instid0(VALU_DEP_1)
	v_sub_nc_u64_e32 v[18:19], v[44:45], v[18:19]
                                        ; implicit-def: $vgpr44_vgpr45
.LBB42_48:                              ;   in Loop: Header=BB42_11 Depth=1
	s_and_not1_saveexec_b32 s0, s1
	s_cbranch_execz .LBB42_9
; %bb.49:                               ;   in Loop: Header=BB42_11 Depth=1
	v_cvt_f32_u32_e32 v18, s18
	s_sub_co_i32 s1, 0, s18
	s_delay_alu instid0(VALU_DEP_1) | instskip(SKIP_1) | instid1(TRANS32_DEP_1)
	v_rcp_iflag_f32_e32 v18, v18
	v_nop
	v_mul_f32_e32 v18, 0x4f7ffffe, v18
	s_delay_alu instid0(VALU_DEP_1) | instskip(NEXT) | instid1(VALU_DEP_1)
	v_cvt_u32_f32_e32 v18, v18
	v_mul_lo_u32 v19, s1, v18
	s_delay_alu instid0(VALU_DEP_1) | instskip(NEXT) | instid1(VALU_DEP_1)
	v_mul_hi_u32 v19, v18, v19
	v_add_nc_u32_e32 v18, v18, v19
	s_delay_alu instid0(VALU_DEP_1) | instskip(NEXT) | instid1(VALU_DEP_1)
	v_mul_hi_u32 v18, v44, v18
	v_mul_lo_u32 v18, v18, s18
	s_delay_alu instid0(VALU_DEP_1) | instskip(NEXT) | instid1(VALU_DEP_1)
	v_sub_nc_u32_e32 v18, v44, v18
	v_subrev_nc_u32_e32 v19, s18, v18
	v_cmp_le_u32_e32 vcc_lo, s18, v18
	s_delay_alu instid0(VALU_DEP_2) | instskip(NEXT) | instid1(VALU_DEP_1)
	v_cndmask_b32_e32 v18, v18, v19, vcc_lo
	v_subrev_nc_u32_e32 v19, s18, v18
	v_cmp_le_u32_e32 vcc_lo, s18, v18
	s_delay_alu instid0(VALU_DEP_2)
	v_dual_cndmask_b32 v18, v18, v19 :: v_dual_mov_b32 v19, v32
	s_branch .LBB42_9
.LBB42_50:
	s_or_b32 exec_lo, exec_lo, s59
	v_mad_nc_u64_u32 v[2:3], v22, s16, v[2:3]
	v_cmp_ne_u64_e32 vcc_lo, v[20:21], v[22:23]
	v_mov_b64_e32 v[6:7], s[40:41]
	v_mov_b64_e32 v[4:5], s[20:21]
	s_and_b32 s0, vcc_lo, exec_lo
	s_delay_alu instid0(VALU_DEP_4) | instskip(NEXT) | instid1(VALU_DEP_1)
	v_mad_u32 v0, v23, s16, v3
	v_mad_u32 v3, v22, s17, v0
	s_and_not1_saveexec_b32 s1, s56
	s_cbranch_execz .LBB42_7
.LBB42_51:
	s_lshl_b64 s[2:3], s[16:17], 1
	v_mov_b64_e32 v[4:5], s[20:21]
	v_mov_b64_e32 v[6:7], s[2:3]
	s_or_b32 s0, s0, exec_lo
	s_or_b32 exec_lo, exec_lo, s1
	s_delay_alu instid0(SALU_CYCLE_1)
	s_and_b32 exec_lo, exec_lo, s0
	s_cbranch_execz .LBB42_64
.LBB42_52:
	v_cvt_f32_u32_e32 v0, s12
	s_sub_co_i32 s0, 0, s12
	s_sub_nc_u64 s[2:3], 0, s[10:11]
	s_mov_b32 s1, 0
	s_mov_b64 s[10:11], 0xffffffff
	v_rcp_iflag_f32_e32 v0, v0
	s_ashr_i32 s20, s19, 31
	s_sub_co_i32 s24, 0, s18
	s_mov_b32 s25, 0
	v_nop
	s_delay_alu instid0(TRANS32_DEP_1) | instskip(NEXT) | instid1(VALU_DEP_1)
	v_mul_f32_e32 v0, 0x4f7ffffe, v0
	v_cvt_u32_f32_e32 v9, v0
	s_delay_alu instid0(VALU_DEP_1) | instskip(NEXT) | instid1(VALU_DEP_1)
	v_mul_lo_u32 v0, s0, v9
	v_mul_hi_u32 v10, v9, v0
	v_lshl_add_u64 v[0:1], v[2:3], 1, s[6:7]
	v_mov_b32_e32 v8, 0
	s_ashr_i32 s6, s13, 31
	s_delay_alu instid0(VALU_DEP_3)
	v_add_nc_u32_e32 v16, v9, v10
	s_branch .LBB42_55
.LBB42_53:                              ;   in Loop: Header=BB42_55 Depth=1
	s_or_b32 exec_lo, exec_lo, s0
	s_delay_alu instid0(VALU_DEP_1) | instskip(NEXT) | instid1(VALU_DEP_1)
	v_ashrrev_i32_e32 v9, 31, v15
	v_and_b32_e32 v13, s19, v9
	v_and_b32_e32 v12, s18, v9
	s_delay_alu instid0(VALU_DEP_1) | instskip(NEXT) | instid1(VALU_DEP_1)
	v_add_nc_u64_e32 v[12:13], v[12:13], v[14:15]
	v_sub_nc_u64_e32 v[14:15], s[18:19], v[12:13]
	v_cmp_gt_i64_e32 vcc_lo, s[8:9], v[12:13]
	s_delay_alu instid0(VALU_DEP_2)
	v_dual_cndmask_b32 v13, v15, v13 :: v_dual_cndmask_b32 v12, v14, v12
.LBB42_54:                              ;   in Loop: Header=BB42_55 Depth=1
	v_mul_u64_e32 v[10:11], s[8:9], v[10:11]
	v_add_nc_u64_e32 v[2:3], s[16:17], v[2:3]
	s_delay_alu instid0(VALU_DEP_1) | instskip(SKIP_1) | instid1(VALU_DEP_3)
	v_cmp_le_i64_e32 vcc_lo, s[14:15], v[2:3]
	s_or_b32 s25, vcc_lo, s25
	v_lshl_add_u64 v[10:11], v[10:11], 1, s[4:5]
	s_delay_alu instid0(VALU_DEP_1)
	v_lshl_add_u64 v[10:11], v[12:13], 1, v[10:11]
	global_load_u16 v9, v[10:11], off
	s_wait_loadcnt 0x0
	global_store_b16 v[0:1], v9, off
	s_wait_xcnt 0x0
	v_add_nc_u64_e32 v[0:1], v[0:1], v[6:7]
	s_and_not1_b32 exec_lo, exec_lo, s25
	s_cbranch_execz .LBB42_64
.LBB42_55:                              ; =>This Inner Loop Header: Depth=1
	v_or_b32_e32 v9, s13, v3
                                        ; implicit-def: $vgpr10_vgpr11
	s_mov_b32 s0, exec_lo
	s_delay_alu instid0(VALU_DEP_1)
	v_cmpx_ne_u64_e32 0, v[8:9]
	s_xor_b32 s21, exec_lo, s0
	s_cbranch_execnz .LBB42_58
; %bb.56:                               ;   in Loop: Header=BB42_55 Depth=1
	s_and_not1_saveexec_b32 s0, s21
	s_cbranch_execnz .LBB42_59
.LBB42_57:                              ;   in Loop: Header=BB42_55 Depth=1
	s_or_b32 exec_lo, exec_lo, s0
	v_mov_b64_e32 v[12:13], 0
	s_and_not1_b32 vcc_lo, exec_lo, s33
	s_cbranch_vccnz .LBB42_54
	s_branch .LBB42_60
.LBB42_58:                              ;   in Loop: Header=BB42_55 Depth=1
	s_mov_b32 s7, s6
	v_dual_mov_b32 v15, v8 :: v_dual_ashrrev_i32 v10, 31, v3
	s_add_nc_u64 s[22:23], s[12:13], s[6:7]
	v_mov_b32_e32 v25, v8
	s_xor_b64 s[22:23], s[22:23], s[6:7]
	s_delay_alu instid0(VALU_DEP_2) | instskip(SKIP_3) | instid1(VALU_DEP_1)
	v_mov_b32_e32 v11, v10
	s_cvt_f32_u32 s0, s22
	s_cvt_f32_u32 s7, s23
	s_sub_nc_u64 s[28:29], 0, s[22:23]
	v_add_nc_u64_e32 v[12:13], v[2:3], v[10:11]
	s_delay_alu instid0(SALU_CYCLE_1) | instskip(SKIP_1) | instid1(SALU_CYCLE_2)
	s_fmamk_f32 s0, s7, 0x4f800000, s0
	v_mov_b32_e32 v21, v8
	v_s_rcp_f32 s0, s0
	s_delay_alu instid0(VALU_DEP_2) | instskip(NEXT) | instid1(VALU_DEP_3)
	v_xor_b32_e32 v14, v12, v10
	v_xor_b32_e32 v20, v13, v10
	;; [unrolled: 1-line block ×3, first 2 shown]
	s_delay_alu instid0(TRANS32_DEP_1) | instskip(NEXT) | instid1(SALU_CYCLE_3)
	s_mul_f32 s0, s0, 0x5f7ffffc
	s_mul_f32 s7, s0, 0x2f800000
	s_delay_alu instid0(SALU_CYCLE_3) | instskip(NEXT) | instid1(SALU_CYCLE_3)
	s_trunc_f32 s7, s7
	s_fmamk_f32 s0, s7, 0xcf800000, s0
	s_cvt_u32_f32 s27, s7
	s_delay_alu instid0(SALU_CYCLE_2) | instskip(NEXT) | instid1(SALU_CYCLE_3)
	s_cvt_u32_f32 s26, s0
	s_mul_u64 s[30:31], s[28:29], s[26:27]
	s_delay_alu instid0(SALU_CYCLE_1)
	s_mul_hi_u32 s35, s26, s31
	s_mul_i32 s34, s26, s31
	s_mul_hi_u32 s0, s26, s30
	s_mul_i32 s36, s27, s30
	s_add_nc_u64 s[34:35], s[0:1], s[34:35]
	s_mul_hi_u32 s7, s27, s30
	s_mul_hi_u32 s37, s27, s31
	s_add_co_u32 s0, s34, s36
	s_add_co_ci_u32 s0, s35, s7
	s_mul_i32 s30, s27, s31
	s_add_co_ci_u32 s31, s37, 0
	s_delay_alu instid0(SALU_CYCLE_1) | instskip(NEXT) | instid1(SALU_CYCLE_1)
	s_add_nc_u64 s[30:31], s[0:1], s[30:31]
	s_add_co_u32 s26, s26, s30
	s_cselect_b32 s0, -1, 0
	s_delay_alu instid0(SALU_CYCLE_1) | instskip(SKIP_1) | instid1(SALU_CYCLE_1)
	s_cmp_lg_u32 s0, 0
	s_add_co_ci_u32 s27, s27, s31
	s_mul_u64 s[28:29], s[28:29], s[26:27]
	s_delay_alu instid0(SALU_CYCLE_1)
	s_mul_hi_u32 s31, s26, s29
	s_mul_i32 s30, s26, s29
	s_mul_hi_u32 s0, s26, s28
	s_mul_i32 s34, s27, s28
	s_add_nc_u64 s[30:31], s[0:1], s[30:31]
	s_mul_hi_u32 s7, s27, s28
	s_mul_hi_u32 s35, s27, s29
	s_add_co_u32 s0, s30, s34
	s_add_co_ci_u32 s0, s31, s7
	s_mul_i32 s28, s27, s29
	s_add_co_ci_u32 s29, s35, 0
	s_delay_alu instid0(SALU_CYCLE_1) | instskip(NEXT) | instid1(SALU_CYCLE_1)
	s_add_nc_u64 s[28:29], s[0:1], s[28:29]
	s_add_co_u32 s26, s26, s28
	s_cselect_b32 s0, -1, 0
	v_mul_hi_u32 v24, v14, s26
	s_cmp_lg_u32 s0, 0
	s_add_co_ci_u32 s0, s27, s29
	s_and_b64 s[28:29], s[26:27], s[10:11]
	v_mul_u64_e32 v[18:19], s[0:1], v[14:15]
	v_mul_u64_e32 v[12:13], s[28:29], v[20:21]
	;; [unrolled: 1-line block ×3, first 2 shown]
	s_delay_alu instid0(VALU_DEP_3) | instskip(NEXT) | instid1(VALU_DEP_1)
	v_add_nc_u64_e32 v[18:19], v[24:25], v[18:19]
	v_add_co_u32 v9, vcc_lo, v18, v12
	s_delay_alu instid0(VALU_DEP_2) | instskip(NEXT) | instid1(VALU_DEP_4)
	v_add_co_ci_u32_e32 v24, vcc_lo, v19, v13, vcc_lo
	v_add_co_ci_u32_e32 v23, vcc_lo, 0, v23, vcc_lo
	s_delay_alu instid0(VALU_DEP_1) | instskip(NEXT) | instid1(VALU_DEP_1)
	v_add_nc_u64_e32 v[12:13], v[24:25], v[22:23]
	v_mul_u64_e32 v[18:19], s[22:23], v[12:13]
	s_delay_alu instid0(VALU_DEP_1) | instskip(NEXT) | instid1(VALU_DEP_2)
	v_sub_nc_u32_e32 v9, v20, v19
	v_sub_co_u32 v11, vcc_lo, v14, v18
	s_delay_alu instid0(VALU_DEP_1) | instskip(NEXT) | instid1(VALU_DEP_3)
	v_sub_co_ci_u32_e64 v17, null, v20, v19, vcc_lo
	v_subrev_co_ci_u32_e64 v9, null, s23, v9, vcc_lo
	s_delay_alu instid0(VALU_DEP_3) | instskip(SKIP_1) | instid1(VALU_DEP_3)
	v_sub_co_u32 v14, s0, v11, s22
	v_add_nc_u64_e32 v[18:19], 1, v[12:13]
	v_subrev_co_ci_u32_e64 v9, null, 0, v9, s0
	s_delay_alu instid0(VALU_DEP_3) | instskip(SKIP_1) | instid1(VALU_DEP_3)
	v_cmp_le_u32_e32 vcc_lo, s22, v14
	v_cndmask_b32_e64 v14, 0, -1, vcc_lo
	v_cmp_le_u32_e32 vcc_lo, s23, v9
	v_cndmask_b32_e64 v15, 0, -1, vcc_lo
	;; [unrolled: 2-line block ×4, first 2 shown]
	v_cmp_eq_u32_e32 vcc_lo, s23, v9
	v_cndmask_b32_e32 v9, v15, v14, vcc_lo
	v_cmp_eq_u32_e32 vcc_lo, s23, v17
	v_add_nc_u64_e32 v[14:15], 2, v[12:13]
	v_cndmask_b32_e32 v11, v20, v11, vcc_lo
	s_delay_alu instid0(VALU_DEP_4) | instskip(NEXT) | instid1(VALU_DEP_2)
	v_cmp_ne_u32_e32 vcc_lo, 0, v9
	v_cmp_ne_u32_e64 s0, 0, v11
	s_delay_alu instid0(VALU_DEP_4) | instskip(NEXT) | instid1(VALU_DEP_1)
	v_dual_cndmask_b32 v9, v19, v15, vcc_lo :: v_dual_cndmask_b32 v11, v18, v14, vcc_lo
	v_dual_cndmask_b32 v12, v12, v11, s0 :: v_dual_mov_b32 v11, v10
	s_delay_alu instid0(VALU_DEP_1) | instskip(NEXT) | instid1(VALU_DEP_1)
	v_dual_cndmask_b32 v9, v13, v9, s0 :: v_dual_bitop2_b32 v12, v12, v10 bitop3:0x14
	v_xor_b32_e32 v13, v9, v10
	s_delay_alu instid0(VALU_DEP_1)
	v_sub_nc_u64_e32 v[10:11], v[12:13], v[10:11]
	s_and_not1_saveexec_b32 s0, s21
	s_cbranch_execz .LBB42_57
.LBB42_59:                              ;   in Loop: Header=BB42_55 Depth=1
	v_mul_hi_u32 v9, v2, v16
	s_delay_alu instid0(VALU_DEP_1) | instskip(NEXT) | instid1(VALU_DEP_1)
	v_mul_lo_u32 v10, v9, s12
	v_dual_add_nc_u32 v11, 1, v9 :: v_dual_sub_nc_u32 v10, v2, v10
	s_delay_alu instid0(VALU_DEP_1) | instskip(SKIP_1) | instid1(VALU_DEP_2)
	v_subrev_nc_u32_e32 v12, s12, v10
	v_cmp_le_u32_e32 vcc_lo, s12, v10
	v_dual_cndmask_b32 v10, v10, v12 :: v_dual_cndmask_b32 v9, v9, v11
	s_delay_alu instid0(VALU_DEP_1) | instskip(NEXT) | instid1(VALU_DEP_2)
	v_cmp_le_u32_e32 vcc_lo, s12, v10
	v_add_nc_u32_e32 v11, 1, v9
	s_delay_alu instid0(VALU_DEP_1)
	v_dual_cndmask_b32 v10, v9, v11 :: v_dual_mov_b32 v11, v8
	s_or_b32 exec_lo, exec_lo, s0
	v_mov_b64_e32 v[12:13], 0
	s_and_not1_b32 vcc_lo, exec_lo, s33
	s_cbranch_vccnz .LBB42_54
.LBB42_60:                              ;   in Loop: Header=BB42_55 Depth=1
	v_add_nc_u64_e32 v[12:13], s[2:3], v[2:3]
                                        ; implicit-def: $vgpr14_vgpr15
	s_mov_b32 s0, exec_lo
	s_delay_alu instid0(VALU_DEP_1) | instskip(NEXT) | instid1(VALU_DEP_1)
	v_mad_nc_u64_u32 v[12:13], v4, v10, v[12:13]
	v_mad_u32 v9, v5, v10, v13
	s_delay_alu instid0(VALU_DEP_1) | instskip(NEXT) | instid1(VALU_DEP_1)
	v_mad_u32 v13, v4, v11, v9
	v_or_b32_e32 v9, s19, v13
	s_delay_alu instid0(VALU_DEP_1)
	v_cmpx_ne_u64_e32 0, v[8:9]
	s_xor_b32 s7, exec_lo, s0
	s_cbranch_execz .LBB42_62
; %bb.61:                               ;   in Loop: Header=BB42_55 Depth=1
	s_mov_b32 s21, s20
	v_dual_mov_b32 v19, v8 :: v_dual_ashrrev_i32 v14, 31, v13
	s_add_nc_u64 s[22:23], s[18:19], s[20:21]
	s_delay_alu instid0(SALU_CYCLE_1) | instskip(NEXT) | instid1(VALU_DEP_1)
	s_xor_b64 s[22:23], s[22:23], s[20:21]
	v_mov_b32_e32 v15, v14
	s_cvt_f32_u32 s0, s22
	s_cvt_f32_u32 s21, s23
	s_sub_nc_u64 s[28:29], 0, s[22:23]
	s_delay_alu instid0(VALU_DEP_1) | instskip(NEXT) | instid1(SALU_CYCLE_1)
	v_add_nc_u64_e32 v[12:13], v[12:13], v[14:15]
	s_fmamk_f32 s0, s21, 0x4f800000, s0
	v_mov_b32_e32 v23, v8
	s_delay_alu instid0(SALU_CYCLE_2) | instskip(NEXT) | instid1(VALU_DEP_2)
	v_s_rcp_f32 s0, s0
	v_xor_b32_e32 v18, v12, v14
	s_delay_alu instid0(VALU_DEP_3) | instskip(NEXT) | instid1(TRANS32_DEP_1)
	v_dual_mov_b32 v27, v8 :: v_dual_bitop2_b32 v22, v13, v14 bitop3:0x14
	s_mul_f32 s0, s0, 0x5f7ffffc
	s_delay_alu instid0(SALU_CYCLE_3) | instskip(NEXT) | instid1(SALU_CYCLE_3)
	s_mul_f32 s21, s0, 0x2f800000
	s_trunc_f32 s21, s21
	s_delay_alu instid0(SALU_CYCLE_3) | instskip(SKIP_1) | instid1(SALU_CYCLE_2)
	s_fmamk_f32 s0, s21, 0xcf800000, s0
	s_cvt_u32_f32 s27, s21
	s_cvt_u32_f32 s26, s0
	s_delay_alu instid0(SALU_CYCLE_3) | instskip(NEXT) | instid1(SALU_CYCLE_1)
	s_mul_u64 s[30:31], s[28:29], s[26:27]
	s_mul_hi_u32 s35, s26, s31
	s_mul_i32 s34, s26, s31
	s_mul_hi_u32 s0, s26, s30
	s_mul_i32 s36, s27, s30
	s_add_nc_u64 s[34:35], s[0:1], s[34:35]
	s_mul_hi_u32 s21, s27, s30
	s_mul_hi_u32 s37, s27, s31
	s_add_co_u32 s0, s34, s36
	s_add_co_ci_u32 s0, s35, s21
	s_mul_i32 s30, s27, s31
	s_add_co_ci_u32 s31, s37, 0
	s_delay_alu instid0(SALU_CYCLE_1) | instskip(NEXT) | instid1(SALU_CYCLE_1)
	s_add_nc_u64 s[30:31], s[0:1], s[30:31]
	s_add_co_u32 s26, s26, s30
	s_cselect_b32 s0, -1, 0
	s_delay_alu instid0(SALU_CYCLE_1) | instskip(SKIP_1) | instid1(SALU_CYCLE_1)
	s_cmp_lg_u32 s0, 0
	s_add_co_ci_u32 s27, s27, s31
	s_mul_u64 s[28:29], s[28:29], s[26:27]
	s_delay_alu instid0(SALU_CYCLE_1)
	s_mul_hi_u32 s31, s26, s29
	s_mul_i32 s30, s26, s29
	s_mul_hi_u32 s0, s26, s28
	s_mul_i32 s34, s27, s28
	s_add_nc_u64 s[30:31], s[0:1], s[30:31]
	s_mul_hi_u32 s21, s27, s28
	s_mul_hi_u32 s35, s27, s29
	s_add_co_u32 s0, s30, s34
	s_add_co_ci_u32 s0, s31, s21
	s_mul_i32 s28, s27, s29
	s_add_co_ci_u32 s29, s35, 0
	s_delay_alu instid0(SALU_CYCLE_1) | instskip(NEXT) | instid1(SALU_CYCLE_1)
	s_add_nc_u64 s[28:29], s[0:1], s[28:29]
	s_add_co_u32 s26, s26, s28
	s_cselect_b32 s0, -1, 0
	v_mul_hi_u32 v26, v18, s26
	s_cmp_lg_u32 s0, 0
	s_add_co_ci_u32 s0, s27, s29
	s_and_b64 s[28:29], s[26:27], s[10:11]
	v_mul_u64_e32 v[20:21], s[0:1], v[18:19]
	v_mul_u64_e32 v[12:13], s[28:29], v[22:23]
	;; [unrolled: 1-line block ×3, first 2 shown]
	s_delay_alu instid0(VALU_DEP_3) | instskip(NEXT) | instid1(VALU_DEP_1)
	v_add_nc_u64_e32 v[20:21], v[26:27], v[20:21]
	v_add_co_u32 v9, vcc_lo, v20, v12
	s_delay_alu instid0(VALU_DEP_2) | instskip(NEXT) | instid1(VALU_DEP_4)
	v_add_co_ci_u32_e32 v26, vcc_lo, v21, v13, vcc_lo
	v_add_co_ci_u32_e32 v25, vcc_lo, 0, v25, vcc_lo
	s_delay_alu instid0(VALU_DEP_1) | instskip(NEXT) | instid1(VALU_DEP_1)
	v_add_nc_u64_e32 v[12:13], v[26:27], v[24:25]
	v_mul_u64_e32 v[12:13], s[22:23], v[12:13]
	s_delay_alu instid0(VALU_DEP_1) | instskip(NEXT) | instid1(VALU_DEP_2)
	v_sub_nc_u32_e32 v9, v22, v13
	v_sub_co_u32 v12, vcc_lo, v18, v12
	s_delay_alu instid0(VALU_DEP_1) | instskip(NEXT) | instid1(VALU_DEP_3)
	v_sub_co_ci_u32_e64 v13, null, v22, v13, vcc_lo
	v_subrev_co_ci_u32_e64 v9, null, s23, v9, vcc_lo
	s_delay_alu instid0(VALU_DEP_3) | instskip(SKIP_1) | instid1(VALU_DEP_3)
	v_sub_co_u32 v17, vcc_lo, v12, s22
	v_cmp_le_u32_e64 s0, s22, v12
	v_subrev_co_ci_u32_e64 v18, null, 0, v9, vcc_lo
	v_subrev_co_ci_u32_e64 v9, null, s23, v9, vcc_lo
	s_delay_alu instid0(VALU_DEP_3) | instskip(SKIP_2) | instid1(VALU_DEP_2)
	v_cndmask_b32_e64 v19, 0, -1, s0
	v_cmp_le_u32_e64 s0, s22, v17
	v_cmp_le_u32_e32 vcc_lo, s23, v13
	v_cndmask_b32_e64 v20, 0, -1, s0
	v_cmp_le_u32_e64 s0, s23, v18
	v_cndmask_b32_e64 v22, 0, -1, vcc_lo
	v_cmp_eq_u32_e32 vcc_lo, s23, v18
	s_delay_alu instid0(VALU_DEP_3) | instskip(SKIP_1) | instid1(VALU_DEP_1)
	v_cndmask_b32_e64 v21, 0, -1, s0
	v_cmp_eq_u32_e64 s0, s23, v13
	v_dual_cndmask_b32 v20, v21, v20, vcc_lo :: v_dual_cndmask_b32 v19, v22, v19, s0
	v_sub_co_u32 v21, vcc_lo, v17, s22
	s_delay_alu instid0(VALU_DEP_1) | instskip(NEXT) | instid1(VALU_DEP_3)
	v_subrev_co_ci_u32_e64 v9, null, 0, v9, vcc_lo
	v_cmp_ne_u32_e32 vcc_lo, 0, v20
	s_delay_alu instid0(VALU_DEP_2) | instskip(NEXT) | instid1(VALU_DEP_4)
	v_cndmask_b32_e32 v9, v18, v9, vcc_lo
	v_cndmask_b32_e32 v17, v17, v21, vcc_lo
	v_cmp_ne_u32_e32 vcc_lo, 0, v19
	s_delay_alu instid0(VALU_DEP_2) | instskip(NEXT) | instid1(VALU_DEP_1)
	v_cndmask_b32_e32 v12, v12, v17, vcc_lo
	v_dual_cndmask_b32 v9, v13, v9, vcc_lo :: v_dual_bitop2_b32 v12, v12, v14 bitop3:0x14
	s_delay_alu instid0(VALU_DEP_1) | instskip(NEXT) | instid1(VALU_DEP_1)
	v_xor_b32_e32 v13, v9, v14
	v_sub_nc_u64_e32 v[14:15], v[12:13], v[14:15]
                                        ; implicit-def: $vgpr12_vgpr13
.LBB42_62:                              ;   in Loop: Header=BB42_55 Depth=1
	s_and_not1_saveexec_b32 s0, s7
	s_cbranch_execz .LBB42_53
; %bb.63:                               ;   in Loop: Header=BB42_55 Depth=1
	v_cvt_f32_u32_e32 v9, s18
	v_mov_b32_e32 v15, v8
	s_delay_alu instid0(VALU_DEP_2) | instskip(SKIP_1) | instid1(TRANS32_DEP_1)
	v_rcp_iflag_f32_e32 v9, v9
	v_nop
	v_mul_f32_e32 v9, 0x4f7ffffe, v9
	s_delay_alu instid0(VALU_DEP_1) | instskip(NEXT) | instid1(VALU_DEP_1)
	v_cvt_u32_f32_e32 v9, v9
	v_mul_lo_u32 v13, s24, v9
	s_delay_alu instid0(VALU_DEP_1) | instskip(NEXT) | instid1(VALU_DEP_1)
	v_mul_hi_u32 v13, v9, v13
	v_add_nc_u32_e32 v9, v9, v13
	s_delay_alu instid0(VALU_DEP_1) | instskip(NEXT) | instid1(VALU_DEP_1)
	v_mul_hi_u32 v9, v12, v9
	v_mul_lo_u32 v9, v9, s18
	s_delay_alu instid0(VALU_DEP_1) | instskip(NEXT) | instid1(VALU_DEP_1)
	v_sub_nc_u32_e32 v9, v12, v9
	v_subrev_nc_u32_e32 v12, s18, v9
	v_cmp_le_u32_e32 vcc_lo, s18, v9
	s_delay_alu instid0(VALU_DEP_2) | instskip(NEXT) | instid1(VALU_DEP_1)
	v_cndmask_b32_e32 v9, v9, v12, vcc_lo
	v_subrev_nc_u32_e32 v12, s18, v9
	v_cmp_le_u32_e32 vcc_lo, s18, v9
	s_delay_alu instid0(VALU_DEP_2)
	v_cndmask_b32_e32 v14, v9, v12, vcc_lo
	s_branch .LBB42_53
.LBB42_64:
	s_endpgm
	.section	.rodata,"a",@progbits
	.p2align	6, 0x0
	.amdhsa_kernel _ZN2at6native12_GLOBAL__N_121reflection_pad1d_flatIN3c104HalfEEEvPKT_PS5_lllll
		.amdhsa_group_segment_fixed_size 0
		.amdhsa_private_segment_fixed_size 0
		.amdhsa_kernarg_size 312
		.amdhsa_user_sgpr_count 2
		.amdhsa_user_sgpr_dispatch_ptr 0
		.amdhsa_user_sgpr_queue_ptr 0
		.amdhsa_user_sgpr_kernarg_segment_ptr 1
		.amdhsa_user_sgpr_dispatch_id 0
		.amdhsa_user_sgpr_kernarg_preload_length 0
		.amdhsa_user_sgpr_kernarg_preload_offset 0
		.amdhsa_user_sgpr_private_segment_size 0
		.amdhsa_wavefront_size32 1
		.amdhsa_uses_dynamic_stack 0
		.amdhsa_enable_private_segment 0
		.amdhsa_system_sgpr_workgroup_id_x 1
		.amdhsa_system_sgpr_workgroup_id_y 0
		.amdhsa_system_sgpr_workgroup_id_z 0
		.amdhsa_system_sgpr_workgroup_info 0
		.amdhsa_system_vgpr_workitem_id 0
		.amdhsa_next_free_vgpr 56
		.amdhsa_next_free_sgpr 69
		.amdhsa_named_barrier_count 0
		.amdhsa_reserve_vcc 1
		.amdhsa_float_round_mode_32 0
		.amdhsa_float_round_mode_16_64 0
		.amdhsa_float_denorm_mode_32 3
		.amdhsa_float_denorm_mode_16_64 3
		.amdhsa_fp16_overflow 0
		.amdhsa_memory_ordered 1
		.amdhsa_forward_progress 1
		.amdhsa_inst_pref_size 76
		.amdhsa_round_robin_scheduling 0
		.amdhsa_exception_fp_ieee_invalid_op 0
		.amdhsa_exception_fp_denorm_src 0
		.amdhsa_exception_fp_ieee_div_zero 0
		.amdhsa_exception_fp_ieee_overflow 0
		.amdhsa_exception_fp_ieee_underflow 0
		.amdhsa_exception_fp_ieee_inexact 0
		.amdhsa_exception_int_div_zero 0
	.end_amdhsa_kernel
	.section	.text._ZN2at6native12_GLOBAL__N_121reflection_pad1d_flatIN3c104HalfEEEvPKT_PS5_lllll,"axG",@progbits,_ZN2at6native12_GLOBAL__N_121reflection_pad1d_flatIN3c104HalfEEEvPKT_PS5_lllll,comdat
.Lfunc_end42:
	.size	_ZN2at6native12_GLOBAL__N_121reflection_pad1d_flatIN3c104HalfEEEvPKT_PS5_lllll, .Lfunc_end42-_ZN2at6native12_GLOBAL__N_121reflection_pad1d_flatIN3c104HalfEEEvPKT_PS5_lllll
                                        ; -- End function
	.set _ZN2at6native12_GLOBAL__N_121reflection_pad1d_flatIN3c104HalfEEEvPKT_PS5_lllll.num_vgpr, 56
	.set _ZN2at6native12_GLOBAL__N_121reflection_pad1d_flatIN3c104HalfEEEvPKT_PS5_lllll.num_agpr, 0
	.set _ZN2at6native12_GLOBAL__N_121reflection_pad1d_flatIN3c104HalfEEEvPKT_PS5_lllll.numbered_sgpr, 69
	.set _ZN2at6native12_GLOBAL__N_121reflection_pad1d_flatIN3c104HalfEEEvPKT_PS5_lllll.num_named_barrier, 0
	.set _ZN2at6native12_GLOBAL__N_121reflection_pad1d_flatIN3c104HalfEEEvPKT_PS5_lllll.private_seg_size, 0
	.set _ZN2at6native12_GLOBAL__N_121reflection_pad1d_flatIN3c104HalfEEEvPKT_PS5_lllll.uses_vcc, 1
	.set _ZN2at6native12_GLOBAL__N_121reflection_pad1d_flatIN3c104HalfEEEvPKT_PS5_lllll.uses_flat_scratch, 0
	.set _ZN2at6native12_GLOBAL__N_121reflection_pad1d_flatIN3c104HalfEEEvPKT_PS5_lllll.has_dyn_sized_stack, 0
	.set _ZN2at6native12_GLOBAL__N_121reflection_pad1d_flatIN3c104HalfEEEvPKT_PS5_lllll.has_recursion, 0
	.set _ZN2at6native12_GLOBAL__N_121reflection_pad1d_flatIN3c104HalfEEEvPKT_PS5_lllll.has_indirect_call, 0
	.section	.AMDGPU.csdata,"",@progbits
; Kernel info:
; codeLenInByte = 9692
; TotalNumSgprs: 71
; NumVgprs: 56
; ScratchSize: 0
; MemoryBound: 0
; FloatMode: 240
; IeeeMode: 1
; LDSByteSize: 0 bytes/workgroup (compile time only)
; SGPRBlocks: 0
; VGPRBlocks: 3
; NumSGPRsForWavesPerEU: 71
; NumVGPRsForWavesPerEU: 56
; NamedBarCnt: 0
; Occupancy: 16
; WaveLimiterHint : 0
; COMPUTE_PGM_RSRC2:SCRATCH_EN: 0
; COMPUTE_PGM_RSRC2:USER_SGPR: 2
; COMPUTE_PGM_RSRC2:TRAP_HANDLER: 0
; COMPUTE_PGM_RSRC2:TGID_X_EN: 1
; COMPUTE_PGM_RSRC2:TGID_Y_EN: 0
; COMPUTE_PGM_RSRC2:TGID_Z_EN: 0
; COMPUTE_PGM_RSRC2:TIDIG_COMP_CNT: 0
	.section	.text._ZN2at6native12_GLOBAL__N_127reflection_pad1d_out_kernelIN3c108BFloat16EEEvPKT_PS5_lll,"axG",@progbits,_ZN2at6native12_GLOBAL__N_127reflection_pad1d_out_kernelIN3c108BFloat16EEEvPKT_PS5_lll,comdat
	.globl	_ZN2at6native12_GLOBAL__N_127reflection_pad1d_out_kernelIN3c108BFloat16EEEvPKT_PS5_lll ; -- Begin function _ZN2at6native12_GLOBAL__N_127reflection_pad1d_out_kernelIN3c108BFloat16EEEvPKT_PS5_lll
	.p2align	8
	.type	_ZN2at6native12_GLOBAL__N_127reflection_pad1d_out_kernelIN3c108BFloat16EEEvPKT_PS5_lll,@function
_ZN2at6native12_GLOBAL__N_127reflection_pad1d_out_kernelIN3c108BFloat16EEEvPKT_PS5_lll: ; @_ZN2at6native12_GLOBAL__N_127reflection_pad1d_out_kernelIN3c108BFloat16EEEvPKT_PS5_lll
; %bb.0:
	s_clause 0x2
	s_load_b32 s13, s[0:1], 0x34
	s_load_b64 s[2:3], s[0:1], 0x20
	s_load_b256 s[4:11], s[0:1], 0x0
	s_bfe_u32 s12, ttmp6, 0x4000c
	s_and_b32 s14, ttmp6, 15
	s_add_co_i32 s15, s12, 1
	s_getreg_b32 s12, hwreg(HW_REG_IB_STS2, 6, 4)
	s_mul_i32 s15, ttmp9, s15
	v_mov_b32_e32 v1, 0
	s_add_co_i32 s14, s14, s15
	s_mov_b32 s16, exec_lo
	s_wait_kmcnt 0x0
	s_and_b32 s13, s13, 0xffff
	s_cmp_eq_u32 s12, 0
	s_cselect_b32 s14, ttmp9, s14
	s_delay_alu instid0(SALU_CYCLE_1)
	v_mad_nc_u64_u32 v[0:1], s13, s14, v[0:1]
	s_add_nc_u64 s[14:15], s[10:11], s[8:9]
	s_mov_b32 s13, 0
	s_add_nc_u64 s[2:3], s[14:15], s[2:3]
	s_delay_alu instid0(VALU_DEP_1) | instid1(SALU_CYCLE_1)
	v_cmpx_gt_i64_e64 s[2:3], v[0:1]
	s_cbranch_execz .LBB43_2
; %bb.1:
	v_sub_nc_u64_e64 v[2:3], v[0:1], s[14:15]
	v_max_i64 v[4:5], s[10:11], 0
	s_sub_nc_u64 s[16:17], 0, s[10:11]
	v_sub_nc_u64_e64 v[8:9], v[0:1], s[10:11]
	s_add_nc_u64 s[10:11], s[14:15], s[10:11]
	s_add_nc_u64 s[0:1], s[0:1], 40
	s_lshr_b32 s14, ttmp7, 16
	v_add_nc_u64_e32 v[6:7], 1, v[2:3]
	v_not_b32_e32 v3, v3
	v_not_b32_e32 v2, v2
	v_sub_nc_u64_e32 v[10:11], 0, v[8:9]
	s_load_b32 s0, s[0:1], 0x4
	s_wait_xcnt 0x0
	s_bfe_u32 s1, ttmp6, 0x40010
	s_bfe_u32 s15, ttmp6, 0x40004
	v_max_i64 v[2:3], v[6:7], v[2:3]
	v_max_i64 v[6:7], s[16:17], 0
	s_add_co_i32 s1, s1, 1
	v_max_i64 v[8:9], v[8:9], v[10:11]
	s_bfe_u32 s16, ttmp6, 0x40008
	v_not_b32_e32 v4, v4
	v_not_b32_e32 v5, v5
	s_delay_alu instid0(VALU_DEP_1)
	v_add_nc_u64_e32 v[4:5], s[10:11], v[4:5]
	s_bfe_u32 s11, ttmp6, 0x40014
	s_and_b32 s10, ttmp7, 0xffff
	s_add_co_i32 s11, s11, 1
	s_mul_i32 s1, s10, s1
	s_mul_i32 s11, s14, s11
	s_add_co_i32 s15, s15, s1
	v_add_nc_u64_e32 v[2:3], v[0:1], v[2:3]
	v_add_nc_u64_e32 v[4:5], v[4:5], v[6:7]
	s_add_co_i32 s16, s16, s11
	s_cmp_eq_u32 s12, 0
	s_cselect_b32 s1, s14, s16
	s_wait_kmcnt 0x0
	s_mul_i32 s0, s0, s1
	s_delay_alu instid0(VALU_DEP_1) | instskip(SKIP_1) | instid1(SALU_CYCLE_1)
	v_sub_nc_u64_e32 v[2:3], v[4:5], v[2:3]
	s_cselect_b32 s1, s10, s15
	s_add_co_i32 s12, s0, s1
	s_delay_alu instid0(SALU_CYCLE_1) | instskip(NEXT) | instid1(VALU_DEP_1)
	s_mul_u64 s[0:1], s[8:9], s[12:13]
	v_lshl_add_u64 v[2:3], v[2:3], 1, s[4:5]
	s_delay_alu instid0(VALU_DEP_1) | instskip(NEXT) | instid1(VALU_DEP_1)
	v_lshl_add_u64 v[2:3], v[8:9], 1, v[2:3]
	v_lshl_add_u64 v[2:3], s[0:1], 1, v[2:3]
	s_mul_u64 s[0:1], s[2:3], s[12:13]
	s_delay_alu instid0(SALU_CYCLE_1) | instskip(SKIP_2) | instid1(SALU_CYCLE_1)
	s_lshl_b64 s[0:1], s[0:1], 1
	global_load_u16 v2, v[2:3], off
	s_add_nc_u64 s[0:1], s[6:7], s[0:1]
	v_lshl_add_u64 v[0:1], v[0:1], 1, s[0:1]
	s_wait_loadcnt 0x0
	global_store_b16 v[0:1], v2, off
.LBB43_2:
	s_endpgm
	.section	.rodata,"a",@progbits
	.p2align	6, 0x0
	.amdhsa_kernel _ZN2at6native12_GLOBAL__N_127reflection_pad1d_out_kernelIN3c108BFloat16EEEvPKT_PS5_lll
		.amdhsa_group_segment_fixed_size 0
		.amdhsa_private_segment_fixed_size 0
		.amdhsa_kernarg_size 296
		.amdhsa_user_sgpr_count 2
		.amdhsa_user_sgpr_dispatch_ptr 0
		.amdhsa_user_sgpr_queue_ptr 0
		.amdhsa_user_sgpr_kernarg_segment_ptr 1
		.amdhsa_user_sgpr_dispatch_id 0
		.amdhsa_user_sgpr_kernarg_preload_length 0
		.amdhsa_user_sgpr_kernarg_preload_offset 0
		.amdhsa_user_sgpr_private_segment_size 0
		.amdhsa_wavefront_size32 1
		.amdhsa_uses_dynamic_stack 0
		.amdhsa_enable_private_segment 0
		.amdhsa_system_sgpr_workgroup_id_x 1
		.amdhsa_system_sgpr_workgroup_id_y 1
		.amdhsa_system_sgpr_workgroup_id_z 1
		.amdhsa_system_sgpr_workgroup_info 0
		.amdhsa_system_vgpr_workitem_id 0
		.amdhsa_next_free_vgpr 12
		.amdhsa_next_free_sgpr 18
		.amdhsa_named_barrier_count 0
		.amdhsa_reserve_vcc 0
		.amdhsa_float_round_mode_32 0
		.amdhsa_float_round_mode_16_64 0
		.amdhsa_float_denorm_mode_32 3
		.amdhsa_float_denorm_mode_16_64 3
		.amdhsa_fp16_overflow 0
		.amdhsa_memory_ordered 1
		.amdhsa_forward_progress 1
		.amdhsa_inst_pref_size 4
		.amdhsa_round_robin_scheduling 0
		.amdhsa_exception_fp_ieee_invalid_op 0
		.amdhsa_exception_fp_denorm_src 0
		.amdhsa_exception_fp_ieee_div_zero 0
		.amdhsa_exception_fp_ieee_overflow 0
		.amdhsa_exception_fp_ieee_underflow 0
		.amdhsa_exception_fp_ieee_inexact 0
		.amdhsa_exception_int_div_zero 0
	.end_amdhsa_kernel
	.section	.text._ZN2at6native12_GLOBAL__N_127reflection_pad1d_out_kernelIN3c108BFloat16EEEvPKT_PS5_lll,"axG",@progbits,_ZN2at6native12_GLOBAL__N_127reflection_pad1d_out_kernelIN3c108BFloat16EEEvPKT_PS5_lll,comdat
.Lfunc_end43:
	.size	_ZN2at6native12_GLOBAL__N_127reflection_pad1d_out_kernelIN3c108BFloat16EEEvPKT_PS5_lll, .Lfunc_end43-_ZN2at6native12_GLOBAL__N_127reflection_pad1d_out_kernelIN3c108BFloat16EEEvPKT_PS5_lll
                                        ; -- End function
	.set _ZN2at6native12_GLOBAL__N_127reflection_pad1d_out_kernelIN3c108BFloat16EEEvPKT_PS5_lll.num_vgpr, 12
	.set _ZN2at6native12_GLOBAL__N_127reflection_pad1d_out_kernelIN3c108BFloat16EEEvPKT_PS5_lll.num_agpr, 0
	.set _ZN2at6native12_GLOBAL__N_127reflection_pad1d_out_kernelIN3c108BFloat16EEEvPKT_PS5_lll.numbered_sgpr, 18
	.set _ZN2at6native12_GLOBAL__N_127reflection_pad1d_out_kernelIN3c108BFloat16EEEvPKT_PS5_lll.num_named_barrier, 0
	.set _ZN2at6native12_GLOBAL__N_127reflection_pad1d_out_kernelIN3c108BFloat16EEEvPKT_PS5_lll.private_seg_size, 0
	.set _ZN2at6native12_GLOBAL__N_127reflection_pad1d_out_kernelIN3c108BFloat16EEEvPKT_PS5_lll.uses_vcc, 0
	.set _ZN2at6native12_GLOBAL__N_127reflection_pad1d_out_kernelIN3c108BFloat16EEEvPKT_PS5_lll.uses_flat_scratch, 0
	.set _ZN2at6native12_GLOBAL__N_127reflection_pad1d_out_kernelIN3c108BFloat16EEEvPKT_PS5_lll.has_dyn_sized_stack, 0
	.set _ZN2at6native12_GLOBAL__N_127reflection_pad1d_out_kernelIN3c108BFloat16EEEvPKT_PS5_lll.has_recursion, 0
	.set _ZN2at6native12_GLOBAL__N_127reflection_pad1d_out_kernelIN3c108BFloat16EEEvPKT_PS5_lll.has_indirect_call, 0
	.section	.AMDGPU.csdata,"",@progbits
; Kernel info:
; codeLenInByte = 428
; TotalNumSgprs: 18
; NumVgprs: 12
; ScratchSize: 0
; MemoryBound: 0
; FloatMode: 240
; IeeeMode: 1
; LDSByteSize: 0 bytes/workgroup (compile time only)
; SGPRBlocks: 0
; VGPRBlocks: 0
; NumSGPRsForWavesPerEU: 18
; NumVGPRsForWavesPerEU: 12
; NamedBarCnt: 0
; Occupancy: 16
; WaveLimiterHint : 0
; COMPUTE_PGM_RSRC2:SCRATCH_EN: 0
; COMPUTE_PGM_RSRC2:USER_SGPR: 2
; COMPUTE_PGM_RSRC2:TRAP_HANDLER: 0
; COMPUTE_PGM_RSRC2:TGID_X_EN: 1
; COMPUTE_PGM_RSRC2:TGID_Y_EN: 1
; COMPUTE_PGM_RSRC2:TGID_Z_EN: 1
; COMPUTE_PGM_RSRC2:TIDIG_COMP_CNT: 0
	.section	.text._ZN2at6native12_GLOBAL__N_121reflection_pad1d_flatIN3c108BFloat16EEEvPKT_PS5_lllll,"axG",@progbits,_ZN2at6native12_GLOBAL__N_121reflection_pad1d_flatIN3c108BFloat16EEEvPKT_PS5_lllll,comdat
	.globl	_ZN2at6native12_GLOBAL__N_121reflection_pad1d_flatIN3c108BFloat16EEEvPKT_PS5_lllll ; -- Begin function _ZN2at6native12_GLOBAL__N_121reflection_pad1d_flatIN3c108BFloat16EEEvPKT_PS5_lllll
	.p2align	8
	.type	_ZN2at6native12_GLOBAL__N_121reflection_pad1d_flatIN3c108BFloat16EEEvPKT_PS5_lllll,@function
_ZN2at6native12_GLOBAL__N_121reflection_pad1d_flatIN3c108BFloat16EEEvPKT_PS5_lllll: ; @_ZN2at6native12_GLOBAL__N_121reflection_pad1d_flatIN3c108BFloat16EEEvPKT_PS5_lllll
; %bb.0:
	s_clause 0x1
	s_load_b32 s2, s[0:1], 0x44
	s_load_b128 s[12:15], s[0:1], 0x28
	s_bfe_u32 s3, ttmp6, 0x4000c
	s_and_b32 s4, ttmp6, 15
	s_add_co_i32 s3, s3, 1
	s_getreg_b32 s5, hwreg(HW_REG_IB_STS2, 6, 4)
	s_mul_i32 s3, ttmp9, s3
	v_mov_b32_e32 v1, 0
	s_add_co_i32 s4, s4, s3
	s_mov_b32 s41, 0
	s_wait_kmcnt 0x0
	s_and_b32 s40, s2, 0xffff
	s_cmp_eq_u32 s5, 0
	s_mul_u64 s[14:15], s[14:15], s[12:13]
	s_cselect_b32 s34, ttmp9, s4
	s_mov_b32 s2, exec_lo
	v_mad_nc_u64_u32 v[2:3], s40, s34, v[0:1]
	s_delay_alu instid0(VALU_DEP_1)
	v_cmpx_gt_i64_e64 s[14:15], v[2:3]
	s_cbranch_execz .LBB44_64
; %bb.1:
	s_add_nc_u64 s[2:3], s[0:1], 56
	s_mov_b32 s35, s41
	s_load_b32 s36, s[2:3], 0x0
	s_mov_b32 s37, s41
	s_wait_kmcnt 0x0
	s_add_nc_u64 s[2:3], s[34:35], s[36:37]
	s_mul_u64 s[16:17], s[40:41], s[36:37]
	v_mad_nc_u64_u32 v[10:11], s2, s40, v[0:1]
	v_mov_b32_e32 v5, s41
	s_delay_alu instid0(VALU_DEP_2) | instskip(NEXT) | instid1(VALU_DEP_1)
	v_mad_u32 v11, s3, s40, v11
	v_max_i64 v[6:7], s[14:15], v[10:11]
	v_cmp_gt_i64_e32 vcc_lo, s[14:15], v[10:11]
	v_cndmask_b32_e64 v4, 0, 1, vcc_lo
	s_delay_alu instid0(VALU_DEP_1) | instskip(NEXT) | instid1(VALU_DEP_1)
	v_add_nc_u64_e32 v[8:9], v[10:11], v[4:5]
	v_sub_nc_u64_e32 v[6:7], v[6:7], v[8:9]
	s_delay_alu instid0(VALU_DEP_1) | instskip(NEXT) | instid1(VALU_DEP_1)
	v_dual_mov_b32 v8, v1 :: v_dual_bitop2_b32 v9, s17, v7 bitop3:0x54
	v_cmp_ne_u64_e32 vcc_lo, 0, v[8:9]
                                        ; implicit-def: $vgpr8_vgpr9
	s_and_saveexec_b32 s2, vcc_lo
	s_delay_alu instid0(SALU_CYCLE_1)
	s_xor_b32 s3, exec_lo, s2
	s_cbranch_execz .LBB44_3
; %bb.2:
	s_cvt_f32_u32 s2, s16
	s_cvt_f32_u32 s4, s17
	s_sub_nc_u64 s[6:7], 0, s[16:17]
	s_mov_b32 s11, 0
	v_dual_mov_b32 v9, 0 :: v_dual_mov_b32 v8, v6
	s_fmamk_f32 s2, s4, 0x4f800000, s2
	s_delay_alu instid0(SALU_CYCLE_3) | instskip(NEXT) | instid1(TRANS32_DEP_1)
	v_s_rcp_f32 s2, s2
	s_mul_f32 s2, s2, 0x5f7ffffc
	s_delay_alu instid0(SALU_CYCLE_3) | instskip(NEXT) | instid1(SALU_CYCLE_3)
	s_mul_f32 s4, s2, 0x2f800000
	s_trunc_f32 s4, s4
	s_delay_alu instid0(SALU_CYCLE_3) | instskip(SKIP_1) | instid1(SALU_CYCLE_2)
	s_fmamk_f32 s2, s4, 0xcf800000, s2
	s_cvt_u32_f32 s5, s4
	s_cvt_u32_f32 s4, s2
	s_delay_alu instid0(SALU_CYCLE_3) | instskip(NEXT) | instid1(SALU_CYCLE_1)
	s_mul_u64 s[8:9], s[6:7], s[4:5]
	s_mul_hi_u32 s19, s4, s9
	s_mul_i32 s18, s4, s9
	s_mul_hi_u32 s10, s4, s8
	s_mul_i32 s20, s5, s8
	s_add_nc_u64 s[18:19], s[10:11], s[18:19]
	s_mul_hi_u32 s2, s5, s8
	s_mul_hi_u32 s21, s5, s9
	s_mul_i32 s8, s5, s9
	s_add_co_u32 s9, s18, s20
	s_add_co_ci_u32 s10, s19, s2
	s_add_co_ci_u32 s9, s21, 0
	s_delay_alu instid0(SALU_CYCLE_1) | instskip(NEXT) | instid1(SALU_CYCLE_1)
	s_add_nc_u64 s[8:9], s[10:11], s[8:9]
	s_add_co_u32 s4, s4, s8
	s_cselect_b32 s2, -1, 0
	s_delay_alu instid0(SALU_CYCLE_1) | instskip(SKIP_1) | instid1(SALU_CYCLE_1)
	s_cmp_lg_u32 s2, 0
	s_add_co_ci_u32 s5, s5, s9
	s_mul_u64 s[6:7], s[6:7], s[4:5]
	s_delay_alu instid0(SALU_CYCLE_1)
	s_mul_hi_u32 s9, s4, s7
	s_mul_i32 s8, s4, s7
	s_mul_hi_u32 s10, s4, s6
	s_mul_i32 s18, s5, s6
	s_add_nc_u64 s[8:9], s[10:11], s[8:9]
	s_mul_hi_u32 s2, s5, s6
	s_mul_hi_u32 s19, s5, s7
	s_mul_i32 s6, s5, s7
	s_add_co_u32 s7, s8, s18
	s_add_co_ci_u32 s10, s9, s2
	s_add_co_ci_u32 s7, s19, 0
	s_delay_alu instid0(SALU_CYCLE_1) | instskip(NEXT) | instid1(SALU_CYCLE_1)
	s_add_nc_u64 s[6:7], s[10:11], s[6:7]
	s_add_co_u32 s2, s4, s6
	s_cselect_b32 s4, -1, 0
	s_delay_alu instid0(SALU_CYCLE_1)
	s_cmp_lg_u32 s4, 0
	s_add_co_ci_u32 s10, s5, s7
	s_mov_b64 s[4:5], 0xffffffff
	v_mul_u64_e32 v[12:13], s[10:11], v[8:9]
	v_mul_hi_u32 v8, v6, s2
	s_and_b64 s[4:5], s[2:3], s[4:5]
	s_delay_alu instid0(VALU_DEP_1) | instskip(SKIP_1) | instid1(VALU_DEP_1)
	v_add_nc_u64_e32 v[12:13], v[8:9], v[12:13]
	v_mov_b32_e32 v8, v7
	v_mul_u64_e32 v[14:15], s[4:5], v[8:9]
	v_mul_u64_e32 v[16:17], s[10:11], v[8:9]
	s_delay_alu instid0(VALU_DEP_2) | instskip(NEXT) | instid1(VALU_DEP_3)
	v_add_co_u32 v8, vcc_lo, v12, v14
	v_add_co_ci_u32_e32 v8, vcc_lo, v13, v15, vcc_lo
	s_delay_alu instid0(VALU_DEP_3) | instskip(NEXT) | instid1(VALU_DEP_1)
	v_add_co_ci_u32_e32 v17, vcc_lo, 0, v17, vcc_lo
	v_add_nc_u64_e32 v[8:9], v[8:9], v[16:17]
	s_delay_alu instid0(VALU_DEP_1) | instskip(NEXT) | instid1(VALU_DEP_1)
	v_mul_u64_e32 v[12:13], s[16:17], v[8:9]
	v_sub_nc_u32_e32 v14, v7, v13
	s_delay_alu instid0(VALU_DEP_2) | instskip(NEXT) | instid1(VALU_DEP_1)
	v_sub_co_u32 v6, vcc_lo, v6, v12
	v_sub_co_ci_u32_e64 v13, null, v7, v13, vcc_lo
	s_delay_alu instid0(VALU_DEP_3) | instskip(NEXT) | instid1(VALU_DEP_3)
	v_subrev_co_ci_u32_e64 v12, null, s17, v14, vcc_lo
	v_sub_co_u32 v16, s2, v6, s16
	v_cmp_le_u32_e32 vcc_lo, s16, v6
	s_delay_alu instid0(VALU_DEP_3) | instskip(NEXT) | instid1(VALU_DEP_3)
	v_subrev_co_ci_u32_e64 v12, null, 0, v12, s2
	v_cmp_le_u32_e64 s2, s16, v16
	v_add_nc_u64_e32 v[14:15], 2, v[8:9]
	v_cndmask_b32_e64 v18, 0, -1, vcc_lo
	s_delay_alu instid0(VALU_DEP_4) | instskip(SKIP_3) | instid1(VALU_DEP_1)
	v_cmp_eq_u32_e32 vcc_lo, s17, v12
	v_add_nc_u64_e32 v[6:7], 1, v[8:9]
	v_cndmask_b32_e64 v16, 0, -1, s2
	v_cmp_le_u32_e64 s2, s17, v12
	v_cndmask_b32_e64 v17, 0, -1, s2
	v_cmp_eq_u32_e64 s2, s17, v13
	s_delay_alu instid0(VALU_DEP_2) | instskip(SKIP_2) | instid1(VALU_DEP_3)
	v_cndmask_b32_e32 v12, v17, v16, vcc_lo
	v_cmp_le_u32_e32 vcc_lo, s17, v13
	v_cndmask_b32_e64 v16, 0, -1, vcc_lo
	v_cmp_ne_u32_e32 vcc_lo, 0, v12
	s_delay_alu instid0(VALU_DEP_2) | instskip(SKIP_1) | instid1(VALU_DEP_2)
	v_dual_cndmask_b32 v7, v7, v15, vcc_lo :: v_dual_cndmask_b32 v12, v16, v18, s2
	v_cndmask_b32_e32 v6, v6, v14, vcc_lo
	v_cmp_ne_u32_e32 vcc_lo, 0, v12
	s_delay_alu instid0(VALU_DEP_2)
	v_dual_cndmask_b32 v9, v9, v7 :: v_dual_cndmask_b32 v8, v8, v6
                                        ; implicit-def: $vgpr6_vgpr7
.LBB44_3:
	s_and_not1_saveexec_b32 s2, s3
	s_cbranch_execz .LBB44_5
; %bb.4:
	v_cvt_f32_u32_e32 v7, s16
	s_sub_co_i32 s3, 0, s16
	s_delay_alu instid0(VALU_DEP_1) | instskip(SKIP_1) | instid1(TRANS32_DEP_1)
	v_rcp_iflag_f32_e32 v7, v7
	v_nop
	v_mul_f32_e32 v7, 0x4f7ffffe, v7
	s_delay_alu instid0(VALU_DEP_1) | instskip(NEXT) | instid1(VALU_DEP_1)
	v_cvt_u32_f32_e32 v7, v7
	v_mul_lo_u32 v8, s3, v7
	s_delay_alu instid0(VALU_DEP_1) | instskip(NEXT) | instid1(VALU_DEP_1)
	v_mul_hi_u32 v8, v7, v8
	v_add_nc_u32_e32 v7, v7, v8
	s_delay_alu instid0(VALU_DEP_1) | instskip(NEXT) | instid1(VALU_DEP_1)
	v_mul_hi_u32 v7, v6, v7
	v_mul_lo_u32 v8, v7, s16
	s_delay_alu instid0(VALU_DEP_1) | instskip(NEXT) | instid1(VALU_DEP_1)
	v_dual_sub_nc_u32 v6, v6, v8 :: v_dual_add_nc_u32 v8, 1, v7
	v_subrev_nc_u32_e32 v9, s16, v6
	v_cmp_le_u32_e32 vcc_lo, s16, v6
	s_delay_alu instid0(VALU_DEP_2) | instskip(NEXT) | instid1(VALU_DEP_4)
	v_dual_cndmask_b32 v6, v6, v9 :: v_dual_mov_b32 v9, 0
	v_cndmask_b32_e32 v7, v7, v8, vcc_lo
	s_delay_alu instid0(VALU_DEP_2) | instskip(NEXT) | instid1(VALU_DEP_2)
	v_cmp_le_u32_e32 vcc_lo, s16, v6
	v_add_nc_u32_e32 v8, 1, v7
	s_delay_alu instid0(VALU_DEP_1)
	v_cndmask_b32_e32 v8, v7, v8, vcc_lo
.LBB44_5:
	s_or_b32 exec_lo, exec_lo, s2
	s_load_b256 s[4:11], s[0:1], 0x0
	s_delay_alu instid0(VALU_DEP_1) | instskip(SKIP_1) | instid1(VALU_DEP_1)
	v_add_nc_u64_e32 v[4:5], v[8:9], v[4:5]
	s_sub_nc_u64 s[20:21], 0, s[12:13]
                                        ; implicit-def: $vgpr6_vgpr7
	v_add_nc_u64_e32 v[20:21], 1, v[4:5]
                                        ; implicit-def: $vgpr4_vgpr5
	s_wait_kmcnt 0x0
	s_lshl_b64 s[0:1], s[8:9], 1
	s_delay_alu instid0(SALU_CYCLE_1)
	s_add_nc_u64 s[18:19], s[0:1], -2
	s_mov_b32 s0, 0
	v_cmp_lt_i64_e64 s57, s[18:19], 1
	v_cmp_gt_i64_e64 s33, s[18:19], 0
	s_mov_b32 s1, exec_lo
	v_cmpx_lt_u64_e32 3, v[20:21]
	s_xor_b32 s56, exec_lo, s1
	s_cbranch_execnz .LBB44_8
; %bb.6:
	s_and_not1_saveexec_b32 s1, s56
	s_cbranch_execnz .LBB44_51
.LBB44_7:
	s_or_b32 exec_lo, exec_lo, s1
	s_delay_alu instid0(SALU_CYCLE_1)
	s_and_b32 exec_lo, exec_lo, s0
	s_cbranch_execnz .LBB44_52
	s_branch .LBB44_64
.LBB44_8:
	s_lshl_b64 s[0:1], s[36:37], 1
	s_mul_u64 s[2:3], s[36:37], 3
	s_add_nc_u64 s[0:1], s[0:1], s[34:35]
	s_add_nc_u64 s[2:3], s[2:3], s[34:35]
	v_mad_nc_u64_u32 v[8:9], s16, 3, v[2:3]
	v_mad_nc_u64_u32 v[12:13], s0, s40, v[0:1]
	;; [unrolled: 1-line block ×5, first 2 shown]
	v_dual_mov_b32 v23, v21 :: v_dual_bitop2_b32 v22, -4, v20 bitop3:0x40
	v_sub_nc_u64_e64 v[30:31], v[10:11], s[10:11]
	v_mov_b32_e32 v32, 0
	v_sub_nc_u64_e64 v[0:1], v[2:3], s[10:11]
	v_lshl_add_u64 v[24:25], v[2:3], 1, s[6:7]
	v_mad_u32 v9, s17, 3, v9
	v_mad_u32 v13, s1, s40, v13
	;; [unrolled: 1-line block ×3, first 2 shown]
	v_lshl_add_u32 v7, s17, 1, v7
	v_add_nc_u32_e32 v5, s17, v5
	v_mov_b64_e32 v[34:35], v[22:23]
	s_lshl_b64 s[36:37], s[16:17], 2
	s_xor_b32 s58, s57, -1
	s_mov_b32 s22, s18
	s_mov_b32 s23, s19
	;; [unrolled: 1-line block ×3, first 2 shown]
	v_mov_b64_e32 v[10:11], v[8:9]
	v_sub_nc_u64_e64 v[26:27], v[12:13], s[10:11]
	v_sub_nc_u64_e64 v[28:29], v[14:15], s[10:11]
	v_mov_b64_e32 v[8:9], v[6:7]
	v_mov_b64_e32 v[6:7], v[4:5]
	;; [unrolled: 1-line block ×3, first 2 shown]
	s_mov_b32 s25, s19
	s_mov_b32 s26, s18
	;; [unrolled: 1-line block ×15, first 2 shown]
	s_mul_u64 s[46:47], s[16:17], 6
	s_lshl_b64 s[48:49], s[16:17], 3
	s_lshl_b64 s[40:41], s[16:17], 1
	s_mov_b64 s[50:51], 0xffffffff
	s_mov_b32 s3, 0
	s_ashr_i32 s52, s13, 31
	s_mov_b32 s59, 0
	s_branch .LBB44_11
.LBB44_9:                               ;   in Loop: Header=BB44_11 Depth=1
	s_or_b32 exec_lo, exec_lo, s0
.LBB44_10:                              ;   in Loop: Header=BB44_11 Depth=1
	s_delay_alu instid0(VALU_DEP_1) | instskip(SKIP_3) | instid1(VALU_DEP_4)
	v_dual_ashrrev_i32 v33, 31, v19 :: v_dual_ashrrev_i32 v46, 31, v17
	v_mul_u64_e32 v[36:37], s[8:9], v[36:37]
	v_ashrrev_i32_e32 v48, 31, v13
	v_mul_u64_e32 v[38:39], s[28:29], v[38:39]
	v_and_b32_e32 v45, s27, v33
	v_dual_ashrrev_i32 v33, 31, v15 :: v_dual_bitop2_b32 v44, s26, v33 bitop3:0x40
	v_and_b32_e32 v47, s25, v46
	v_and_b32_e32 v46, s24, v46
	;; [unrolled: 1-line block ×3, first 2 shown]
	s_delay_alu instid0(VALU_DEP_4)
	v_add_nc_u64_e32 v[18:19], v[44:45], v[18:19]
	v_mul_u64_e32 v[40:41], s[30:31], v[40:41]
	v_mul_u64_e32 v[42:43], s[34:35], v[42:43]
	v_add_nc_u64_e32 v[16:17], v[46:47], v[16:17]
	v_and_b32_e32 v51, s23, v33
	v_and_b32_e32 v50, s22, v33
	v_add_nc_u64_e32 v[34:35], -4, v[34:35]
	v_sub_nc_u64_e32 v[46:47], s[26:27], v[18:19]
	v_cmp_gt_i64_e64 s0, s[34:35], v[18:19]
	v_and_b32_e32 v48, s18, v48
	v_add_nc_u64_e32 v[14:15], v[50:51], v[14:15]
	v_sub_nc_u64_e32 v[50:51], s[24:25], v[16:17]
	v_cmp_gt_i64_e64 s2, s[30:31], v[16:17]
	v_add_nc_u64_e32 v[10:11], s[44:45], v[10:11]
	v_add_nc_u64_e32 v[12:13], v[48:49], v[12:13]
	;; [unrolled: 1-line block ×4, first 2 shown]
	v_sub_nc_u64_e32 v[48:49], s[22:23], v[14:15]
	v_cmp_gt_i64_e64 s1, s[28:29], v[14:15]
	v_add_nc_u64_e32 v[4:5], s[36:37], v[4:5]
	v_add_nc_u64_e32 v[0:1], s[36:37], v[0:1]
	v_sub_nc_u64_e32 v[44:45], s[18:19], v[12:13]
	v_cmp_gt_i64_e32 vcc_lo, s[8:9], v[12:13]
	v_add_nc_u64_e32 v[26:27], s[36:37], v[26:27]
	v_add_nc_u64_e32 v[28:29], s[36:37], v[28:29]
	v_lshl_add_u64 v[38:39], v[38:39], 1, s[4:5]
	v_add_nc_u64_e32 v[30:31], s[36:37], v[30:31]
	v_dual_cndmask_b32 v33, v44, v12 :: v_dual_cndmask_b32 v44, v45, v13
	v_dual_cndmask_b32 v12, v46, v18, s0 :: v_dual_cndmask_b32 v13, v47, v19, s0
	v_dual_cndmask_b32 v18, v48, v14, s1 :: v_dual_cndmask_b32 v45, v49, v15, s1
	;; [unrolled: 1-line block ×3, first 2 shown]
	s_delay_alu instid0(VALU_DEP_4)
	v_cndmask_b32_e64 v15, v44, 0, s57
	v_cndmask_b32_e64 v14, v33, 0, s57
	v_lshl_add_u64 v[16:17], v[36:37], 1, s[4:5]
	v_cndmask_b32_e64 v37, v45, 0, s57
	v_cndmask_b32_e64 v36, v18, 0, s57
	;; [unrolled: 1-line block ×4, first 2 shown]
	v_lshl_add_u64 v[14:15], v[14:15], 1, v[16:17]
	v_lshl_add_u64 v[16:17], v[40:41], 1, s[4:5]
	v_cndmask_b32_e64 v13, v13, 0, s57
	v_cndmask_b32_e64 v12, v12, 0, s57
	v_lshl_add_u64 v[40:41], v[42:43], 1, s[4:5]
	global_load_u16 v33, v[14:15], off
	v_lshl_add_u64 v[36:37], v[36:37], 1, v[38:39]
	s_wait_xcnt 0x0
	v_lshl_add_u64 v[14:15], v[18:19], 1, v[16:17]
	v_cmp_eq_u64_e32 vcc_lo, 0, v[34:35]
	v_lshl_add_u64 v[12:13], v[12:13], 1, v[40:41]
	s_clause 0x2
	global_load_u16 v18, v[36:37], off
	global_load_u16 v19, v[14:15], off
	;; [unrolled: 1-line block ×3, first 2 shown]
	s_wait_xcnt 0x0
	v_add_nc_u64_e32 v[12:13], s[40:41], v[24:25]
	v_add_nc_u64_e32 v[14:15], s[36:37], v[24:25]
	v_add_nc_u64_e32 v[16:17], s[46:47], v[24:25]
	s_or_b32 s59, vcc_lo, s59
	s_wait_loadcnt 0x3
	global_store_b16 v[24:25], v33, off
	s_wait_xcnt 0x0
	v_add_nc_u64_e32 v[24:25], s[48:49], v[24:25]
	s_wait_loadcnt 0x2
	global_store_b16 v[12:13], v18, off
	s_wait_loadcnt 0x1
	global_store_b16 v[14:15], v19, off
	;; [unrolled: 2-line block ×3, first 2 shown]
	s_wait_xcnt 0x0
	s_and_not1_b32 exec_lo, exec_lo, s59
	s_cbranch_execz .LBB44_50
.LBB44_11:                              ; =>This Inner Loop Header: Depth=1
	v_or_b32_e32 v33, s13, v5
                                        ; implicit-def: $vgpr36_vgpr37
	s_mov_b32 s0, exec_lo
	s_delay_alu instid0(VALU_DEP_1)
	v_cmpx_ne_u64_e32 0, v[32:33]
	s_xor_b32 s1, exec_lo, s0
	s_cbranch_execz .LBB44_13
; %bb.12:                               ;   in Loop: Header=BB44_11 Depth=1
	s_mov_b32 s53, s52
	v_dual_mov_b32 v17, v32 :: v_dual_ashrrev_i32 v12, 31, v5
	s_add_nc_u64 s[54:55], s[12:13], s[52:53]
	v_mov_b32_e32 v41, v32
	s_xor_b64 s[54:55], s[54:55], s[52:53]
	s_delay_alu instid0(VALU_DEP_2) | instskip(SKIP_3) | instid1(VALU_DEP_1)
	v_mov_b32_e32 v13, v12
	s_cvt_f32_u32 s0, s54
	s_cvt_f32_u32 s2, s55
	s_sub_nc_u64 s[62:63], 0, s[54:55]
	v_add_nc_u64_e32 v[14:15], v[4:5], v[12:13]
	s_delay_alu instid0(SALU_CYCLE_1) | instskip(SKIP_1) | instid1(SALU_CYCLE_2)
	s_fmamk_f32 s0, s2, 0x4f800000, s0
	v_mov_b32_e32 v37, v32
	v_s_rcp_f32 s0, s0
	s_delay_alu instid0(VALU_DEP_2) | instskip(NEXT) | instid1(VALU_DEP_3)
	v_xor_b32_e32 v16, v14, v12
	v_xor_b32_e32 v36, v15, v12
	s_delay_alu instid0(TRANS32_DEP_1) | instskip(NEXT) | instid1(SALU_CYCLE_3)
	s_mul_f32 s0, s0, 0x5f7ffffc
	s_mul_f32 s2, s0, 0x2f800000
	s_delay_alu instid0(SALU_CYCLE_3) | instskip(NEXT) | instid1(SALU_CYCLE_3)
	s_trunc_f32 s2, s2
	s_fmamk_f32 s0, s2, 0xcf800000, s0
	s_cvt_u32_f32 s61, s2
	s_delay_alu instid0(SALU_CYCLE_2) | instskip(NEXT) | instid1(SALU_CYCLE_3)
	s_cvt_u32_f32 s60, s0
	s_mul_u64 s[64:65], s[62:63], s[60:61]
	s_delay_alu instid0(SALU_CYCLE_1)
	s_mul_hi_u32 s67, s60, s65
	s_mul_i32 s66, s60, s65
	s_mul_hi_u32 s2, s60, s64
	s_mul_i32 s53, s61, s64
	s_add_nc_u64 s[66:67], s[2:3], s[66:67]
	s_mul_hi_u32 s0, s61, s64
	s_mul_hi_u32 s68, s61, s65
	s_add_co_u32 s2, s66, s53
	s_add_co_ci_u32 s2, s67, s0
	s_mul_i32 s64, s61, s65
	s_add_co_ci_u32 s65, s68, 0
	s_delay_alu instid0(SALU_CYCLE_1) | instskip(NEXT) | instid1(SALU_CYCLE_1)
	s_add_nc_u64 s[64:65], s[2:3], s[64:65]
	s_add_co_u32 s60, s60, s64
	s_cselect_b32 s0, -1, 0
	s_delay_alu instid0(SALU_CYCLE_1) | instskip(SKIP_1) | instid1(SALU_CYCLE_1)
	s_cmp_lg_u32 s0, 0
	s_add_co_ci_u32 s61, s61, s65
	s_mul_u64 s[62:63], s[62:63], s[60:61]
	s_delay_alu instid0(SALU_CYCLE_1)
	s_mul_hi_u32 s65, s60, s63
	s_mul_i32 s64, s60, s63
	s_mul_hi_u32 s2, s60, s62
	s_mul_i32 s53, s61, s62
	s_add_nc_u64 s[64:65], s[2:3], s[64:65]
	s_mul_hi_u32 s0, s61, s62
	s_mul_hi_u32 s66, s61, s63
	s_add_co_u32 s2, s64, s53
	s_add_co_ci_u32 s2, s65, s0
	s_mul_i32 s62, s61, s63
	s_add_co_ci_u32 s63, s66, 0
	s_delay_alu instid0(SALU_CYCLE_1) | instskip(NEXT) | instid1(SALU_CYCLE_1)
	s_add_nc_u64 s[62:63], s[2:3], s[62:63]
	s_add_co_u32 s0, s60, s62
	s_cselect_b32 s2, -1, 0
	v_mul_hi_u32 v40, v16, s0
	s_cmp_lg_u32 s2, 0
	s_add_co_ci_u32 s2, s61, s63
	s_and_b64 s[60:61], s[0:1], s[50:51]
	v_mul_u64_e32 v[18:19], s[2:3], v[16:17]
	v_mul_u64_e32 v[14:15], s[60:61], v[36:37]
	;; [unrolled: 1-line block ×3, first 2 shown]
	s_delay_alu instid0(VALU_DEP_3) | instskip(NEXT) | instid1(VALU_DEP_1)
	v_add_nc_u64_e32 v[18:19], v[40:41], v[18:19]
	v_add_co_u32 v13, vcc_lo, v18, v14
	s_delay_alu instid0(VALU_DEP_2) | instskip(NEXT) | instid1(VALU_DEP_4)
	v_add_co_ci_u32_e32 v40, vcc_lo, v19, v15, vcc_lo
	v_add_co_ci_u32_e32 v39, vcc_lo, 0, v39, vcc_lo
	s_delay_alu instid0(VALU_DEP_1) | instskip(NEXT) | instid1(VALU_DEP_1)
	v_add_nc_u64_e32 v[14:15], v[40:41], v[38:39]
	v_mul_u64_e32 v[18:19], s[54:55], v[14:15]
	s_delay_alu instid0(VALU_DEP_1) | instskip(NEXT) | instid1(VALU_DEP_2)
	v_sub_nc_u32_e32 v13, v36, v19
	v_sub_co_u32 v16, vcc_lo, v16, v18
	s_delay_alu instid0(VALU_DEP_1) | instskip(NEXT) | instid1(VALU_DEP_3)
	v_sub_co_ci_u32_e64 v33, null, v36, v19, vcc_lo
	v_subrev_co_ci_u32_e64 v13, null, s55, v13, vcc_lo
	s_delay_alu instid0(VALU_DEP_3) | instskip(NEXT) | instid1(VALU_DEP_1)
	v_sub_co_u32 v17, s0, v16, s54
	v_subrev_co_ci_u32_e64 v13, null, 0, v13, s0
	s_delay_alu instid0(VALU_DEP_2) | instskip(SKIP_1) | instid1(VALU_DEP_3)
	v_cmp_le_u32_e32 vcc_lo, s54, v17
	v_cndmask_b32_e64 v17, 0, -1, vcc_lo
	v_cmp_le_u32_e32 vcc_lo, s55, v13
	v_cndmask_b32_e64 v18, 0, -1, vcc_lo
	;; [unrolled: 2-line block ×4, first 2 shown]
	v_cmp_eq_u32_e32 vcc_lo, s55, v13
	v_cndmask_b32_e32 v13, v18, v17, vcc_lo
	v_cmp_eq_u32_e32 vcc_lo, s55, v33
	v_add_nc_u64_e32 v[16:17], 2, v[14:15]
	v_add_nc_u64_e32 v[18:19], 1, v[14:15]
	v_cndmask_b32_e32 v33, v37, v36, vcc_lo
	v_cmp_ne_u32_e32 vcc_lo, 0, v13
	s_delay_alu instid0(VALU_DEP_2) | instskip(NEXT) | instid1(VALU_DEP_4)
	v_cmp_ne_u32_e64 s0, 0, v33
	v_dual_cndmask_b32 v13, v19, v17 :: v_dual_cndmask_b32 v16, v18, v16
	s_delay_alu instid0(VALU_DEP_1) | instskip(NEXT) | instid1(VALU_DEP_1)
	v_dual_cndmask_b32 v15, v15, v13, s0 :: v_dual_bitop2_b32 v12, s52, v12 bitop3:0x14
	v_dual_cndmask_b32 v14, v14, v16, s0 :: v_dual_mov_b32 v13, v12
	s_delay_alu instid0(VALU_DEP_2) | instskip(NEXT) | instid1(VALU_DEP_2)
	v_xor_b32_e32 v15, v15, v12
	v_xor_b32_e32 v14, v14, v12
	s_delay_alu instid0(VALU_DEP_1)
	v_sub_nc_u64_e32 v[36:37], v[14:15], v[12:13]
.LBB44_13:                              ;   in Loop: Header=BB44_11 Depth=1
	s_or_saveexec_b32 s0, s1
	v_cvt_f32_u32_e32 v12, s12
	s_delay_alu instid0(VALU_DEP_1)
	v_rcp_iflag_f32_e32 v12, v12
	s_xor_b32 exec_lo, exec_lo, s0
	s_cbranch_execz .LBB44_15
; %bb.14:                               ;   in Loop: Header=BB44_11 Depth=1
	v_nop
	s_delay_alu instid0(TRANS32_DEP_1) | instskip(SKIP_2) | instid1(VALU_DEP_2)
	v_mul_f32_e32 v13, 0x4f7ffffe, v12
	s_sub_co_i32 s1, 0, s12
	v_mov_b32_e32 v37, v32
	v_cvt_u32_f32_e32 v13, v13
	s_delay_alu instid0(VALU_DEP_1) | instskip(NEXT) | instid1(VALU_DEP_1)
	v_mul_lo_u32 v14, s1, v13
	v_mul_hi_u32 v14, v13, v14
	s_delay_alu instid0(VALU_DEP_1) | instskip(NEXT) | instid1(VALU_DEP_1)
	v_add_nc_u32_e32 v13, v13, v14
	v_mul_hi_u32 v13, v4, v13
	s_delay_alu instid0(VALU_DEP_1) | instskip(NEXT) | instid1(VALU_DEP_1)
	v_mul_lo_u32 v14, v13, s12
	v_dual_add_nc_u32 v15, 1, v13 :: v_dual_sub_nc_u32 v14, v4, v14
	s_delay_alu instid0(VALU_DEP_1) | instskip(SKIP_1) | instid1(VALU_DEP_2)
	v_subrev_nc_u32_e32 v16, s12, v14
	v_cmp_le_u32_e32 vcc_lo, s12, v14
	v_dual_cndmask_b32 v14, v14, v16 :: v_dual_cndmask_b32 v13, v13, v15
	s_delay_alu instid0(VALU_DEP_1) | instskip(NEXT) | instid1(VALU_DEP_2)
	v_cmp_le_u32_e32 vcc_lo, s12, v14
	v_add_nc_u32_e32 v15, 1, v13
	s_delay_alu instid0(VALU_DEP_1)
	v_cndmask_b32_e32 v36, v13, v15, vcc_lo
.LBB44_15:                              ;   in Loop: Header=BB44_11 Depth=1
	s_or_b32 exec_lo, exec_lo, s0
	v_or_b32_e32 v33, s13, v7
                                        ; implicit-def: $vgpr38_vgpr39
	s_mov_b32 s0, exec_lo
	s_delay_alu instid0(VALU_DEP_1)
	v_cmpx_ne_u64_e32 0, v[32:33]
	s_xor_b32 s1, exec_lo, s0
	s_cbranch_execz .LBB44_17
; %bb.16:                               ;   in Loop: Header=BB44_11 Depth=1
	s_mov_b32 s53, s52
	v_dual_mov_b32 v19, v32 :: v_dual_ashrrev_i32 v14, 31, v7
	s_add_nc_u64 s[54:55], s[12:13], s[52:53]
	v_mov_b32_e32 v45, v32
	s_xor_b64 s[54:55], s[54:55], s[52:53]
	s_delay_alu instid0(VALU_DEP_2) | instskip(SKIP_3) | instid1(VALU_DEP_1)
	v_mov_b32_e32 v15, v14
	s_cvt_f32_u32 s0, s54
	s_cvt_f32_u32 s2, s55
	s_sub_nc_u64 s[62:63], 0, s[54:55]
	v_add_nc_u64_e32 v[16:17], v[6:7], v[14:15]
	s_delay_alu instid0(SALU_CYCLE_1) | instskip(SKIP_1) | instid1(SALU_CYCLE_2)
	s_fmamk_f32 s0, s2, 0x4f800000, s0
	v_mov_b32_e32 v41, v32
	v_s_rcp_f32 s0, s0
	s_delay_alu instid0(VALU_DEP_2) | instskip(NEXT) | instid1(VALU_DEP_3)
	v_xor_b32_e32 v18, v16, v14
	v_xor_b32_e32 v40, v17, v14
	;; [unrolled: 1-line block ×3, first 2 shown]
	s_delay_alu instid0(TRANS32_DEP_1) | instskip(NEXT) | instid1(SALU_CYCLE_3)
	s_mul_f32 s0, s0, 0x5f7ffffc
	s_mul_f32 s2, s0, 0x2f800000
	s_delay_alu instid0(SALU_CYCLE_3) | instskip(NEXT) | instid1(SALU_CYCLE_3)
	s_trunc_f32 s2, s2
	s_fmamk_f32 s0, s2, 0xcf800000, s0
	s_cvt_u32_f32 s61, s2
	s_delay_alu instid0(SALU_CYCLE_2) | instskip(NEXT) | instid1(SALU_CYCLE_3)
	s_cvt_u32_f32 s60, s0
	s_mul_u64 s[64:65], s[62:63], s[60:61]
	s_delay_alu instid0(SALU_CYCLE_1)
	s_mul_hi_u32 s67, s60, s65
	s_mul_i32 s66, s60, s65
	s_mul_hi_u32 s2, s60, s64
	s_mul_i32 s53, s61, s64
	s_add_nc_u64 s[66:67], s[2:3], s[66:67]
	s_mul_hi_u32 s0, s61, s64
	s_mul_hi_u32 s68, s61, s65
	s_add_co_u32 s2, s66, s53
	s_add_co_ci_u32 s2, s67, s0
	s_mul_i32 s64, s61, s65
	s_add_co_ci_u32 s65, s68, 0
	s_delay_alu instid0(SALU_CYCLE_1) | instskip(NEXT) | instid1(SALU_CYCLE_1)
	s_add_nc_u64 s[64:65], s[2:3], s[64:65]
	s_add_co_u32 s60, s60, s64
	s_cselect_b32 s0, -1, 0
	s_delay_alu instid0(SALU_CYCLE_1) | instskip(SKIP_1) | instid1(SALU_CYCLE_1)
	s_cmp_lg_u32 s0, 0
	s_add_co_ci_u32 s61, s61, s65
	s_mul_u64 s[62:63], s[62:63], s[60:61]
	s_delay_alu instid0(SALU_CYCLE_1)
	s_mul_hi_u32 s65, s60, s63
	s_mul_i32 s64, s60, s63
	s_mul_hi_u32 s2, s60, s62
	s_mul_i32 s53, s61, s62
	s_add_nc_u64 s[64:65], s[2:3], s[64:65]
	s_mul_hi_u32 s0, s61, s62
	s_mul_hi_u32 s66, s61, s63
	s_add_co_u32 s2, s64, s53
	s_add_co_ci_u32 s2, s65, s0
	s_mul_i32 s62, s61, s63
	s_add_co_ci_u32 s63, s66, 0
	s_delay_alu instid0(SALU_CYCLE_1) | instskip(NEXT) | instid1(SALU_CYCLE_1)
	s_add_nc_u64 s[62:63], s[2:3], s[62:63]
	s_add_co_u32 s0, s60, s62
	s_cselect_b32 s2, -1, 0
	v_mul_hi_u32 v44, v18, s0
	s_cmp_lg_u32 s2, 0
	s_add_co_ci_u32 s2, s61, s63
	s_and_b64 s[60:61], s[0:1], s[50:51]
	v_mul_u64_e32 v[38:39], s[2:3], v[18:19]
	v_mul_u64_e32 v[16:17], s[60:61], v[40:41]
	;; [unrolled: 1-line block ×3, first 2 shown]
	s_delay_alu instid0(VALU_DEP_3) | instskip(NEXT) | instid1(VALU_DEP_1)
	v_add_nc_u64_e32 v[38:39], v[44:45], v[38:39]
	v_add_co_u32 v13, vcc_lo, v38, v16
	s_delay_alu instid0(VALU_DEP_2) | instskip(NEXT) | instid1(VALU_DEP_4)
	v_add_co_ci_u32_e32 v44, vcc_lo, v39, v17, vcc_lo
	v_add_co_ci_u32_e32 v43, vcc_lo, 0, v43, vcc_lo
	s_delay_alu instid0(VALU_DEP_1) | instskip(NEXT) | instid1(VALU_DEP_1)
	v_add_nc_u64_e32 v[16:17], v[44:45], v[42:43]
	v_mul_u64_e32 v[38:39], s[54:55], v[16:17]
	s_delay_alu instid0(VALU_DEP_1) | instskip(NEXT) | instid1(VALU_DEP_2)
	v_sub_nc_u32_e32 v13, v40, v39
	v_sub_co_u32 v15, vcc_lo, v18, v38
	s_delay_alu instid0(VALU_DEP_1) | instskip(NEXT) | instid1(VALU_DEP_3)
	v_sub_co_ci_u32_e64 v33, null, v40, v39, vcc_lo
	v_subrev_co_ci_u32_e64 v13, null, s55, v13, vcc_lo
	s_delay_alu instid0(VALU_DEP_3) | instskip(SKIP_1) | instid1(VALU_DEP_3)
	v_sub_co_u32 v18, s0, v15, s54
	v_add_nc_u64_e32 v[38:39], 1, v[16:17]
	v_subrev_co_ci_u32_e64 v13, null, 0, v13, s0
	s_delay_alu instid0(VALU_DEP_3) | instskip(SKIP_1) | instid1(VALU_DEP_3)
	v_cmp_le_u32_e32 vcc_lo, s54, v18
	v_cndmask_b32_e64 v18, 0, -1, vcc_lo
	v_cmp_le_u32_e32 vcc_lo, s55, v13
	v_cndmask_b32_e64 v19, 0, -1, vcc_lo
	;; [unrolled: 2-line block ×4, first 2 shown]
	v_cmp_eq_u32_e32 vcc_lo, s55, v13
	v_cndmask_b32_e32 v13, v19, v18, vcc_lo
	v_cmp_eq_u32_e32 vcc_lo, s55, v33
	v_add_nc_u64_e32 v[18:19], 2, v[16:17]
	v_cndmask_b32_e32 v15, v40, v15, vcc_lo
	s_delay_alu instid0(VALU_DEP_4) | instskip(NEXT) | instid1(VALU_DEP_2)
	v_cmp_ne_u32_e32 vcc_lo, 0, v13
	v_cmp_ne_u32_e64 s0, 0, v15
	s_delay_alu instid0(VALU_DEP_4) | instskip(NEXT) | instid1(VALU_DEP_1)
	v_dual_cndmask_b32 v13, v39, v19, vcc_lo :: v_dual_cndmask_b32 v15, v38, v18, vcc_lo
	v_dual_cndmask_b32 v16, v16, v15, s0 :: v_dual_mov_b32 v15, v14
	s_delay_alu instid0(VALU_DEP_1) | instskip(NEXT) | instid1(VALU_DEP_1)
	v_dual_cndmask_b32 v13, v17, v13, s0 :: v_dual_bitop2_b32 v16, v16, v14 bitop3:0x14
	v_xor_b32_e32 v17, v13, v14
	s_delay_alu instid0(VALU_DEP_1)
	v_sub_nc_u64_e32 v[38:39], v[16:17], v[14:15]
.LBB44_17:                              ;   in Loop: Header=BB44_11 Depth=1
	s_and_not1_saveexec_b32 s0, s1
	s_cbranch_execz .LBB44_19
; %bb.18:                               ;   in Loop: Header=BB44_11 Depth=1
	v_mul_f32_e32 v13, 0x4f7ffffe, v12
	s_sub_co_i32 s1, 0, s12
	v_mov_b32_e32 v39, v32
	s_delay_alu instid0(VALU_DEP_2) | instskip(NEXT) | instid1(VALU_DEP_1)
	v_cvt_u32_f32_e32 v13, v13
	v_mul_lo_u32 v14, s1, v13
	s_delay_alu instid0(VALU_DEP_1) | instskip(NEXT) | instid1(VALU_DEP_1)
	v_mul_hi_u32 v14, v13, v14
	v_add_nc_u32_e32 v13, v13, v14
	s_delay_alu instid0(VALU_DEP_1) | instskip(NEXT) | instid1(VALU_DEP_1)
	v_mul_hi_u32 v13, v6, v13
	v_mul_lo_u32 v14, v13, s12
	s_delay_alu instid0(VALU_DEP_1) | instskip(NEXT) | instid1(VALU_DEP_1)
	v_dual_add_nc_u32 v15, 1, v13 :: v_dual_sub_nc_u32 v14, v6, v14
	v_subrev_nc_u32_e32 v16, s12, v14
	v_cmp_le_u32_e32 vcc_lo, s12, v14
	s_delay_alu instid0(VALU_DEP_2) | instskip(NEXT) | instid1(VALU_DEP_1)
	v_dual_cndmask_b32 v14, v14, v16 :: v_dual_cndmask_b32 v13, v13, v15
	v_cmp_le_u32_e32 vcc_lo, s12, v14
	s_delay_alu instid0(VALU_DEP_2) | instskip(NEXT) | instid1(VALU_DEP_1)
	v_add_nc_u32_e32 v15, 1, v13
	v_cndmask_b32_e32 v38, v13, v15, vcc_lo
.LBB44_19:                              ;   in Loop: Header=BB44_11 Depth=1
	s_or_b32 exec_lo, exec_lo, s0
	v_or_b32_e32 v33, s13, v9
                                        ; implicit-def: $vgpr40_vgpr41
	s_mov_b32 s0, exec_lo
	s_delay_alu instid0(VALU_DEP_1)
	v_cmpx_ne_u64_e32 0, v[32:33]
	s_xor_b32 s1, exec_lo, s0
	s_cbranch_execz .LBB44_21
; %bb.20:                               ;   in Loop: Header=BB44_11 Depth=1
	s_mov_b32 s53, s52
	v_dual_mov_b32 v19, v32 :: v_dual_ashrrev_i32 v14, 31, v9
	s_add_nc_u64 s[54:55], s[12:13], s[52:53]
	s_delay_alu instid0(SALU_CYCLE_1) | instskip(NEXT) | instid1(VALU_DEP_1)
	s_xor_b64 s[54:55], s[54:55], s[52:53]
	v_mov_b32_e32 v15, v14
	s_cvt_f32_u32 s0, s54
	s_cvt_f32_u32 s2, s55
	s_sub_nc_u64 s[62:63], 0, s[54:55]
	s_delay_alu instid0(VALU_DEP_1) | instskip(NEXT) | instid1(SALU_CYCLE_1)
	v_add_nc_u64_e32 v[16:17], v[8:9], v[14:15]
	s_fmamk_f32 s0, s2, 0x4f800000, s0
	v_mov_b32_e32 v43, v32
	s_delay_alu instid0(SALU_CYCLE_2) | instskip(NEXT) | instid1(VALU_DEP_2)
	v_s_rcp_f32 s0, s0
	v_xor_b32_e32 v18, v16, v14
	s_delay_alu instid0(VALU_DEP_3) | instskip(NEXT) | instid1(TRANS32_DEP_1)
	v_dual_mov_b32 v47, v32 :: v_dual_bitop2_b32 v42, v17, v14 bitop3:0x14
	s_mul_f32 s0, s0, 0x5f7ffffc
	s_delay_alu instid0(SALU_CYCLE_3) | instskip(NEXT) | instid1(SALU_CYCLE_3)
	s_mul_f32 s2, s0, 0x2f800000
	s_trunc_f32 s2, s2
	s_delay_alu instid0(SALU_CYCLE_3) | instskip(SKIP_1) | instid1(SALU_CYCLE_2)
	s_fmamk_f32 s0, s2, 0xcf800000, s0
	s_cvt_u32_f32 s61, s2
	s_cvt_u32_f32 s60, s0
	s_delay_alu instid0(SALU_CYCLE_3) | instskip(NEXT) | instid1(SALU_CYCLE_1)
	s_mul_u64 s[64:65], s[62:63], s[60:61]
	s_mul_hi_u32 s67, s60, s65
	s_mul_i32 s66, s60, s65
	s_mul_hi_u32 s2, s60, s64
	s_mul_i32 s53, s61, s64
	s_add_nc_u64 s[66:67], s[2:3], s[66:67]
	s_mul_hi_u32 s0, s61, s64
	s_mul_hi_u32 s68, s61, s65
	s_add_co_u32 s2, s66, s53
	s_add_co_ci_u32 s2, s67, s0
	s_mul_i32 s64, s61, s65
	s_add_co_ci_u32 s65, s68, 0
	s_delay_alu instid0(SALU_CYCLE_1) | instskip(NEXT) | instid1(SALU_CYCLE_1)
	s_add_nc_u64 s[64:65], s[2:3], s[64:65]
	s_add_co_u32 s60, s60, s64
	s_cselect_b32 s0, -1, 0
	s_delay_alu instid0(SALU_CYCLE_1) | instskip(SKIP_1) | instid1(SALU_CYCLE_1)
	s_cmp_lg_u32 s0, 0
	s_add_co_ci_u32 s61, s61, s65
	s_mul_u64 s[62:63], s[62:63], s[60:61]
	s_delay_alu instid0(SALU_CYCLE_1)
	s_mul_hi_u32 s65, s60, s63
	s_mul_i32 s64, s60, s63
	s_mul_hi_u32 s2, s60, s62
	s_mul_i32 s53, s61, s62
	s_add_nc_u64 s[64:65], s[2:3], s[64:65]
	s_mul_hi_u32 s0, s61, s62
	s_mul_hi_u32 s66, s61, s63
	s_add_co_u32 s2, s64, s53
	s_add_co_ci_u32 s2, s65, s0
	s_mul_i32 s62, s61, s63
	s_add_co_ci_u32 s63, s66, 0
	s_delay_alu instid0(SALU_CYCLE_1) | instskip(NEXT) | instid1(SALU_CYCLE_1)
	s_add_nc_u64 s[62:63], s[2:3], s[62:63]
	s_add_co_u32 s0, s60, s62
	s_cselect_b32 s2, -1, 0
	v_mul_hi_u32 v46, v18, s0
	s_cmp_lg_u32 s2, 0
	s_add_co_ci_u32 s2, s61, s63
	s_and_b64 s[60:61], s[0:1], s[50:51]
	v_mul_u64_e32 v[40:41], s[2:3], v[18:19]
	v_mul_u64_e32 v[16:17], s[60:61], v[42:43]
	;; [unrolled: 1-line block ×3, first 2 shown]
	s_delay_alu instid0(VALU_DEP_3) | instskip(NEXT) | instid1(VALU_DEP_1)
	v_add_nc_u64_e32 v[40:41], v[46:47], v[40:41]
	v_add_co_u32 v13, vcc_lo, v40, v16
	s_delay_alu instid0(VALU_DEP_2) | instskip(NEXT) | instid1(VALU_DEP_4)
	v_add_co_ci_u32_e32 v46, vcc_lo, v41, v17, vcc_lo
	v_add_co_ci_u32_e32 v45, vcc_lo, 0, v45, vcc_lo
	s_delay_alu instid0(VALU_DEP_1) | instskip(NEXT) | instid1(VALU_DEP_1)
	v_add_nc_u64_e32 v[16:17], v[46:47], v[44:45]
	v_mul_u64_e32 v[40:41], s[54:55], v[16:17]
	s_delay_alu instid0(VALU_DEP_1) | instskip(NEXT) | instid1(VALU_DEP_2)
	v_sub_nc_u32_e32 v13, v42, v41
	v_sub_co_u32 v15, vcc_lo, v18, v40
	s_delay_alu instid0(VALU_DEP_1) | instskip(NEXT) | instid1(VALU_DEP_3)
	v_sub_co_ci_u32_e64 v33, null, v42, v41, vcc_lo
	v_subrev_co_ci_u32_e64 v13, null, s55, v13, vcc_lo
	s_delay_alu instid0(VALU_DEP_3) | instskip(SKIP_1) | instid1(VALU_DEP_3)
	v_sub_co_u32 v18, s0, v15, s54
	v_add_nc_u64_e32 v[40:41], 1, v[16:17]
	v_subrev_co_ci_u32_e64 v13, null, 0, v13, s0
	s_delay_alu instid0(VALU_DEP_3) | instskip(SKIP_1) | instid1(VALU_DEP_3)
	v_cmp_le_u32_e32 vcc_lo, s54, v18
	v_cndmask_b32_e64 v18, 0, -1, vcc_lo
	v_cmp_le_u32_e32 vcc_lo, s55, v13
	v_cndmask_b32_e64 v19, 0, -1, vcc_lo
	;; [unrolled: 2-line block ×4, first 2 shown]
	v_cmp_eq_u32_e32 vcc_lo, s55, v13
	v_cndmask_b32_e32 v13, v19, v18, vcc_lo
	v_cmp_eq_u32_e32 vcc_lo, s55, v33
	v_add_nc_u64_e32 v[18:19], 2, v[16:17]
	v_cndmask_b32_e32 v15, v42, v15, vcc_lo
	s_delay_alu instid0(VALU_DEP_4) | instskip(NEXT) | instid1(VALU_DEP_2)
	v_cmp_ne_u32_e32 vcc_lo, 0, v13
	v_cmp_ne_u32_e64 s0, 0, v15
	s_delay_alu instid0(VALU_DEP_4) | instskip(NEXT) | instid1(VALU_DEP_1)
	v_dual_cndmask_b32 v13, v41, v19, vcc_lo :: v_dual_cndmask_b32 v15, v40, v18, vcc_lo
	v_dual_cndmask_b32 v13, v17, v13, s0 :: v_dual_bitop2_b32 v14, s52, v14 bitop3:0x14
	s_delay_alu instid0(VALU_DEP_1) | instskip(NEXT) | instid1(VALU_DEP_2)
	v_dual_cndmask_b32 v16, v16, v15, s0 :: v_dual_mov_b32 v15, v14
	v_xor_b32_e32 v17, v13, v14
	s_delay_alu instid0(VALU_DEP_2) | instskip(NEXT) | instid1(VALU_DEP_1)
	v_xor_b32_e32 v16, v16, v14
	v_sub_nc_u64_e32 v[40:41], v[16:17], v[14:15]
.LBB44_21:                              ;   in Loop: Header=BB44_11 Depth=1
	s_and_not1_saveexec_b32 s0, s1
	s_cbranch_execz .LBB44_23
; %bb.22:                               ;   in Loop: Header=BB44_11 Depth=1
	v_mul_f32_e32 v13, 0x4f7ffffe, v12
	s_sub_co_i32 s1, 0, s12
	v_mov_b32_e32 v41, v32
	s_delay_alu instid0(VALU_DEP_2) | instskip(NEXT) | instid1(VALU_DEP_1)
	v_cvt_u32_f32_e32 v13, v13
	v_mul_lo_u32 v14, s1, v13
	s_delay_alu instid0(VALU_DEP_1) | instskip(NEXT) | instid1(VALU_DEP_1)
	v_mul_hi_u32 v14, v13, v14
	v_add_nc_u32_e32 v13, v13, v14
	s_delay_alu instid0(VALU_DEP_1) | instskip(NEXT) | instid1(VALU_DEP_1)
	v_mul_hi_u32 v13, v8, v13
	v_mul_lo_u32 v14, v13, s12
	s_delay_alu instid0(VALU_DEP_1) | instskip(NEXT) | instid1(VALU_DEP_1)
	v_dual_add_nc_u32 v15, 1, v13 :: v_dual_sub_nc_u32 v14, v8, v14
	v_subrev_nc_u32_e32 v16, s12, v14
	v_cmp_le_u32_e32 vcc_lo, s12, v14
	s_delay_alu instid0(VALU_DEP_2) | instskip(NEXT) | instid1(VALU_DEP_1)
	v_dual_cndmask_b32 v14, v14, v16 :: v_dual_cndmask_b32 v13, v13, v15
	v_cmp_le_u32_e32 vcc_lo, s12, v14
	s_delay_alu instid0(VALU_DEP_2) | instskip(NEXT) | instid1(VALU_DEP_1)
	v_add_nc_u32_e32 v15, 1, v13
	v_cndmask_b32_e32 v40, v13, v15, vcc_lo
.LBB44_23:                              ;   in Loop: Header=BB44_11 Depth=1
	s_or_b32 exec_lo, exec_lo, s0
	v_or_b32_e32 v33, s13, v11
                                        ; implicit-def: $vgpr42_vgpr43
	s_mov_b32 s0, exec_lo
	s_delay_alu instid0(VALU_DEP_1)
	v_cmpx_ne_u64_e32 0, v[32:33]
	s_xor_b32 s1, exec_lo, s0
	s_cbranch_execnz .LBB44_29
; %bb.24:                               ;   in Loop: Header=BB44_11 Depth=1
	s_and_not1_saveexec_b32 s0, s1
	s_cbranch_execnz .LBB44_30
.LBB44_25:                              ;   in Loop: Header=BB44_11 Depth=1
	s_or_b32 exec_lo, exec_lo, s0
	s_delay_alu instid0(SALU_CYCLE_1)
	s_and_not1_b32 vcc_lo, exec_lo, s58
                                        ; implicit-def: $vgpr12_vgpr13_vgpr14_vgpr15_vgpr16_vgpr17_vgpr18_vgpr19
	s_cbranch_vccz .LBB44_31
.LBB44_26:                              ;   in Loop: Header=BB44_11 Depth=1
	s_and_not1_b32 vcc_lo, exec_lo, s58
	s_cbranch_vccz .LBB44_36
.LBB44_27:                              ;   in Loop: Header=BB44_11 Depth=1
	s_and_not1_b32 vcc_lo, exec_lo, s58
	s_cbranch_vccz .LBB44_41
.LBB44_28:                              ;   in Loop: Header=BB44_11 Depth=1
	s_and_not1_b32 vcc_lo, exec_lo, s58
	s_cbranch_vccnz .LBB44_10
	s_branch .LBB44_46
.LBB44_29:                              ;   in Loop: Header=BB44_11 Depth=1
	s_mov_b32 s53, s52
	v_dual_mov_b32 v17, v32 :: v_dual_ashrrev_i32 v12, 31, v11
	s_add_nc_u64 s[54:55], s[12:13], s[52:53]
	s_delay_alu instid0(SALU_CYCLE_1) | instskip(NEXT) | instid1(VALU_DEP_1)
	s_xor_b64 s[54:55], s[54:55], s[52:53]
	v_mov_b32_e32 v13, v12
	s_cvt_f32_u32 s0, s54
	s_cvt_f32_u32 s2, s55
	s_sub_nc_u64 s[62:63], 0, s[54:55]
	s_delay_alu instid0(VALU_DEP_1) | instskip(NEXT) | instid1(SALU_CYCLE_1)
	v_add_nc_u64_e32 v[14:15], v[10:11], v[12:13]
	s_fmamk_f32 s0, s2, 0x4f800000, s0
	v_mov_b32_e32 v43, v32
	s_delay_alu instid0(SALU_CYCLE_2) | instskip(NEXT) | instid1(VALU_DEP_2)
	v_s_rcp_f32 s0, s0
	v_xor_b32_e32 v16, v14, v12
	s_delay_alu instid0(VALU_DEP_3) | instskip(NEXT) | instid1(TRANS32_DEP_1)
	v_dual_mov_b32 v47, v32 :: v_dual_bitop2_b32 v42, v15, v12 bitop3:0x14
	s_mul_f32 s0, s0, 0x5f7ffffc
	s_delay_alu instid0(SALU_CYCLE_3) | instskip(NEXT) | instid1(SALU_CYCLE_3)
	s_mul_f32 s2, s0, 0x2f800000
	s_trunc_f32 s2, s2
	s_delay_alu instid0(SALU_CYCLE_3) | instskip(SKIP_1) | instid1(SALU_CYCLE_2)
	s_fmamk_f32 s0, s2, 0xcf800000, s0
	s_cvt_u32_f32 s61, s2
	s_cvt_u32_f32 s60, s0
	s_delay_alu instid0(SALU_CYCLE_3) | instskip(NEXT) | instid1(SALU_CYCLE_1)
	s_mul_u64 s[64:65], s[62:63], s[60:61]
	s_mul_hi_u32 s67, s60, s65
	s_mul_i32 s66, s60, s65
	s_mul_hi_u32 s2, s60, s64
	s_mul_i32 s53, s61, s64
	s_add_nc_u64 s[66:67], s[2:3], s[66:67]
	s_mul_hi_u32 s0, s61, s64
	s_mul_hi_u32 s68, s61, s65
	s_add_co_u32 s2, s66, s53
	s_add_co_ci_u32 s2, s67, s0
	s_mul_i32 s64, s61, s65
	s_add_co_ci_u32 s65, s68, 0
	s_delay_alu instid0(SALU_CYCLE_1) | instskip(NEXT) | instid1(SALU_CYCLE_1)
	s_add_nc_u64 s[64:65], s[2:3], s[64:65]
	s_add_co_u32 s60, s60, s64
	s_cselect_b32 s0, -1, 0
	s_delay_alu instid0(SALU_CYCLE_1) | instskip(SKIP_1) | instid1(SALU_CYCLE_1)
	s_cmp_lg_u32 s0, 0
	s_add_co_ci_u32 s61, s61, s65
	s_mul_u64 s[62:63], s[62:63], s[60:61]
	s_delay_alu instid0(SALU_CYCLE_1)
	s_mul_hi_u32 s65, s60, s63
	s_mul_i32 s64, s60, s63
	s_mul_hi_u32 s2, s60, s62
	s_mul_i32 s53, s61, s62
	s_add_nc_u64 s[64:65], s[2:3], s[64:65]
	s_mul_hi_u32 s0, s61, s62
	s_mul_hi_u32 s66, s61, s63
	s_add_co_u32 s2, s64, s53
	s_add_co_ci_u32 s2, s65, s0
	s_mul_i32 s62, s61, s63
	s_add_co_ci_u32 s63, s66, 0
	s_delay_alu instid0(SALU_CYCLE_1) | instskip(NEXT) | instid1(SALU_CYCLE_1)
	s_add_nc_u64 s[62:63], s[2:3], s[62:63]
	s_add_co_u32 s0, s60, s62
	s_cselect_b32 s2, -1, 0
	v_mul_hi_u32 v46, v16, s0
	s_cmp_lg_u32 s2, 0
	s_add_co_ci_u32 s2, s61, s63
	s_and_b64 s[60:61], s[0:1], s[50:51]
	v_mul_u64_e32 v[18:19], s[2:3], v[16:17]
	v_mul_u64_e32 v[14:15], s[60:61], v[42:43]
	;; [unrolled: 1-line block ×3, first 2 shown]
	s_delay_alu instid0(VALU_DEP_3) | instskip(NEXT) | instid1(VALU_DEP_1)
	v_add_nc_u64_e32 v[18:19], v[46:47], v[18:19]
	v_add_co_u32 v13, vcc_lo, v18, v14
	s_delay_alu instid0(VALU_DEP_2) | instskip(NEXT) | instid1(VALU_DEP_4)
	v_add_co_ci_u32_e32 v46, vcc_lo, v19, v15, vcc_lo
	v_add_co_ci_u32_e32 v45, vcc_lo, 0, v45, vcc_lo
	s_delay_alu instid0(VALU_DEP_1) | instskip(NEXT) | instid1(VALU_DEP_1)
	v_add_nc_u64_e32 v[14:15], v[46:47], v[44:45]
	v_mul_u64_e32 v[18:19], s[54:55], v[14:15]
	s_delay_alu instid0(VALU_DEP_1) | instskip(NEXT) | instid1(VALU_DEP_2)
	v_sub_nc_u32_e32 v13, v42, v19
	v_sub_co_u32 v16, vcc_lo, v16, v18
	s_delay_alu instid0(VALU_DEP_1) | instskip(NEXT) | instid1(VALU_DEP_3)
	v_sub_co_ci_u32_e64 v33, null, v42, v19, vcc_lo
	v_subrev_co_ci_u32_e64 v13, null, s55, v13, vcc_lo
	s_delay_alu instid0(VALU_DEP_3) | instskip(NEXT) | instid1(VALU_DEP_1)
	v_sub_co_u32 v17, s0, v16, s54
	v_subrev_co_ci_u32_e64 v13, null, 0, v13, s0
	s_delay_alu instid0(VALU_DEP_2) | instskip(SKIP_1) | instid1(VALU_DEP_3)
	v_cmp_le_u32_e32 vcc_lo, s54, v17
	v_cndmask_b32_e64 v17, 0, -1, vcc_lo
	v_cmp_le_u32_e32 vcc_lo, s55, v13
	v_cndmask_b32_e64 v18, 0, -1, vcc_lo
	;; [unrolled: 2-line block ×4, first 2 shown]
	v_cmp_eq_u32_e32 vcc_lo, s55, v13
	v_cndmask_b32_e32 v13, v18, v17, vcc_lo
	v_cmp_eq_u32_e32 vcc_lo, s55, v33
	v_add_nc_u64_e32 v[16:17], 2, v[14:15]
	v_add_nc_u64_e32 v[18:19], 1, v[14:15]
	v_cndmask_b32_e32 v33, v43, v42, vcc_lo
	v_cmp_ne_u32_e32 vcc_lo, 0, v13
	s_delay_alu instid0(VALU_DEP_2) | instskip(NEXT) | instid1(VALU_DEP_4)
	v_cmp_ne_u32_e64 s0, 0, v33
	v_dual_cndmask_b32 v13, v19, v17 :: v_dual_cndmask_b32 v16, v18, v16
	s_delay_alu instid0(VALU_DEP_1) | instskip(NEXT) | instid1(VALU_DEP_1)
	v_dual_cndmask_b32 v15, v15, v13, s0 :: v_dual_bitop2_b32 v12, s52, v12 bitop3:0x14
	v_dual_cndmask_b32 v14, v14, v16, s0 :: v_dual_mov_b32 v13, v12
	s_delay_alu instid0(VALU_DEP_2) | instskip(NEXT) | instid1(VALU_DEP_2)
	v_xor_b32_e32 v15, v15, v12
	v_xor_b32_e32 v14, v14, v12
	s_delay_alu instid0(VALU_DEP_1)
	v_sub_nc_u64_e32 v[42:43], v[14:15], v[12:13]
                                        ; implicit-def: $vgpr12
	s_and_not1_saveexec_b32 s0, s1
	s_cbranch_execz .LBB44_25
.LBB44_30:                              ;   in Loop: Header=BB44_11 Depth=1
	v_mul_f32_e32 v12, 0x4f7ffffe, v12
	s_sub_co_i32 s1, 0, s12
	v_mov_b32_e32 v43, v32
	s_delay_alu instid0(VALU_DEP_2) | instskip(NEXT) | instid1(VALU_DEP_1)
	v_cvt_u32_f32_e32 v12, v12
	v_mul_lo_u32 v13, s1, v12
	s_delay_alu instid0(VALU_DEP_1) | instskip(NEXT) | instid1(VALU_DEP_1)
	v_mul_hi_u32 v13, v12, v13
	v_add_nc_u32_e32 v12, v12, v13
	s_delay_alu instid0(VALU_DEP_1) | instskip(NEXT) | instid1(VALU_DEP_1)
	v_mul_hi_u32 v12, v10, v12
	v_mul_lo_u32 v13, v12, s12
	s_delay_alu instid0(VALU_DEP_1) | instskip(NEXT) | instid1(VALU_DEP_1)
	v_dual_add_nc_u32 v14, 1, v12 :: v_dual_sub_nc_u32 v13, v10, v13
	v_subrev_nc_u32_e32 v15, s12, v13
	v_cmp_le_u32_e32 vcc_lo, s12, v13
	s_delay_alu instid0(VALU_DEP_2) | instskip(NEXT) | instid1(VALU_DEP_1)
	v_dual_cndmask_b32 v13, v13, v15 :: v_dual_cndmask_b32 v12, v12, v14
	v_cmp_le_u32_e32 vcc_lo, s12, v13
	s_delay_alu instid0(VALU_DEP_2) | instskip(NEXT) | instid1(VALU_DEP_1)
	v_add_nc_u32_e32 v14, 1, v12
	v_cndmask_b32_e32 v42, v12, v14, vcc_lo
	s_or_b32 exec_lo, exec_lo, s0
	s_delay_alu instid0(SALU_CYCLE_1)
	s_and_not1_b32 vcc_lo, exec_lo, s58
                                        ; implicit-def: $vgpr12_vgpr13_vgpr14_vgpr15_vgpr16_vgpr17_vgpr18_vgpr19
	s_cbranch_vccnz .LBB44_26
.LBB44_31:                              ;   in Loop: Header=BB44_11 Depth=1
	v_mad_nc_u64_u32 v[14:15], s20, v36, v[0:1]
	s_mov_b32 s0, exec_lo
	s_delay_alu instid0(VALU_DEP_1) | instskip(NEXT) | instid1(VALU_DEP_1)
	v_mad_u32 v12, s21, v36, v15
	v_mad_u32 v15, s20, v37, v12
                                        ; implicit-def: $vgpr12_vgpr13
	s_delay_alu instid0(VALU_DEP_1) | instskip(NEXT) | instid1(VALU_DEP_1)
	v_or_b32_e32 v33, s19, v15
	v_cmpx_ne_u64_e32 0, v[32:33]
	s_xor_b32 s1, exec_lo, s0
	s_cbranch_execz .LBB44_33
; %bb.32:                               ;   in Loop: Header=BB44_11 Depth=1
	s_ashr_i32 s54, s19, 31
	v_dual_mov_b32 v17, v32 :: v_dual_ashrrev_i32 v12, 31, v15
	s_mov_b32 s55, s54
	v_mov_b32_e32 v49, v32
	s_add_nc_u64 s[60:61], s[18:19], s[54:55]
	s_delay_alu instid0(VALU_DEP_2) | instskip(SKIP_1) | instid1(SALU_CYCLE_1)
	v_mov_b32_e32 v13, v12
	s_xor_b64 s[54:55], s[60:61], s[54:55]
	s_cvt_f32_u32 s0, s54
	s_cvt_f32_u32 s2, s55
	s_sub_nc_u64 s[62:63], 0, s[54:55]
	v_add_nc_u64_e32 v[14:15], v[14:15], v[12:13]
	v_mov_b32_e32 v45, v32
	s_fmamk_f32 s0, s2, 0x4f800000, s0
	s_delay_alu instid0(SALU_CYCLE_3) | instskip(NEXT) | instid1(VALU_DEP_2)
	v_s_rcp_f32 s0, s0
	v_xor_b32_e32 v16, v14, v12
	s_delay_alu instid0(VALU_DEP_3) | instskip(NEXT) | instid1(TRANS32_DEP_1)
	v_xor_b32_e32 v44, v15, v12
	s_mul_f32 s0, s0, 0x5f7ffffc
	s_delay_alu instid0(SALU_CYCLE_3) | instskip(NEXT) | instid1(SALU_CYCLE_3)
	s_mul_f32 s2, s0, 0x2f800000
	s_trunc_f32 s2, s2
	s_delay_alu instid0(SALU_CYCLE_3) | instskip(SKIP_1) | instid1(SALU_CYCLE_2)
	s_fmamk_f32 s0, s2, 0xcf800000, s0
	s_cvt_u32_f32 s61, s2
	s_cvt_u32_f32 s60, s0
	s_delay_alu instid0(SALU_CYCLE_3) | instskip(NEXT) | instid1(SALU_CYCLE_1)
	s_mul_u64 s[64:65], s[62:63], s[60:61]
	s_mul_hi_u32 s67, s60, s65
	s_mul_i32 s66, s60, s65
	s_mul_hi_u32 s2, s60, s64
	s_mul_i32 s53, s61, s64
	s_add_nc_u64 s[66:67], s[2:3], s[66:67]
	s_mul_hi_u32 s0, s61, s64
	s_mul_hi_u32 s68, s61, s65
	s_add_co_u32 s2, s66, s53
	s_add_co_ci_u32 s2, s67, s0
	s_mul_i32 s64, s61, s65
	s_add_co_ci_u32 s65, s68, 0
	s_delay_alu instid0(SALU_CYCLE_1) | instskip(NEXT) | instid1(SALU_CYCLE_1)
	s_add_nc_u64 s[64:65], s[2:3], s[64:65]
	s_add_co_u32 s60, s60, s64
	s_cselect_b32 s0, -1, 0
	s_delay_alu instid0(SALU_CYCLE_1) | instskip(SKIP_1) | instid1(SALU_CYCLE_1)
	s_cmp_lg_u32 s0, 0
	s_add_co_ci_u32 s61, s61, s65
	s_mul_u64 s[62:63], s[62:63], s[60:61]
	s_delay_alu instid0(SALU_CYCLE_1)
	s_mul_hi_u32 s65, s60, s63
	s_mul_i32 s64, s60, s63
	s_mul_hi_u32 s2, s60, s62
	s_mul_i32 s53, s61, s62
	s_add_nc_u64 s[64:65], s[2:3], s[64:65]
	s_mul_hi_u32 s0, s61, s62
	s_mul_hi_u32 s66, s61, s63
	s_add_co_u32 s2, s64, s53
	s_add_co_ci_u32 s2, s65, s0
	s_mul_i32 s62, s61, s63
	s_add_co_ci_u32 s63, s66, 0
	s_delay_alu instid0(SALU_CYCLE_1) | instskip(NEXT) | instid1(SALU_CYCLE_1)
	s_add_nc_u64 s[62:63], s[2:3], s[62:63]
	s_add_co_u32 s0, s60, s62
	s_cselect_b32 s2, -1, 0
	v_mul_hi_u32 v48, v16, s0
	s_cmp_lg_u32 s2, 0
	s_add_co_ci_u32 s2, s61, s63
	s_and_b64 s[60:61], s[0:1], s[50:51]
	v_mul_u64_e32 v[18:19], s[2:3], v[16:17]
	v_mul_u64_e32 v[14:15], s[60:61], v[44:45]
	;; [unrolled: 1-line block ×3, first 2 shown]
	s_delay_alu instid0(VALU_DEP_3) | instskip(NEXT) | instid1(VALU_DEP_1)
	v_add_nc_u64_e32 v[18:19], v[48:49], v[18:19]
	v_add_co_u32 v14, vcc_lo, v18, v14
	s_delay_alu instid0(VALU_DEP_2) | instskip(NEXT) | instid1(VALU_DEP_4)
	v_add_co_ci_u32_e32 v48, vcc_lo, v19, v15, vcc_lo
	v_add_co_ci_u32_e32 v47, vcc_lo, 0, v47, vcc_lo
	s_delay_alu instid0(VALU_DEP_1) | instskip(NEXT) | instid1(VALU_DEP_1)
	v_add_nc_u64_e32 v[14:15], v[48:49], v[46:47]
	v_mul_u64_e32 v[14:15], s[54:55], v[14:15]
	s_delay_alu instid0(VALU_DEP_1) | instskip(NEXT) | instid1(VALU_DEP_2)
	v_sub_nc_u32_e32 v17, v44, v15
	v_sub_co_u32 v14, vcc_lo, v16, v14
	s_delay_alu instid0(VALU_DEP_1) | instskip(NEXT) | instid1(VALU_DEP_3)
	v_sub_co_ci_u32_e64 v15, null, v44, v15, vcc_lo
	v_subrev_co_ci_u32_e64 v16, null, s55, v17, vcc_lo
	s_delay_alu instid0(VALU_DEP_3) | instskip(SKIP_1) | instid1(VALU_DEP_3)
	v_sub_co_u32 v17, vcc_lo, v14, s54
	v_cmp_le_u32_e64 s0, s54, v14
	v_subrev_co_ci_u32_e64 v18, null, 0, v16, vcc_lo
	v_subrev_co_ci_u32_e64 v16, null, s55, v16, vcc_lo
	s_delay_alu instid0(VALU_DEP_3) | instskip(SKIP_2) | instid1(VALU_DEP_2)
	v_cndmask_b32_e64 v19, 0, -1, s0
	v_cmp_le_u32_e64 s0, s54, v17
	v_cmp_le_u32_e32 vcc_lo, s55, v15
	v_cndmask_b32_e64 v33, 0, -1, s0
	v_cmp_le_u32_e64 s0, s55, v18
	v_cndmask_b32_e64 v45, 0, -1, vcc_lo
	v_cmp_eq_u32_e32 vcc_lo, s55, v18
	s_delay_alu instid0(VALU_DEP_3) | instskip(SKIP_1) | instid1(VALU_DEP_2)
	v_cndmask_b32_e64 v44, 0, -1, s0
	v_cmp_eq_u32_e64 s0, s55, v15
	v_cndmask_b32_e32 v33, v44, v33, vcc_lo
	v_sub_co_u32 v44, vcc_lo, v17, s54
	s_delay_alu instid0(VALU_DEP_1) | instskip(NEXT) | instid1(VALU_DEP_3)
	v_subrev_co_ci_u32_e64 v16, null, 0, v16, vcc_lo
	v_cmp_ne_u32_e32 vcc_lo, 0, v33
	s_delay_alu instid0(VALU_DEP_2) | instskip(NEXT) | instid1(VALU_DEP_4)
	v_dual_cndmask_b32 v19, v45, v19, s0 :: v_dual_cndmask_b32 v16, v18, v16, vcc_lo
	v_cndmask_b32_e32 v17, v17, v44, vcc_lo
	s_delay_alu instid0(VALU_DEP_2) | instskip(NEXT) | instid1(VALU_DEP_2)
	v_cmp_ne_u32_e32 vcc_lo, 0, v19
	v_dual_cndmask_b32 v15, v15, v16 :: v_dual_cndmask_b32 v14, v14, v17
	s_delay_alu instid0(VALU_DEP_1) | instskip(NEXT) | instid1(VALU_DEP_2)
	v_xor_b32_e32 v15, v15, v12
	v_xor_b32_e32 v14, v14, v12
	s_delay_alu instid0(VALU_DEP_1)
	v_sub_nc_u64_e32 v[12:13], v[14:15], v[12:13]
                                        ; implicit-def: $vgpr14_vgpr15
.LBB44_33:                              ;   in Loop: Header=BB44_11 Depth=1
	s_and_not1_saveexec_b32 s0, s1
	s_cbranch_execz .LBB44_35
; %bb.34:                               ;   in Loop: Header=BB44_11 Depth=1
	v_cvt_f32_u32_e32 v12, s18
	s_sub_co_i32 s1, 0, s18
	s_delay_alu instid0(VALU_DEP_1) | instskip(SKIP_1) | instid1(TRANS32_DEP_1)
	v_rcp_iflag_f32_e32 v12, v12
	v_nop
	v_mul_f32_e32 v12, 0x4f7ffffe, v12
	s_delay_alu instid0(VALU_DEP_1) | instskip(NEXT) | instid1(VALU_DEP_1)
	v_cvt_u32_f32_e32 v12, v12
	v_mul_lo_u32 v13, s1, v12
	s_delay_alu instid0(VALU_DEP_1) | instskip(NEXT) | instid1(VALU_DEP_1)
	v_mul_hi_u32 v13, v12, v13
	v_add_nc_u32_e32 v12, v12, v13
	s_delay_alu instid0(VALU_DEP_1) | instskip(NEXT) | instid1(VALU_DEP_1)
	v_mul_hi_u32 v12, v14, v12
	v_mul_lo_u32 v12, v12, s18
	s_delay_alu instid0(VALU_DEP_1) | instskip(NEXT) | instid1(VALU_DEP_1)
	v_sub_nc_u32_e32 v12, v14, v12
	v_subrev_nc_u32_e32 v13, s18, v12
	v_cmp_le_u32_e32 vcc_lo, s18, v12
	s_delay_alu instid0(VALU_DEP_2) | instskip(NEXT) | instid1(VALU_DEP_1)
	v_cndmask_b32_e32 v12, v12, v13, vcc_lo
	v_subrev_nc_u32_e32 v13, s18, v12
	v_cmp_le_u32_e32 vcc_lo, s18, v12
	s_delay_alu instid0(VALU_DEP_2)
	v_cndmask_b32_e32 v12, v12, v13, vcc_lo
	v_mov_b32_e32 v13, v32
.LBB44_35:                              ;   in Loop: Header=BB44_11 Depth=1
	s_or_b32 exec_lo, exec_lo, s0
	s_delay_alu instid0(SALU_CYCLE_1)
	s_and_not1_b32 vcc_lo, exec_lo, s58
	s_cbranch_vccnz .LBB44_27
.LBB44_36:                              ;   in Loop: Header=BB44_11 Depth=1
	v_mad_nc_u64_u32 v[44:45], s20, v38, v[30:31]
	s_mov_b32 s0, exec_lo
	s_delay_alu instid0(VALU_DEP_1) | instskip(NEXT) | instid1(VALU_DEP_1)
	v_mad_u32 v14, s21, v38, v45
	v_mad_u32 v45, s20, v39, v14
	s_delay_alu instid0(VALU_DEP_1) | instskip(NEXT) | instid1(VALU_DEP_1)
	v_or_b32_e32 v33, s19, v45
	v_cmpx_ne_u64_e32 0, v[32:33]
	s_xor_b32 s1, exec_lo, s0
	s_cbranch_execz .LBB44_38
; %bb.37:                               ;   in Loop: Header=BB44_11 Depth=1
	s_ashr_i32 s54, s19, 31
	v_dual_mov_b32 v47, v32 :: v_dual_ashrrev_i32 v14, 31, v45
	s_mov_b32 s55, s54
	s_delay_alu instid0(SALU_CYCLE_1) | instskip(NEXT) | instid1(VALU_DEP_1)
	s_add_nc_u64 s[60:61], s[18:19], s[54:55]
	v_mov_b32_e32 v15, v14
	s_xor_b64 s[54:55], s[60:61], s[54:55]
	s_delay_alu instid0(SALU_CYCLE_1)
	s_cvt_f32_u32 s0, s54
	s_cvt_f32_u32 s2, s55
	s_sub_nc_u64 s[62:63], 0, s[54:55]
	v_add_nc_u64_e32 v[44:45], v[44:45], v[14:15]
	v_mov_b32_e32 v51, v32
	s_fmamk_f32 s0, s2, 0x4f800000, s0
	s_delay_alu instid0(SALU_CYCLE_3) | instskip(NEXT) | instid1(VALU_DEP_2)
	v_s_rcp_f32 s0, s0
	v_xor_b32_e32 v46, v44, v14
	s_delay_alu instid0(VALU_DEP_3) | instskip(NEXT) | instid1(TRANS32_DEP_1)
	v_dual_mov_b32 v55, v32 :: v_dual_bitop2_b32 v50, v45, v14 bitop3:0x14
	s_mul_f32 s0, s0, 0x5f7ffffc
	s_delay_alu instid0(SALU_CYCLE_3) | instskip(NEXT) | instid1(SALU_CYCLE_3)
	s_mul_f32 s2, s0, 0x2f800000
	s_trunc_f32 s2, s2
	s_delay_alu instid0(SALU_CYCLE_3) | instskip(SKIP_1) | instid1(SALU_CYCLE_2)
	s_fmamk_f32 s0, s2, 0xcf800000, s0
	s_cvt_u32_f32 s61, s2
	s_cvt_u32_f32 s60, s0
	s_delay_alu instid0(SALU_CYCLE_3) | instskip(NEXT) | instid1(SALU_CYCLE_1)
	s_mul_u64 s[64:65], s[62:63], s[60:61]
	s_mul_hi_u32 s67, s60, s65
	s_mul_i32 s66, s60, s65
	s_mul_hi_u32 s2, s60, s64
	s_mul_i32 s53, s61, s64
	s_add_nc_u64 s[66:67], s[2:3], s[66:67]
	s_mul_hi_u32 s0, s61, s64
	s_mul_hi_u32 s68, s61, s65
	s_add_co_u32 s2, s66, s53
	s_add_co_ci_u32 s2, s67, s0
	s_mul_i32 s64, s61, s65
	s_add_co_ci_u32 s65, s68, 0
	s_delay_alu instid0(SALU_CYCLE_1) | instskip(NEXT) | instid1(SALU_CYCLE_1)
	s_add_nc_u64 s[64:65], s[2:3], s[64:65]
	s_add_co_u32 s60, s60, s64
	s_cselect_b32 s0, -1, 0
	s_delay_alu instid0(SALU_CYCLE_1) | instskip(SKIP_1) | instid1(SALU_CYCLE_1)
	s_cmp_lg_u32 s0, 0
	s_add_co_ci_u32 s61, s61, s65
	s_mul_u64 s[62:63], s[62:63], s[60:61]
	s_delay_alu instid0(SALU_CYCLE_1)
	s_mul_hi_u32 s65, s60, s63
	s_mul_i32 s64, s60, s63
	s_mul_hi_u32 s2, s60, s62
	s_mul_i32 s53, s61, s62
	s_add_nc_u64 s[64:65], s[2:3], s[64:65]
	s_mul_hi_u32 s0, s61, s62
	s_mul_hi_u32 s66, s61, s63
	s_add_co_u32 s2, s64, s53
	s_add_co_ci_u32 s2, s65, s0
	s_mul_i32 s62, s61, s63
	s_add_co_ci_u32 s63, s66, 0
	s_delay_alu instid0(SALU_CYCLE_1) | instskip(NEXT) | instid1(SALU_CYCLE_1)
	s_add_nc_u64 s[62:63], s[2:3], s[62:63]
	s_add_co_u32 s0, s60, s62
	s_cselect_b32 s2, -1, 0
	v_mul_hi_u32 v54, v46, s0
	s_cmp_lg_u32 s2, 0
	s_add_co_ci_u32 s2, s61, s63
	s_and_b64 s[60:61], s[0:1], s[50:51]
	v_mul_u64_e32 v[48:49], s[2:3], v[46:47]
	v_mul_u64_e32 v[44:45], s[60:61], v[50:51]
	v_mul_u64_e32 v[52:53], s[2:3], v[50:51]
	s_delay_alu instid0(VALU_DEP_3) | instskip(NEXT) | instid1(VALU_DEP_1)
	v_add_nc_u64_e32 v[48:49], v[54:55], v[48:49]
	v_add_co_u32 v33, vcc_lo, v48, v44
	s_delay_alu instid0(VALU_DEP_2) | instskip(NEXT) | instid1(VALU_DEP_4)
	v_add_co_ci_u32_e32 v54, vcc_lo, v49, v45, vcc_lo
	v_add_co_ci_u32_e32 v53, vcc_lo, 0, v53, vcc_lo
	s_delay_alu instid0(VALU_DEP_1) | instskip(NEXT) | instid1(VALU_DEP_1)
	v_add_nc_u64_e32 v[44:45], v[54:55], v[52:53]
	v_mul_u64_e32 v[44:45], s[54:55], v[44:45]
	s_delay_alu instid0(VALU_DEP_1) | instskip(NEXT) | instid1(VALU_DEP_2)
	v_sub_nc_u32_e32 v33, v50, v45
	v_sub_co_u32 v44, vcc_lo, v46, v44
	s_delay_alu instid0(VALU_DEP_1) | instskip(NEXT) | instid1(VALU_DEP_3)
	v_sub_co_ci_u32_e64 v45, null, v50, v45, vcc_lo
	v_subrev_co_ci_u32_e64 v33, null, s55, v33, vcc_lo
	s_delay_alu instid0(VALU_DEP_3) | instskip(SKIP_1) | instid1(VALU_DEP_3)
	v_sub_co_u32 v46, vcc_lo, v44, s54
	v_cmp_le_u32_e64 s0, s54, v44
	v_subrev_co_ci_u32_e64 v47, null, 0, v33, vcc_lo
	v_subrev_co_ci_u32_e64 v33, null, s55, v33, vcc_lo
	s_delay_alu instid0(VALU_DEP_3) | instskip(SKIP_2) | instid1(VALU_DEP_2)
	v_cndmask_b32_e64 v48, 0, -1, s0
	v_cmp_le_u32_e64 s0, s54, v46
	v_cmp_le_u32_e32 vcc_lo, s55, v45
	v_cndmask_b32_e64 v49, 0, -1, s0
	v_cmp_le_u32_e64 s0, s55, v47
	v_cndmask_b32_e64 v51, 0, -1, vcc_lo
	v_cmp_eq_u32_e32 vcc_lo, s55, v47
	s_delay_alu instid0(VALU_DEP_3) | instskip(SKIP_1) | instid1(VALU_DEP_1)
	v_cndmask_b32_e64 v50, 0, -1, s0
	v_cmp_eq_u32_e64 s0, s55, v45
	v_dual_cndmask_b32 v49, v50, v49, vcc_lo :: v_dual_cndmask_b32 v48, v51, v48, s0
	v_sub_co_u32 v50, vcc_lo, v46, s54
	s_delay_alu instid0(VALU_DEP_1) | instskip(NEXT) | instid1(VALU_DEP_3)
	v_subrev_co_ci_u32_e64 v33, null, 0, v33, vcc_lo
	v_cmp_ne_u32_e32 vcc_lo, 0, v49
	s_delay_alu instid0(VALU_DEP_2) | instskip(SKIP_1) | instid1(VALU_DEP_2)
	v_dual_cndmask_b32 v33, v47, v33 :: v_dual_cndmask_b32 v46, v46, v50
	v_cmp_ne_u32_e32 vcc_lo, 0, v48
	v_dual_cndmask_b32 v33, v45, v33 :: v_dual_cndmask_b32 v44, v44, v46
	s_delay_alu instid0(VALU_DEP_1) | instskip(NEXT) | instid1(VALU_DEP_2)
	v_xor_b32_e32 v45, v33, v14
	v_xor_b32_e32 v44, v44, v14
	s_delay_alu instid0(VALU_DEP_1)
	v_sub_nc_u64_e32 v[14:15], v[44:45], v[14:15]
                                        ; implicit-def: $vgpr44_vgpr45
.LBB44_38:                              ;   in Loop: Header=BB44_11 Depth=1
	s_and_not1_saveexec_b32 s0, s1
	s_cbranch_execz .LBB44_40
; %bb.39:                               ;   in Loop: Header=BB44_11 Depth=1
	v_cvt_f32_u32_e32 v14, s18
	s_sub_co_i32 s1, 0, s18
	s_delay_alu instid0(VALU_DEP_1) | instskip(SKIP_1) | instid1(TRANS32_DEP_1)
	v_rcp_iflag_f32_e32 v14, v14
	v_nop
	v_mul_f32_e32 v14, 0x4f7ffffe, v14
	s_delay_alu instid0(VALU_DEP_1) | instskip(NEXT) | instid1(VALU_DEP_1)
	v_cvt_u32_f32_e32 v14, v14
	v_mul_lo_u32 v15, s1, v14
	s_delay_alu instid0(VALU_DEP_1) | instskip(NEXT) | instid1(VALU_DEP_1)
	v_mul_hi_u32 v15, v14, v15
	v_add_nc_u32_e32 v14, v14, v15
	s_delay_alu instid0(VALU_DEP_1) | instskip(NEXT) | instid1(VALU_DEP_1)
	v_mul_hi_u32 v14, v44, v14
	v_mul_lo_u32 v14, v14, s18
	s_delay_alu instid0(VALU_DEP_1) | instskip(NEXT) | instid1(VALU_DEP_1)
	v_sub_nc_u32_e32 v14, v44, v14
	v_subrev_nc_u32_e32 v15, s18, v14
	v_cmp_le_u32_e32 vcc_lo, s18, v14
	s_delay_alu instid0(VALU_DEP_2) | instskip(NEXT) | instid1(VALU_DEP_1)
	v_cndmask_b32_e32 v14, v14, v15, vcc_lo
	v_subrev_nc_u32_e32 v15, s18, v14
	v_cmp_le_u32_e32 vcc_lo, s18, v14
	s_delay_alu instid0(VALU_DEP_2)
	v_dual_cndmask_b32 v14, v14, v15 :: v_dual_mov_b32 v15, v32
.LBB44_40:                              ;   in Loop: Header=BB44_11 Depth=1
	s_or_b32 exec_lo, exec_lo, s0
	s_delay_alu instid0(SALU_CYCLE_1)
	s_and_not1_b32 vcc_lo, exec_lo, s58
	s_cbranch_vccnz .LBB44_28
.LBB44_41:                              ;   in Loop: Header=BB44_11 Depth=1
	v_mad_nc_u64_u32 v[44:45], s20, v40, v[26:27]
	s_mov_b32 s0, exec_lo
	s_delay_alu instid0(VALU_DEP_1) | instskip(NEXT) | instid1(VALU_DEP_1)
	v_mad_u32 v16, s21, v40, v45
	v_mad_u32 v45, s20, v41, v16
	s_delay_alu instid0(VALU_DEP_1) | instskip(NEXT) | instid1(VALU_DEP_1)
	v_or_b32_e32 v33, s19, v45
	v_cmpx_ne_u64_e32 0, v[32:33]
	s_xor_b32 s1, exec_lo, s0
	s_cbranch_execz .LBB44_43
; %bb.42:                               ;   in Loop: Header=BB44_11 Depth=1
	s_ashr_i32 s54, s19, 31
	v_dual_mov_b32 v47, v32 :: v_dual_ashrrev_i32 v16, 31, v45
	s_mov_b32 s55, s54
	v_mov_b32_e32 v51, v32
	s_add_nc_u64 s[60:61], s[18:19], s[54:55]
	s_delay_alu instid0(VALU_DEP_2)
	v_mov_b32_e32 v17, v16
	s_xor_b64 s[54:55], s[60:61], s[54:55]
	v_mov_b32_e32 v55, v32
	s_cvt_f32_u32 s0, s54
	s_cvt_f32_u32 s2, s55
	s_sub_nc_u64 s[62:63], 0, s[54:55]
	v_add_nc_u64_e32 v[44:45], v[44:45], v[16:17]
	s_delay_alu instid0(SALU_CYCLE_1) | instskip(NEXT) | instid1(SALU_CYCLE_3)
	s_fmamk_f32 s0, s2, 0x4f800000, s0
	v_s_rcp_f32 s0, s0
	s_delay_alu instid0(VALU_DEP_1) | instskip(NEXT) | instid1(VALU_DEP_2)
	v_xor_b32_e32 v50, v45, v16
	v_xor_b32_e32 v46, v44, v16
	s_delay_alu instid0(TRANS32_DEP_1) | instskip(NEXT) | instid1(SALU_CYCLE_3)
	s_mul_f32 s0, s0, 0x5f7ffffc
	s_mul_f32 s2, s0, 0x2f800000
	s_delay_alu instid0(SALU_CYCLE_3) | instskip(NEXT) | instid1(SALU_CYCLE_3)
	s_trunc_f32 s2, s2
	s_fmamk_f32 s0, s2, 0xcf800000, s0
	s_cvt_u32_f32 s61, s2
	s_delay_alu instid0(SALU_CYCLE_2) | instskip(NEXT) | instid1(SALU_CYCLE_3)
	s_cvt_u32_f32 s60, s0
	s_mul_u64 s[64:65], s[62:63], s[60:61]
	s_delay_alu instid0(SALU_CYCLE_1)
	s_mul_hi_u32 s67, s60, s65
	s_mul_i32 s66, s60, s65
	s_mul_hi_u32 s2, s60, s64
	s_mul_i32 s53, s61, s64
	s_add_nc_u64 s[66:67], s[2:3], s[66:67]
	s_mul_hi_u32 s0, s61, s64
	s_mul_hi_u32 s68, s61, s65
	s_add_co_u32 s2, s66, s53
	s_add_co_ci_u32 s2, s67, s0
	s_mul_i32 s64, s61, s65
	s_add_co_ci_u32 s65, s68, 0
	s_delay_alu instid0(SALU_CYCLE_1) | instskip(NEXT) | instid1(SALU_CYCLE_1)
	s_add_nc_u64 s[64:65], s[2:3], s[64:65]
	s_add_co_u32 s60, s60, s64
	s_cselect_b32 s0, -1, 0
	s_delay_alu instid0(SALU_CYCLE_1) | instskip(SKIP_1) | instid1(SALU_CYCLE_1)
	s_cmp_lg_u32 s0, 0
	s_add_co_ci_u32 s61, s61, s65
	s_mul_u64 s[62:63], s[62:63], s[60:61]
	s_delay_alu instid0(SALU_CYCLE_1)
	s_mul_hi_u32 s65, s60, s63
	s_mul_i32 s64, s60, s63
	s_mul_hi_u32 s2, s60, s62
	s_mul_i32 s53, s61, s62
	s_add_nc_u64 s[64:65], s[2:3], s[64:65]
	s_mul_hi_u32 s0, s61, s62
	s_mul_hi_u32 s66, s61, s63
	s_add_co_u32 s2, s64, s53
	s_add_co_ci_u32 s2, s65, s0
	s_mul_i32 s62, s61, s63
	s_add_co_ci_u32 s63, s66, 0
	s_delay_alu instid0(SALU_CYCLE_1) | instskip(NEXT) | instid1(SALU_CYCLE_1)
	s_add_nc_u64 s[62:63], s[2:3], s[62:63]
	s_add_co_u32 s0, s60, s62
	s_cselect_b32 s2, -1, 0
	v_mul_hi_u32 v54, v46, s0
	s_cmp_lg_u32 s2, 0
	s_add_co_ci_u32 s2, s61, s63
	s_and_b64 s[60:61], s[0:1], s[50:51]
	v_mul_u64_e32 v[48:49], s[2:3], v[46:47]
	v_mul_u64_e32 v[44:45], s[60:61], v[50:51]
	;; [unrolled: 1-line block ×3, first 2 shown]
	s_delay_alu instid0(VALU_DEP_3) | instskip(NEXT) | instid1(VALU_DEP_1)
	v_add_nc_u64_e32 v[48:49], v[54:55], v[48:49]
	v_add_co_u32 v33, vcc_lo, v48, v44
	s_delay_alu instid0(VALU_DEP_2) | instskip(NEXT) | instid1(VALU_DEP_4)
	v_add_co_ci_u32_e32 v54, vcc_lo, v49, v45, vcc_lo
	v_add_co_ci_u32_e32 v53, vcc_lo, 0, v53, vcc_lo
	s_delay_alu instid0(VALU_DEP_1) | instskip(NEXT) | instid1(VALU_DEP_1)
	v_add_nc_u64_e32 v[44:45], v[54:55], v[52:53]
	v_mul_u64_e32 v[44:45], s[54:55], v[44:45]
	s_delay_alu instid0(VALU_DEP_1) | instskip(NEXT) | instid1(VALU_DEP_2)
	v_sub_nc_u32_e32 v33, v50, v45
	v_sub_co_u32 v44, vcc_lo, v46, v44
	s_delay_alu instid0(VALU_DEP_1) | instskip(NEXT) | instid1(VALU_DEP_3)
	v_sub_co_ci_u32_e64 v45, null, v50, v45, vcc_lo
	v_subrev_co_ci_u32_e64 v33, null, s55, v33, vcc_lo
	s_delay_alu instid0(VALU_DEP_3) | instskip(SKIP_1) | instid1(VALU_DEP_3)
	v_sub_co_u32 v46, vcc_lo, v44, s54
	v_cmp_le_u32_e64 s0, s54, v44
	v_subrev_co_ci_u32_e64 v47, null, 0, v33, vcc_lo
	v_subrev_co_ci_u32_e64 v33, null, s55, v33, vcc_lo
	s_delay_alu instid0(VALU_DEP_3) | instskip(SKIP_2) | instid1(VALU_DEP_2)
	v_cndmask_b32_e64 v48, 0, -1, s0
	v_cmp_le_u32_e64 s0, s54, v46
	v_cmp_le_u32_e32 vcc_lo, s55, v45
	v_cndmask_b32_e64 v49, 0, -1, s0
	v_cmp_le_u32_e64 s0, s55, v47
	v_cndmask_b32_e64 v51, 0, -1, vcc_lo
	v_cmp_eq_u32_e32 vcc_lo, s55, v47
	s_delay_alu instid0(VALU_DEP_3) | instskip(SKIP_1) | instid1(VALU_DEP_1)
	v_cndmask_b32_e64 v50, 0, -1, s0
	v_cmp_eq_u32_e64 s0, s55, v45
	v_dual_cndmask_b32 v49, v50, v49, vcc_lo :: v_dual_cndmask_b32 v48, v51, v48, s0
	v_sub_co_u32 v50, vcc_lo, v46, s54
	s_delay_alu instid0(VALU_DEP_1) | instskip(NEXT) | instid1(VALU_DEP_3)
	v_subrev_co_ci_u32_e64 v33, null, 0, v33, vcc_lo
	v_cmp_ne_u32_e32 vcc_lo, 0, v49
	s_delay_alu instid0(VALU_DEP_2) | instskip(SKIP_1) | instid1(VALU_DEP_2)
	v_dual_cndmask_b32 v33, v47, v33 :: v_dual_cndmask_b32 v46, v46, v50
	v_cmp_ne_u32_e32 vcc_lo, 0, v48
	v_dual_cndmask_b32 v33, v45, v33 :: v_dual_cndmask_b32 v44, v44, v46
	s_delay_alu instid0(VALU_DEP_1) | instskip(NEXT) | instid1(VALU_DEP_2)
	v_xor_b32_e32 v45, v33, v16
	v_xor_b32_e32 v44, v44, v16
	s_delay_alu instid0(VALU_DEP_1)
	v_sub_nc_u64_e32 v[16:17], v[44:45], v[16:17]
                                        ; implicit-def: $vgpr44_vgpr45
.LBB44_43:                              ;   in Loop: Header=BB44_11 Depth=1
	s_and_not1_saveexec_b32 s0, s1
	s_cbranch_execz .LBB44_45
; %bb.44:                               ;   in Loop: Header=BB44_11 Depth=1
	v_cvt_f32_u32_e32 v16, s18
	s_sub_co_i32 s1, 0, s18
	s_delay_alu instid0(VALU_DEP_1) | instskip(SKIP_1) | instid1(TRANS32_DEP_1)
	v_rcp_iflag_f32_e32 v16, v16
	v_nop
	v_mul_f32_e32 v16, 0x4f7ffffe, v16
	s_delay_alu instid0(VALU_DEP_1) | instskip(NEXT) | instid1(VALU_DEP_1)
	v_cvt_u32_f32_e32 v16, v16
	v_mul_lo_u32 v17, s1, v16
	s_delay_alu instid0(VALU_DEP_1) | instskip(NEXT) | instid1(VALU_DEP_1)
	v_mul_hi_u32 v17, v16, v17
	v_add_nc_u32_e32 v16, v16, v17
	s_delay_alu instid0(VALU_DEP_1) | instskip(NEXT) | instid1(VALU_DEP_1)
	v_mul_hi_u32 v16, v44, v16
	v_mul_lo_u32 v16, v16, s18
	s_delay_alu instid0(VALU_DEP_1) | instskip(NEXT) | instid1(VALU_DEP_1)
	v_sub_nc_u32_e32 v16, v44, v16
	v_subrev_nc_u32_e32 v17, s18, v16
	v_cmp_le_u32_e32 vcc_lo, s18, v16
	s_delay_alu instid0(VALU_DEP_2) | instskip(NEXT) | instid1(VALU_DEP_1)
	v_cndmask_b32_e32 v16, v16, v17, vcc_lo
	v_subrev_nc_u32_e32 v17, s18, v16
	v_cmp_le_u32_e32 vcc_lo, s18, v16
	s_delay_alu instid0(VALU_DEP_2)
	v_cndmask_b32_e32 v16, v16, v17, vcc_lo
	v_mov_b32_e32 v17, v32
.LBB44_45:                              ;   in Loop: Header=BB44_11 Depth=1
	s_or_b32 exec_lo, exec_lo, s0
	s_delay_alu instid0(SALU_CYCLE_1)
	s_and_not1_b32 vcc_lo, exec_lo, s58
	s_cbranch_vccnz .LBB44_10
.LBB44_46:                              ;   in Loop: Header=BB44_11 Depth=1
	v_mad_nc_u64_u32 v[44:45], s20, v42, v[28:29]
	s_mov_b32 s0, exec_lo
	s_delay_alu instid0(VALU_DEP_1) | instskip(NEXT) | instid1(VALU_DEP_1)
	v_mad_u32 v18, s21, v42, v45
	v_mad_u32 v45, s20, v43, v18
	s_delay_alu instid0(VALU_DEP_1) | instskip(NEXT) | instid1(VALU_DEP_1)
	v_or_b32_e32 v33, s19, v45
	v_cmpx_ne_u64_e32 0, v[32:33]
	s_xor_b32 s1, exec_lo, s0
	s_cbranch_execz .LBB44_48
; %bb.47:                               ;   in Loop: Header=BB44_11 Depth=1
	s_ashr_i32 s54, s19, 31
	v_dual_mov_b32 v47, v32 :: v_dual_ashrrev_i32 v18, 31, v45
	s_mov_b32 s55, s54
	s_delay_alu instid0(SALU_CYCLE_1) | instskip(NEXT) | instid1(VALU_DEP_1)
	s_add_nc_u64 s[60:61], s[18:19], s[54:55]
	v_mov_b32_e32 v19, v18
	s_xor_b64 s[54:55], s[60:61], s[54:55]
	s_delay_alu instid0(SALU_CYCLE_1)
	s_cvt_f32_u32 s0, s54
	s_cvt_f32_u32 s2, s55
	s_sub_nc_u64 s[62:63], 0, s[54:55]
	v_add_nc_u64_e32 v[44:45], v[44:45], v[18:19]
	v_mov_b32_e32 v51, v32
	s_fmamk_f32 s0, s2, 0x4f800000, s0
	s_delay_alu instid0(SALU_CYCLE_3) | instskip(NEXT) | instid1(VALU_DEP_2)
	v_s_rcp_f32 s0, s0
	v_xor_b32_e32 v46, v44, v18
	s_delay_alu instid0(VALU_DEP_3) | instskip(NEXT) | instid1(TRANS32_DEP_1)
	v_dual_mov_b32 v55, v32 :: v_dual_bitop2_b32 v50, v45, v18 bitop3:0x14
	s_mul_f32 s0, s0, 0x5f7ffffc
	s_delay_alu instid0(SALU_CYCLE_3) | instskip(NEXT) | instid1(SALU_CYCLE_3)
	s_mul_f32 s2, s0, 0x2f800000
	s_trunc_f32 s2, s2
	s_delay_alu instid0(SALU_CYCLE_3) | instskip(SKIP_1) | instid1(SALU_CYCLE_2)
	s_fmamk_f32 s0, s2, 0xcf800000, s0
	s_cvt_u32_f32 s61, s2
	s_cvt_u32_f32 s60, s0
	s_delay_alu instid0(SALU_CYCLE_3) | instskip(NEXT) | instid1(SALU_CYCLE_1)
	s_mul_u64 s[64:65], s[62:63], s[60:61]
	s_mul_hi_u32 s67, s60, s65
	s_mul_i32 s66, s60, s65
	s_mul_hi_u32 s2, s60, s64
	s_mul_i32 s53, s61, s64
	s_add_nc_u64 s[66:67], s[2:3], s[66:67]
	s_mul_hi_u32 s0, s61, s64
	s_mul_hi_u32 s68, s61, s65
	s_add_co_u32 s2, s66, s53
	s_add_co_ci_u32 s2, s67, s0
	s_mul_i32 s64, s61, s65
	s_add_co_ci_u32 s65, s68, 0
	s_delay_alu instid0(SALU_CYCLE_1) | instskip(NEXT) | instid1(SALU_CYCLE_1)
	s_add_nc_u64 s[64:65], s[2:3], s[64:65]
	s_add_co_u32 s60, s60, s64
	s_cselect_b32 s0, -1, 0
	s_delay_alu instid0(SALU_CYCLE_1) | instskip(SKIP_1) | instid1(SALU_CYCLE_1)
	s_cmp_lg_u32 s0, 0
	s_add_co_ci_u32 s61, s61, s65
	s_mul_u64 s[62:63], s[62:63], s[60:61]
	s_delay_alu instid0(SALU_CYCLE_1)
	s_mul_hi_u32 s65, s60, s63
	s_mul_i32 s64, s60, s63
	s_mul_hi_u32 s2, s60, s62
	s_mul_i32 s53, s61, s62
	s_add_nc_u64 s[64:65], s[2:3], s[64:65]
	s_mul_hi_u32 s0, s61, s62
	s_mul_hi_u32 s66, s61, s63
	s_add_co_u32 s2, s64, s53
	s_add_co_ci_u32 s2, s65, s0
	s_mul_i32 s62, s61, s63
	s_add_co_ci_u32 s63, s66, 0
	s_delay_alu instid0(SALU_CYCLE_1) | instskip(NEXT) | instid1(SALU_CYCLE_1)
	s_add_nc_u64 s[62:63], s[2:3], s[62:63]
	s_add_co_u32 s0, s60, s62
	s_cselect_b32 s2, -1, 0
	v_mul_hi_u32 v54, v46, s0
	s_cmp_lg_u32 s2, 0
	s_add_co_ci_u32 s2, s61, s63
	s_and_b64 s[60:61], s[0:1], s[50:51]
	v_mul_u64_e32 v[48:49], s[2:3], v[46:47]
	v_mul_u64_e32 v[44:45], s[60:61], v[50:51]
	;; [unrolled: 1-line block ×3, first 2 shown]
	s_delay_alu instid0(VALU_DEP_3) | instskip(NEXT) | instid1(VALU_DEP_1)
	v_add_nc_u64_e32 v[48:49], v[54:55], v[48:49]
	v_add_co_u32 v33, vcc_lo, v48, v44
	s_delay_alu instid0(VALU_DEP_2) | instskip(NEXT) | instid1(VALU_DEP_4)
	v_add_co_ci_u32_e32 v54, vcc_lo, v49, v45, vcc_lo
	v_add_co_ci_u32_e32 v53, vcc_lo, 0, v53, vcc_lo
	s_delay_alu instid0(VALU_DEP_1) | instskip(NEXT) | instid1(VALU_DEP_1)
	v_add_nc_u64_e32 v[44:45], v[54:55], v[52:53]
	v_mul_u64_e32 v[44:45], s[54:55], v[44:45]
	s_delay_alu instid0(VALU_DEP_1) | instskip(NEXT) | instid1(VALU_DEP_2)
	v_sub_nc_u32_e32 v33, v50, v45
	v_sub_co_u32 v44, vcc_lo, v46, v44
	s_delay_alu instid0(VALU_DEP_1) | instskip(NEXT) | instid1(VALU_DEP_3)
	v_sub_co_ci_u32_e64 v45, null, v50, v45, vcc_lo
	v_subrev_co_ci_u32_e64 v33, null, s55, v33, vcc_lo
	s_delay_alu instid0(VALU_DEP_3) | instskip(SKIP_1) | instid1(VALU_DEP_3)
	v_sub_co_u32 v46, vcc_lo, v44, s54
	v_cmp_le_u32_e64 s0, s54, v44
	v_subrev_co_ci_u32_e64 v47, null, 0, v33, vcc_lo
	v_subrev_co_ci_u32_e64 v33, null, s55, v33, vcc_lo
	s_delay_alu instid0(VALU_DEP_3) | instskip(SKIP_2) | instid1(VALU_DEP_2)
	v_cndmask_b32_e64 v48, 0, -1, s0
	v_cmp_le_u32_e64 s0, s54, v46
	v_cmp_le_u32_e32 vcc_lo, s55, v45
	v_cndmask_b32_e64 v49, 0, -1, s0
	v_cmp_le_u32_e64 s0, s55, v47
	v_cndmask_b32_e64 v51, 0, -1, vcc_lo
	v_cmp_eq_u32_e32 vcc_lo, s55, v47
	s_delay_alu instid0(VALU_DEP_3) | instskip(SKIP_1) | instid1(VALU_DEP_1)
	v_cndmask_b32_e64 v50, 0, -1, s0
	v_cmp_eq_u32_e64 s0, s55, v45
	v_dual_cndmask_b32 v49, v50, v49, vcc_lo :: v_dual_cndmask_b32 v48, v51, v48, s0
	v_sub_co_u32 v50, vcc_lo, v46, s54
	s_delay_alu instid0(VALU_DEP_1) | instskip(NEXT) | instid1(VALU_DEP_3)
	v_subrev_co_ci_u32_e64 v33, null, 0, v33, vcc_lo
	v_cmp_ne_u32_e32 vcc_lo, 0, v49
	s_delay_alu instid0(VALU_DEP_2) | instskip(SKIP_1) | instid1(VALU_DEP_2)
	v_dual_cndmask_b32 v33, v47, v33 :: v_dual_cndmask_b32 v46, v46, v50
	v_cmp_ne_u32_e32 vcc_lo, 0, v48
	v_dual_cndmask_b32 v33, v45, v33 :: v_dual_cndmask_b32 v44, v44, v46
	s_delay_alu instid0(VALU_DEP_1) | instskip(NEXT) | instid1(VALU_DEP_2)
	v_xor_b32_e32 v45, v33, v18
	v_xor_b32_e32 v44, v44, v18
	s_delay_alu instid0(VALU_DEP_1)
	v_sub_nc_u64_e32 v[18:19], v[44:45], v[18:19]
                                        ; implicit-def: $vgpr44_vgpr45
.LBB44_48:                              ;   in Loop: Header=BB44_11 Depth=1
	s_and_not1_saveexec_b32 s0, s1
	s_cbranch_execz .LBB44_9
; %bb.49:                               ;   in Loop: Header=BB44_11 Depth=1
	v_cvt_f32_u32_e32 v18, s18
	s_sub_co_i32 s1, 0, s18
	s_delay_alu instid0(VALU_DEP_1) | instskip(SKIP_1) | instid1(TRANS32_DEP_1)
	v_rcp_iflag_f32_e32 v18, v18
	v_nop
	v_mul_f32_e32 v18, 0x4f7ffffe, v18
	s_delay_alu instid0(VALU_DEP_1) | instskip(NEXT) | instid1(VALU_DEP_1)
	v_cvt_u32_f32_e32 v18, v18
	v_mul_lo_u32 v19, s1, v18
	s_delay_alu instid0(VALU_DEP_1) | instskip(NEXT) | instid1(VALU_DEP_1)
	v_mul_hi_u32 v19, v18, v19
	v_add_nc_u32_e32 v18, v18, v19
	s_delay_alu instid0(VALU_DEP_1) | instskip(NEXT) | instid1(VALU_DEP_1)
	v_mul_hi_u32 v18, v44, v18
	v_mul_lo_u32 v18, v18, s18
	s_delay_alu instid0(VALU_DEP_1) | instskip(NEXT) | instid1(VALU_DEP_1)
	v_sub_nc_u32_e32 v18, v44, v18
	v_subrev_nc_u32_e32 v19, s18, v18
	v_cmp_le_u32_e32 vcc_lo, s18, v18
	s_delay_alu instid0(VALU_DEP_2) | instskip(NEXT) | instid1(VALU_DEP_1)
	v_cndmask_b32_e32 v18, v18, v19, vcc_lo
	v_subrev_nc_u32_e32 v19, s18, v18
	v_cmp_le_u32_e32 vcc_lo, s18, v18
	s_delay_alu instid0(VALU_DEP_2)
	v_dual_cndmask_b32 v18, v18, v19 :: v_dual_mov_b32 v19, v32
	s_branch .LBB44_9
.LBB44_50:
	s_or_b32 exec_lo, exec_lo, s59
	v_mad_nc_u64_u32 v[2:3], v22, s16, v[2:3]
	v_cmp_ne_u64_e32 vcc_lo, v[20:21], v[22:23]
	v_mov_b64_e32 v[6:7], s[40:41]
	v_mov_b64_e32 v[4:5], s[20:21]
	s_and_b32 s0, vcc_lo, exec_lo
	s_delay_alu instid0(VALU_DEP_4) | instskip(NEXT) | instid1(VALU_DEP_1)
	v_mad_u32 v0, v23, s16, v3
	v_mad_u32 v3, v22, s17, v0
	s_and_not1_saveexec_b32 s1, s56
	s_cbranch_execz .LBB44_7
.LBB44_51:
	s_lshl_b64 s[2:3], s[16:17], 1
	v_mov_b64_e32 v[4:5], s[20:21]
	v_mov_b64_e32 v[6:7], s[2:3]
	s_or_b32 s0, s0, exec_lo
	s_or_b32 exec_lo, exec_lo, s1
	s_delay_alu instid0(SALU_CYCLE_1)
	s_and_b32 exec_lo, exec_lo, s0
	s_cbranch_execz .LBB44_64
.LBB44_52:
	v_cvt_f32_u32_e32 v0, s12
	s_sub_co_i32 s0, 0, s12
	s_sub_nc_u64 s[2:3], 0, s[10:11]
	s_mov_b32 s1, 0
	s_mov_b64 s[10:11], 0xffffffff
	v_rcp_iflag_f32_e32 v0, v0
	s_ashr_i32 s20, s19, 31
	s_sub_co_i32 s24, 0, s18
	s_mov_b32 s25, 0
	v_nop
	s_delay_alu instid0(TRANS32_DEP_1) | instskip(NEXT) | instid1(VALU_DEP_1)
	v_mul_f32_e32 v0, 0x4f7ffffe, v0
	v_cvt_u32_f32_e32 v9, v0
	s_delay_alu instid0(VALU_DEP_1) | instskip(NEXT) | instid1(VALU_DEP_1)
	v_mul_lo_u32 v0, s0, v9
	v_mul_hi_u32 v10, v9, v0
	v_lshl_add_u64 v[0:1], v[2:3], 1, s[6:7]
	v_mov_b32_e32 v8, 0
	s_ashr_i32 s6, s13, 31
	s_delay_alu instid0(VALU_DEP_3)
	v_add_nc_u32_e32 v16, v9, v10
	s_branch .LBB44_55
.LBB44_53:                              ;   in Loop: Header=BB44_55 Depth=1
	s_or_b32 exec_lo, exec_lo, s0
	s_delay_alu instid0(VALU_DEP_1) | instskip(NEXT) | instid1(VALU_DEP_1)
	v_ashrrev_i32_e32 v9, 31, v15
	v_and_b32_e32 v13, s19, v9
	v_and_b32_e32 v12, s18, v9
	s_delay_alu instid0(VALU_DEP_1) | instskip(NEXT) | instid1(VALU_DEP_1)
	v_add_nc_u64_e32 v[12:13], v[12:13], v[14:15]
	v_sub_nc_u64_e32 v[14:15], s[18:19], v[12:13]
	v_cmp_gt_i64_e32 vcc_lo, s[8:9], v[12:13]
	s_delay_alu instid0(VALU_DEP_2)
	v_dual_cndmask_b32 v13, v15, v13 :: v_dual_cndmask_b32 v12, v14, v12
.LBB44_54:                              ;   in Loop: Header=BB44_55 Depth=1
	v_mul_u64_e32 v[10:11], s[8:9], v[10:11]
	v_add_nc_u64_e32 v[2:3], s[16:17], v[2:3]
	s_delay_alu instid0(VALU_DEP_1) | instskip(SKIP_1) | instid1(VALU_DEP_3)
	v_cmp_le_i64_e32 vcc_lo, s[14:15], v[2:3]
	s_or_b32 s25, vcc_lo, s25
	v_lshl_add_u64 v[10:11], v[10:11], 1, s[4:5]
	s_delay_alu instid0(VALU_DEP_1)
	v_lshl_add_u64 v[10:11], v[12:13], 1, v[10:11]
	global_load_u16 v9, v[10:11], off
	s_wait_loadcnt 0x0
	global_store_b16 v[0:1], v9, off
	s_wait_xcnt 0x0
	v_add_nc_u64_e32 v[0:1], v[0:1], v[6:7]
	s_and_not1_b32 exec_lo, exec_lo, s25
	s_cbranch_execz .LBB44_64
.LBB44_55:                              ; =>This Inner Loop Header: Depth=1
	v_or_b32_e32 v9, s13, v3
                                        ; implicit-def: $vgpr10_vgpr11
	s_mov_b32 s0, exec_lo
	s_delay_alu instid0(VALU_DEP_1)
	v_cmpx_ne_u64_e32 0, v[8:9]
	s_xor_b32 s21, exec_lo, s0
	s_cbranch_execnz .LBB44_58
; %bb.56:                               ;   in Loop: Header=BB44_55 Depth=1
	s_and_not1_saveexec_b32 s0, s21
	s_cbranch_execnz .LBB44_59
.LBB44_57:                              ;   in Loop: Header=BB44_55 Depth=1
	s_or_b32 exec_lo, exec_lo, s0
	v_mov_b64_e32 v[12:13], 0
	s_and_not1_b32 vcc_lo, exec_lo, s33
	s_cbranch_vccnz .LBB44_54
	s_branch .LBB44_60
.LBB44_58:                              ;   in Loop: Header=BB44_55 Depth=1
	s_mov_b32 s7, s6
	v_dual_mov_b32 v15, v8 :: v_dual_ashrrev_i32 v10, 31, v3
	s_add_nc_u64 s[22:23], s[12:13], s[6:7]
	v_mov_b32_e32 v25, v8
	s_xor_b64 s[22:23], s[22:23], s[6:7]
	s_delay_alu instid0(VALU_DEP_2) | instskip(SKIP_3) | instid1(VALU_DEP_1)
	v_mov_b32_e32 v11, v10
	s_cvt_f32_u32 s0, s22
	s_cvt_f32_u32 s7, s23
	s_sub_nc_u64 s[28:29], 0, s[22:23]
	v_add_nc_u64_e32 v[12:13], v[2:3], v[10:11]
	s_delay_alu instid0(SALU_CYCLE_1) | instskip(SKIP_1) | instid1(SALU_CYCLE_2)
	s_fmamk_f32 s0, s7, 0x4f800000, s0
	v_mov_b32_e32 v21, v8
	v_s_rcp_f32 s0, s0
	s_delay_alu instid0(VALU_DEP_2) | instskip(NEXT) | instid1(VALU_DEP_3)
	v_xor_b32_e32 v14, v12, v10
	v_xor_b32_e32 v20, v13, v10
	;; [unrolled: 1-line block ×3, first 2 shown]
	s_delay_alu instid0(TRANS32_DEP_1) | instskip(NEXT) | instid1(SALU_CYCLE_3)
	s_mul_f32 s0, s0, 0x5f7ffffc
	s_mul_f32 s7, s0, 0x2f800000
	s_delay_alu instid0(SALU_CYCLE_3) | instskip(NEXT) | instid1(SALU_CYCLE_3)
	s_trunc_f32 s7, s7
	s_fmamk_f32 s0, s7, 0xcf800000, s0
	s_cvt_u32_f32 s27, s7
	s_delay_alu instid0(SALU_CYCLE_2) | instskip(NEXT) | instid1(SALU_CYCLE_3)
	s_cvt_u32_f32 s26, s0
	s_mul_u64 s[30:31], s[28:29], s[26:27]
	s_delay_alu instid0(SALU_CYCLE_1)
	s_mul_hi_u32 s35, s26, s31
	s_mul_i32 s34, s26, s31
	s_mul_hi_u32 s0, s26, s30
	s_mul_i32 s36, s27, s30
	s_add_nc_u64 s[34:35], s[0:1], s[34:35]
	s_mul_hi_u32 s7, s27, s30
	s_mul_hi_u32 s37, s27, s31
	s_add_co_u32 s0, s34, s36
	s_add_co_ci_u32 s0, s35, s7
	s_mul_i32 s30, s27, s31
	s_add_co_ci_u32 s31, s37, 0
	s_delay_alu instid0(SALU_CYCLE_1) | instskip(NEXT) | instid1(SALU_CYCLE_1)
	s_add_nc_u64 s[30:31], s[0:1], s[30:31]
	s_add_co_u32 s26, s26, s30
	s_cselect_b32 s0, -1, 0
	s_delay_alu instid0(SALU_CYCLE_1) | instskip(SKIP_1) | instid1(SALU_CYCLE_1)
	s_cmp_lg_u32 s0, 0
	s_add_co_ci_u32 s27, s27, s31
	s_mul_u64 s[28:29], s[28:29], s[26:27]
	s_delay_alu instid0(SALU_CYCLE_1)
	s_mul_hi_u32 s31, s26, s29
	s_mul_i32 s30, s26, s29
	s_mul_hi_u32 s0, s26, s28
	s_mul_i32 s34, s27, s28
	s_add_nc_u64 s[30:31], s[0:1], s[30:31]
	s_mul_hi_u32 s7, s27, s28
	s_mul_hi_u32 s35, s27, s29
	s_add_co_u32 s0, s30, s34
	s_add_co_ci_u32 s0, s31, s7
	s_mul_i32 s28, s27, s29
	s_add_co_ci_u32 s29, s35, 0
	s_delay_alu instid0(SALU_CYCLE_1) | instskip(NEXT) | instid1(SALU_CYCLE_1)
	s_add_nc_u64 s[28:29], s[0:1], s[28:29]
	s_add_co_u32 s26, s26, s28
	s_cselect_b32 s0, -1, 0
	v_mul_hi_u32 v24, v14, s26
	s_cmp_lg_u32 s0, 0
	s_add_co_ci_u32 s0, s27, s29
	s_and_b64 s[28:29], s[26:27], s[10:11]
	v_mul_u64_e32 v[18:19], s[0:1], v[14:15]
	v_mul_u64_e32 v[12:13], s[28:29], v[20:21]
	;; [unrolled: 1-line block ×3, first 2 shown]
	s_delay_alu instid0(VALU_DEP_3) | instskip(NEXT) | instid1(VALU_DEP_1)
	v_add_nc_u64_e32 v[18:19], v[24:25], v[18:19]
	v_add_co_u32 v9, vcc_lo, v18, v12
	s_delay_alu instid0(VALU_DEP_2) | instskip(NEXT) | instid1(VALU_DEP_4)
	v_add_co_ci_u32_e32 v24, vcc_lo, v19, v13, vcc_lo
	v_add_co_ci_u32_e32 v23, vcc_lo, 0, v23, vcc_lo
	s_delay_alu instid0(VALU_DEP_1) | instskip(NEXT) | instid1(VALU_DEP_1)
	v_add_nc_u64_e32 v[12:13], v[24:25], v[22:23]
	v_mul_u64_e32 v[18:19], s[22:23], v[12:13]
	s_delay_alu instid0(VALU_DEP_1) | instskip(NEXT) | instid1(VALU_DEP_2)
	v_sub_nc_u32_e32 v9, v20, v19
	v_sub_co_u32 v11, vcc_lo, v14, v18
	s_delay_alu instid0(VALU_DEP_1) | instskip(NEXT) | instid1(VALU_DEP_3)
	v_sub_co_ci_u32_e64 v17, null, v20, v19, vcc_lo
	v_subrev_co_ci_u32_e64 v9, null, s23, v9, vcc_lo
	s_delay_alu instid0(VALU_DEP_3) | instskip(SKIP_1) | instid1(VALU_DEP_3)
	v_sub_co_u32 v14, s0, v11, s22
	v_add_nc_u64_e32 v[18:19], 1, v[12:13]
	v_subrev_co_ci_u32_e64 v9, null, 0, v9, s0
	s_delay_alu instid0(VALU_DEP_3) | instskip(SKIP_1) | instid1(VALU_DEP_3)
	v_cmp_le_u32_e32 vcc_lo, s22, v14
	v_cndmask_b32_e64 v14, 0, -1, vcc_lo
	v_cmp_le_u32_e32 vcc_lo, s23, v9
	v_cndmask_b32_e64 v15, 0, -1, vcc_lo
	;; [unrolled: 2-line block ×4, first 2 shown]
	v_cmp_eq_u32_e32 vcc_lo, s23, v9
	v_cndmask_b32_e32 v9, v15, v14, vcc_lo
	v_cmp_eq_u32_e32 vcc_lo, s23, v17
	v_add_nc_u64_e32 v[14:15], 2, v[12:13]
	v_cndmask_b32_e32 v11, v20, v11, vcc_lo
	s_delay_alu instid0(VALU_DEP_4) | instskip(NEXT) | instid1(VALU_DEP_2)
	v_cmp_ne_u32_e32 vcc_lo, 0, v9
	v_cmp_ne_u32_e64 s0, 0, v11
	s_delay_alu instid0(VALU_DEP_4) | instskip(NEXT) | instid1(VALU_DEP_1)
	v_dual_cndmask_b32 v9, v19, v15, vcc_lo :: v_dual_cndmask_b32 v11, v18, v14, vcc_lo
	v_dual_cndmask_b32 v12, v12, v11, s0 :: v_dual_mov_b32 v11, v10
	s_delay_alu instid0(VALU_DEP_1) | instskip(NEXT) | instid1(VALU_DEP_1)
	v_dual_cndmask_b32 v9, v13, v9, s0 :: v_dual_bitop2_b32 v12, v12, v10 bitop3:0x14
	v_xor_b32_e32 v13, v9, v10
	s_delay_alu instid0(VALU_DEP_1)
	v_sub_nc_u64_e32 v[10:11], v[12:13], v[10:11]
	s_and_not1_saveexec_b32 s0, s21
	s_cbranch_execz .LBB44_57
.LBB44_59:                              ;   in Loop: Header=BB44_55 Depth=1
	v_mul_hi_u32 v9, v2, v16
	s_delay_alu instid0(VALU_DEP_1) | instskip(NEXT) | instid1(VALU_DEP_1)
	v_mul_lo_u32 v10, v9, s12
	v_dual_add_nc_u32 v11, 1, v9 :: v_dual_sub_nc_u32 v10, v2, v10
	s_delay_alu instid0(VALU_DEP_1) | instskip(SKIP_1) | instid1(VALU_DEP_2)
	v_subrev_nc_u32_e32 v12, s12, v10
	v_cmp_le_u32_e32 vcc_lo, s12, v10
	v_dual_cndmask_b32 v10, v10, v12 :: v_dual_cndmask_b32 v9, v9, v11
	s_delay_alu instid0(VALU_DEP_1) | instskip(NEXT) | instid1(VALU_DEP_2)
	v_cmp_le_u32_e32 vcc_lo, s12, v10
	v_add_nc_u32_e32 v11, 1, v9
	s_delay_alu instid0(VALU_DEP_1)
	v_dual_cndmask_b32 v10, v9, v11 :: v_dual_mov_b32 v11, v8
	s_or_b32 exec_lo, exec_lo, s0
	v_mov_b64_e32 v[12:13], 0
	s_and_not1_b32 vcc_lo, exec_lo, s33
	s_cbranch_vccnz .LBB44_54
.LBB44_60:                              ;   in Loop: Header=BB44_55 Depth=1
	v_add_nc_u64_e32 v[12:13], s[2:3], v[2:3]
                                        ; implicit-def: $vgpr14_vgpr15
	s_mov_b32 s0, exec_lo
	s_delay_alu instid0(VALU_DEP_1) | instskip(NEXT) | instid1(VALU_DEP_1)
	v_mad_nc_u64_u32 v[12:13], v4, v10, v[12:13]
	v_mad_u32 v9, v5, v10, v13
	s_delay_alu instid0(VALU_DEP_1) | instskip(NEXT) | instid1(VALU_DEP_1)
	v_mad_u32 v13, v4, v11, v9
	v_or_b32_e32 v9, s19, v13
	s_delay_alu instid0(VALU_DEP_1)
	v_cmpx_ne_u64_e32 0, v[8:9]
	s_xor_b32 s7, exec_lo, s0
	s_cbranch_execz .LBB44_62
; %bb.61:                               ;   in Loop: Header=BB44_55 Depth=1
	s_mov_b32 s21, s20
	v_dual_mov_b32 v19, v8 :: v_dual_ashrrev_i32 v14, 31, v13
	s_add_nc_u64 s[22:23], s[18:19], s[20:21]
	s_delay_alu instid0(SALU_CYCLE_1) | instskip(NEXT) | instid1(VALU_DEP_1)
	s_xor_b64 s[22:23], s[22:23], s[20:21]
	v_mov_b32_e32 v15, v14
	s_cvt_f32_u32 s0, s22
	s_cvt_f32_u32 s21, s23
	s_sub_nc_u64 s[28:29], 0, s[22:23]
	s_delay_alu instid0(VALU_DEP_1) | instskip(NEXT) | instid1(SALU_CYCLE_1)
	v_add_nc_u64_e32 v[12:13], v[12:13], v[14:15]
	s_fmamk_f32 s0, s21, 0x4f800000, s0
	v_mov_b32_e32 v23, v8
	s_delay_alu instid0(SALU_CYCLE_2) | instskip(NEXT) | instid1(VALU_DEP_2)
	v_s_rcp_f32 s0, s0
	v_xor_b32_e32 v18, v12, v14
	s_delay_alu instid0(VALU_DEP_3) | instskip(NEXT) | instid1(TRANS32_DEP_1)
	v_dual_mov_b32 v27, v8 :: v_dual_bitop2_b32 v22, v13, v14 bitop3:0x14
	s_mul_f32 s0, s0, 0x5f7ffffc
	s_delay_alu instid0(SALU_CYCLE_3) | instskip(NEXT) | instid1(SALU_CYCLE_3)
	s_mul_f32 s21, s0, 0x2f800000
	s_trunc_f32 s21, s21
	s_delay_alu instid0(SALU_CYCLE_3) | instskip(SKIP_1) | instid1(SALU_CYCLE_2)
	s_fmamk_f32 s0, s21, 0xcf800000, s0
	s_cvt_u32_f32 s27, s21
	s_cvt_u32_f32 s26, s0
	s_delay_alu instid0(SALU_CYCLE_3) | instskip(NEXT) | instid1(SALU_CYCLE_1)
	s_mul_u64 s[30:31], s[28:29], s[26:27]
	s_mul_hi_u32 s35, s26, s31
	s_mul_i32 s34, s26, s31
	s_mul_hi_u32 s0, s26, s30
	s_mul_i32 s36, s27, s30
	s_add_nc_u64 s[34:35], s[0:1], s[34:35]
	s_mul_hi_u32 s21, s27, s30
	s_mul_hi_u32 s37, s27, s31
	s_add_co_u32 s0, s34, s36
	s_add_co_ci_u32 s0, s35, s21
	s_mul_i32 s30, s27, s31
	s_add_co_ci_u32 s31, s37, 0
	s_delay_alu instid0(SALU_CYCLE_1) | instskip(NEXT) | instid1(SALU_CYCLE_1)
	s_add_nc_u64 s[30:31], s[0:1], s[30:31]
	s_add_co_u32 s26, s26, s30
	s_cselect_b32 s0, -1, 0
	s_delay_alu instid0(SALU_CYCLE_1) | instskip(SKIP_1) | instid1(SALU_CYCLE_1)
	s_cmp_lg_u32 s0, 0
	s_add_co_ci_u32 s27, s27, s31
	s_mul_u64 s[28:29], s[28:29], s[26:27]
	s_delay_alu instid0(SALU_CYCLE_1)
	s_mul_hi_u32 s31, s26, s29
	s_mul_i32 s30, s26, s29
	s_mul_hi_u32 s0, s26, s28
	s_mul_i32 s34, s27, s28
	s_add_nc_u64 s[30:31], s[0:1], s[30:31]
	s_mul_hi_u32 s21, s27, s28
	s_mul_hi_u32 s35, s27, s29
	s_add_co_u32 s0, s30, s34
	s_add_co_ci_u32 s0, s31, s21
	s_mul_i32 s28, s27, s29
	s_add_co_ci_u32 s29, s35, 0
	s_delay_alu instid0(SALU_CYCLE_1) | instskip(NEXT) | instid1(SALU_CYCLE_1)
	s_add_nc_u64 s[28:29], s[0:1], s[28:29]
	s_add_co_u32 s26, s26, s28
	s_cselect_b32 s0, -1, 0
	v_mul_hi_u32 v26, v18, s26
	s_cmp_lg_u32 s0, 0
	s_add_co_ci_u32 s0, s27, s29
	s_and_b64 s[28:29], s[26:27], s[10:11]
	v_mul_u64_e32 v[20:21], s[0:1], v[18:19]
	v_mul_u64_e32 v[12:13], s[28:29], v[22:23]
	;; [unrolled: 1-line block ×3, first 2 shown]
	s_delay_alu instid0(VALU_DEP_3) | instskip(NEXT) | instid1(VALU_DEP_1)
	v_add_nc_u64_e32 v[20:21], v[26:27], v[20:21]
	v_add_co_u32 v9, vcc_lo, v20, v12
	s_delay_alu instid0(VALU_DEP_2) | instskip(NEXT) | instid1(VALU_DEP_4)
	v_add_co_ci_u32_e32 v26, vcc_lo, v21, v13, vcc_lo
	v_add_co_ci_u32_e32 v25, vcc_lo, 0, v25, vcc_lo
	s_delay_alu instid0(VALU_DEP_1) | instskip(NEXT) | instid1(VALU_DEP_1)
	v_add_nc_u64_e32 v[12:13], v[26:27], v[24:25]
	v_mul_u64_e32 v[12:13], s[22:23], v[12:13]
	s_delay_alu instid0(VALU_DEP_1) | instskip(NEXT) | instid1(VALU_DEP_2)
	v_sub_nc_u32_e32 v9, v22, v13
	v_sub_co_u32 v12, vcc_lo, v18, v12
	s_delay_alu instid0(VALU_DEP_1) | instskip(NEXT) | instid1(VALU_DEP_3)
	v_sub_co_ci_u32_e64 v13, null, v22, v13, vcc_lo
	v_subrev_co_ci_u32_e64 v9, null, s23, v9, vcc_lo
	s_delay_alu instid0(VALU_DEP_3) | instskip(SKIP_1) | instid1(VALU_DEP_3)
	v_sub_co_u32 v17, vcc_lo, v12, s22
	v_cmp_le_u32_e64 s0, s22, v12
	v_subrev_co_ci_u32_e64 v18, null, 0, v9, vcc_lo
	v_subrev_co_ci_u32_e64 v9, null, s23, v9, vcc_lo
	s_delay_alu instid0(VALU_DEP_3) | instskip(SKIP_2) | instid1(VALU_DEP_2)
	v_cndmask_b32_e64 v19, 0, -1, s0
	v_cmp_le_u32_e64 s0, s22, v17
	v_cmp_le_u32_e32 vcc_lo, s23, v13
	v_cndmask_b32_e64 v20, 0, -1, s0
	v_cmp_le_u32_e64 s0, s23, v18
	v_cndmask_b32_e64 v22, 0, -1, vcc_lo
	v_cmp_eq_u32_e32 vcc_lo, s23, v18
	s_delay_alu instid0(VALU_DEP_3) | instskip(SKIP_1) | instid1(VALU_DEP_1)
	v_cndmask_b32_e64 v21, 0, -1, s0
	v_cmp_eq_u32_e64 s0, s23, v13
	v_dual_cndmask_b32 v20, v21, v20, vcc_lo :: v_dual_cndmask_b32 v19, v22, v19, s0
	v_sub_co_u32 v21, vcc_lo, v17, s22
	s_delay_alu instid0(VALU_DEP_1) | instskip(NEXT) | instid1(VALU_DEP_3)
	v_subrev_co_ci_u32_e64 v9, null, 0, v9, vcc_lo
	v_cmp_ne_u32_e32 vcc_lo, 0, v20
	s_delay_alu instid0(VALU_DEP_2) | instskip(NEXT) | instid1(VALU_DEP_4)
	v_cndmask_b32_e32 v9, v18, v9, vcc_lo
	v_cndmask_b32_e32 v17, v17, v21, vcc_lo
	v_cmp_ne_u32_e32 vcc_lo, 0, v19
	s_delay_alu instid0(VALU_DEP_2) | instskip(NEXT) | instid1(VALU_DEP_1)
	v_cndmask_b32_e32 v12, v12, v17, vcc_lo
	v_dual_cndmask_b32 v9, v13, v9, vcc_lo :: v_dual_bitop2_b32 v12, v12, v14 bitop3:0x14
	s_delay_alu instid0(VALU_DEP_1) | instskip(NEXT) | instid1(VALU_DEP_1)
	v_xor_b32_e32 v13, v9, v14
	v_sub_nc_u64_e32 v[14:15], v[12:13], v[14:15]
                                        ; implicit-def: $vgpr12_vgpr13
.LBB44_62:                              ;   in Loop: Header=BB44_55 Depth=1
	s_and_not1_saveexec_b32 s0, s7
	s_cbranch_execz .LBB44_53
; %bb.63:                               ;   in Loop: Header=BB44_55 Depth=1
	v_cvt_f32_u32_e32 v9, s18
	v_mov_b32_e32 v15, v8
	s_delay_alu instid0(VALU_DEP_2) | instskip(SKIP_1) | instid1(TRANS32_DEP_1)
	v_rcp_iflag_f32_e32 v9, v9
	v_nop
	v_mul_f32_e32 v9, 0x4f7ffffe, v9
	s_delay_alu instid0(VALU_DEP_1) | instskip(NEXT) | instid1(VALU_DEP_1)
	v_cvt_u32_f32_e32 v9, v9
	v_mul_lo_u32 v13, s24, v9
	s_delay_alu instid0(VALU_DEP_1) | instskip(NEXT) | instid1(VALU_DEP_1)
	v_mul_hi_u32 v13, v9, v13
	v_add_nc_u32_e32 v9, v9, v13
	s_delay_alu instid0(VALU_DEP_1) | instskip(NEXT) | instid1(VALU_DEP_1)
	v_mul_hi_u32 v9, v12, v9
	v_mul_lo_u32 v9, v9, s18
	s_delay_alu instid0(VALU_DEP_1) | instskip(NEXT) | instid1(VALU_DEP_1)
	v_sub_nc_u32_e32 v9, v12, v9
	v_subrev_nc_u32_e32 v12, s18, v9
	v_cmp_le_u32_e32 vcc_lo, s18, v9
	s_delay_alu instid0(VALU_DEP_2) | instskip(NEXT) | instid1(VALU_DEP_1)
	v_cndmask_b32_e32 v9, v9, v12, vcc_lo
	v_subrev_nc_u32_e32 v12, s18, v9
	v_cmp_le_u32_e32 vcc_lo, s18, v9
	s_delay_alu instid0(VALU_DEP_2)
	v_cndmask_b32_e32 v14, v9, v12, vcc_lo
	s_branch .LBB44_53
.LBB44_64:
	s_endpgm
	.section	.rodata,"a",@progbits
	.p2align	6, 0x0
	.amdhsa_kernel _ZN2at6native12_GLOBAL__N_121reflection_pad1d_flatIN3c108BFloat16EEEvPKT_PS5_lllll
		.amdhsa_group_segment_fixed_size 0
		.amdhsa_private_segment_fixed_size 0
		.amdhsa_kernarg_size 312
		.amdhsa_user_sgpr_count 2
		.amdhsa_user_sgpr_dispatch_ptr 0
		.amdhsa_user_sgpr_queue_ptr 0
		.amdhsa_user_sgpr_kernarg_segment_ptr 1
		.amdhsa_user_sgpr_dispatch_id 0
		.amdhsa_user_sgpr_kernarg_preload_length 0
		.amdhsa_user_sgpr_kernarg_preload_offset 0
		.amdhsa_user_sgpr_private_segment_size 0
		.amdhsa_wavefront_size32 1
		.amdhsa_uses_dynamic_stack 0
		.amdhsa_enable_private_segment 0
		.amdhsa_system_sgpr_workgroup_id_x 1
		.amdhsa_system_sgpr_workgroup_id_y 0
		.amdhsa_system_sgpr_workgroup_id_z 0
		.amdhsa_system_sgpr_workgroup_info 0
		.amdhsa_system_vgpr_workitem_id 0
		.amdhsa_next_free_vgpr 56
		.amdhsa_next_free_sgpr 69
		.amdhsa_named_barrier_count 0
		.amdhsa_reserve_vcc 1
		.amdhsa_float_round_mode_32 0
		.amdhsa_float_round_mode_16_64 0
		.amdhsa_float_denorm_mode_32 3
		.amdhsa_float_denorm_mode_16_64 3
		.amdhsa_fp16_overflow 0
		.amdhsa_memory_ordered 1
		.amdhsa_forward_progress 1
		.amdhsa_inst_pref_size 76
		.amdhsa_round_robin_scheduling 0
		.amdhsa_exception_fp_ieee_invalid_op 0
		.amdhsa_exception_fp_denorm_src 0
		.amdhsa_exception_fp_ieee_div_zero 0
		.amdhsa_exception_fp_ieee_overflow 0
		.amdhsa_exception_fp_ieee_underflow 0
		.amdhsa_exception_fp_ieee_inexact 0
		.amdhsa_exception_int_div_zero 0
	.end_amdhsa_kernel
	.section	.text._ZN2at6native12_GLOBAL__N_121reflection_pad1d_flatIN3c108BFloat16EEEvPKT_PS5_lllll,"axG",@progbits,_ZN2at6native12_GLOBAL__N_121reflection_pad1d_flatIN3c108BFloat16EEEvPKT_PS5_lllll,comdat
.Lfunc_end44:
	.size	_ZN2at6native12_GLOBAL__N_121reflection_pad1d_flatIN3c108BFloat16EEEvPKT_PS5_lllll, .Lfunc_end44-_ZN2at6native12_GLOBAL__N_121reflection_pad1d_flatIN3c108BFloat16EEEvPKT_PS5_lllll
                                        ; -- End function
	.set _ZN2at6native12_GLOBAL__N_121reflection_pad1d_flatIN3c108BFloat16EEEvPKT_PS5_lllll.num_vgpr, 56
	.set _ZN2at6native12_GLOBAL__N_121reflection_pad1d_flatIN3c108BFloat16EEEvPKT_PS5_lllll.num_agpr, 0
	.set _ZN2at6native12_GLOBAL__N_121reflection_pad1d_flatIN3c108BFloat16EEEvPKT_PS5_lllll.numbered_sgpr, 69
	.set _ZN2at6native12_GLOBAL__N_121reflection_pad1d_flatIN3c108BFloat16EEEvPKT_PS5_lllll.num_named_barrier, 0
	.set _ZN2at6native12_GLOBAL__N_121reflection_pad1d_flatIN3c108BFloat16EEEvPKT_PS5_lllll.private_seg_size, 0
	.set _ZN2at6native12_GLOBAL__N_121reflection_pad1d_flatIN3c108BFloat16EEEvPKT_PS5_lllll.uses_vcc, 1
	.set _ZN2at6native12_GLOBAL__N_121reflection_pad1d_flatIN3c108BFloat16EEEvPKT_PS5_lllll.uses_flat_scratch, 0
	.set _ZN2at6native12_GLOBAL__N_121reflection_pad1d_flatIN3c108BFloat16EEEvPKT_PS5_lllll.has_dyn_sized_stack, 0
	.set _ZN2at6native12_GLOBAL__N_121reflection_pad1d_flatIN3c108BFloat16EEEvPKT_PS5_lllll.has_recursion, 0
	.set _ZN2at6native12_GLOBAL__N_121reflection_pad1d_flatIN3c108BFloat16EEEvPKT_PS5_lllll.has_indirect_call, 0
	.section	.AMDGPU.csdata,"",@progbits
; Kernel info:
; codeLenInByte = 9692
; TotalNumSgprs: 71
; NumVgprs: 56
; ScratchSize: 0
; MemoryBound: 0
; FloatMode: 240
; IeeeMode: 1
; LDSByteSize: 0 bytes/workgroup (compile time only)
; SGPRBlocks: 0
; VGPRBlocks: 3
; NumSGPRsForWavesPerEU: 71
; NumVGPRsForWavesPerEU: 56
; NamedBarCnt: 0
; Occupancy: 16
; WaveLimiterHint : 0
; COMPUTE_PGM_RSRC2:SCRATCH_EN: 0
; COMPUTE_PGM_RSRC2:USER_SGPR: 2
; COMPUTE_PGM_RSRC2:TRAP_HANDLER: 0
; COMPUTE_PGM_RSRC2:TGID_X_EN: 1
; COMPUTE_PGM_RSRC2:TGID_Y_EN: 0
; COMPUTE_PGM_RSRC2:TGID_Z_EN: 0
; COMPUTE_PGM_RSRC2:TIDIG_COMP_CNT: 0
	.section	.text._ZN2at6native12_GLOBAL__N_136reflection_pad1d_backward_out_kernelIdEEvPT_PKS3_lll,"axG",@progbits,_ZN2at6native12_GLOBAL__N_136reflection_pad1d_backward_out_kernelIdEEvPT_PKS3_lll,comdat
	.globl	_ZN2at6native12_GLOBAL__N_136reflection_pad1d_backward_out_kernelIdEEvPT_PKS3_lll ; -- Begin function _ZN2at6native12_GLOBAL__N_136reflection_pad1d_backward_out_kernelIdEEvPT_PKS3_lll
	.p2align	8
	.type	_ZN2at6native12_GLOBAL__N_136reflection_pad1d_backward_out_kernelIdEEvPT_PKS3_lll,@function
_ZN2at6native12_GLOBAL__N_136reflection_pad1d_backward_out_kernelIdEEvPT_PKS3_lll: ; @_ZN2at6native12_GLOBAL__N_136reflection_pad1d_backward_out_kernelIdEEvPT_PKS3_lll
; %bb.0:
	s_clause 0x2
	s_load_b32 s3, s[0:1], 0x34
	s_load_b64 s[14:15], s[0:1], 0x20
	s_load_b256 s[4:11], s[0:1], 0x0
	s_bfe_u32 s2, ttmp6, 0x4000c
	s_and_b32 s12, ttmp6, 15
	s_add_co_i32 s13, s2, 1
	s_getreg_b32 s2, hwreg(HW_REG_IB_STS2, 6, 4)
	s_mul_i32 s13, ttmp9, s13
	v_mov_b32_e32 v1, 0
	s_add_co_i32 s12, s12, s13
	s_mov_b32 s16, exec_lo
	s_wait_kmcnt 0x0
	s_and_b32 s3, s3, 0xffff
	s_cmp_eq_u32 s2, 0
	s_cselect_b32 s12, ttmp9, s12
	s_delay_alu instid0(SALU_CYCLE_1)
	v_mad_nc_u64_u32 v[0:1], s3, s12, v[0:1]
	s_add_nc_u64 s[12:13], s[10:11], s[8:9]
	s_mov_b32 s3, 0
	s_add_nc_u64 s[14:15], s[12:13], s[14:15]
	s_delay_alu instid0(VALU_DEP_1) | instid1(SALU_CYCLE_1)
	v_cmpx_gt_i64_e64 s[14:15], v[0:1]
	s_cbranch_execz .LBB45_2
; %bb.1:
	s_add_nc_u64 s[0:1], s[0:1], 40
	s_bfe_u32 s16, ttmp6, 0x40010
	s_load_b32 s0, s[0:1], 0x4
	s_bfe_u32 s19, ttmp6, 0x40014
	s_wait_xcnt 0x0
	s_and_b32 s1, ttmp7, 0xffff
	s_lshr_b32 s18, ttmp7, 16
	s_add_co_i32 s16, s16, 1
	s_add_co_i32 s19, s19, 1
	s_bfe_u32 s17, ttmp6, 0x40004
	s_bfe_u32 s20, ttmp6, 0x40008
	s_mul_i32 s16, s1, s16
	s_mul_i32 s19, s18, s19
	s_add_co_i32 s17, s17, s16
	s_add_co_i32 s20, s20, s19
	s_cmp_eq_u32 s2, 0
	v_sub_nc_u64_e64 v[4:5], v[0:1], s[12:13]
	s_cselect_b32 s2, s18, s20
	s_cselect_b32 s1, s1, s17
	v_max_i64 v[6:7], s[10:11], 0
	v_sub_nc_u64_e64 v[10:11], v[0:1], s[10:11]
	s_delay_alu instid0(VALU_DEP_3)
	v_add_nc_u64_e32 v[8:9], 1, v[4:5]
	s_wait_kmcnt 0x0
	s_mul_i32 s0, s0, s2
	v_not_b32_e32 v5, v5
	s_add_co_i32 s2, s0, s1
	v_not_b32_e32 v4, v4
	s_mul_u64 s[0:1], s[14:15], s[2:3]
	v_sub_nc_u64_e32 v[12:13], 0, v[10:11]
	s_lshl_b64 s[0:1], s[0:1], 3
	s_delay_alu instid0(SALU_CYCLE_1) | instskip(SKIP_3) | instid1(VALU_DEP_3)
	s_add_nc_u64 s[0:1], s[6:7], s[0:1]
	v_max_i64 v[4:5], v[8:9], v[4:5]
	v_lshl_add_u64 v[2:3], v[0:1], 3, s[0:1]
	s_sub_nc_u64 s[0:1], 0, s[10:11]
	v_max_i64 v[10:11], v[10:11], v[12:13]
	v_max_i64 v[8:9], s[0:1], 0
	s_add_nc_u64 s[0:1], s[12:13], s[10:11]
	global_load_b64 v[2:3], v[2:3], off
	v_not_b32_e32 v6, v6
	v_not_b32_e32 v7, v7
	s_delay_alu instid0(VALU_DEP_1) | instskip(SKIP_2) | instid1(VALU_DEP_2)
	v_add_nc_u64_e32 v[6:7], s[0:1], v[6:7]
	s_mul_u64 s[0:1], s[8:9], s[2:3]
	v_add_nc_u64_e32 v[0:1], v[0:1], v[4:5]
	v_add_nc_u64_e32 v[4:5], v[6:7], v[8:9]
	s_delay_alu instid0(VALU_DEP_1) | instskip(NEXT) | instid1(VALU_DEP_1)
	v_sub_nc_u64_e32 v[0:1], v[4:5], v[0:1]
	v_lshl_add_u64 v[0:1], v[0:1], 3, s[4:5]
	s_delay_alu instid0(VALU_DEP_1) | instskip(NEXT) | instid1(VALU_DEP_1)
	v_lshl_add_u64 v[0:1], v[10:11], 3, v[0:1]
	v_lshl_add_u64 v[0:1], s[0:1], 3, v[0:1]
	s_wait_xcnt 0x0
	s_wait_loadcnt 0x0
	global_atomic_add_f64 v[0:1], v[2:3], off scope:SCOPE_DEV
.LBB45_2:
	s_endpgm
	.section	.rodata,"a",@progbits
	.p2align	6, 0x0
	.amdhsa_kernel _ZN2at6native12_GLOBAL__N_136reflection_pad1d_backward_out_kernelIdEEvPT_PKS3_lll
		.amdhsa_group_segment_fixed_size 0
		.amdhsa_private_segment_fixed_size 0
		.amdhsa_kernarg_size 296
		.amdhsa_user_sgpr_count 2
		.amdhsa_user_sgpr_dispatch_ptr 0
		.amdhsa_user_sgpr_queue_ptr 0
		.amdhsa_user_sgpr_kernarg_segment_ptr 1
		.amdhsa_user_sgpr_dispatch_id 0
		.amdhsa_user_sgpr_kernarg_preload_length 0
		.amdhsa_user_sgpr_kernarg_preload_offset 0
		.amdhsa_user_sgpr_private_segment_size 0
		.amdhsa_wavefront_size32 1
		.amdhsa_uses_dynamic_stack 0
		.amdhsa_enable_private_segment 0
		.amdhsa_system_sgpr_workgroup_id_x 1
		.amdhsa_system_sgpr_workgroup_id_y 1
		.amdhsa_system_sgpr_workgroup_id_z 1
		.amdhsa_system_sgpr_workgroup_info 0
		.amdhsa_system_vgpr_workitem_id 0
		.amdhsa_next_free_vgpr 14
		.amdhsa_next_free_sgpr 21
		.amdhsa_named_barrier_count 0
		.amdhsa_reserve_vcc 0
		.amdhsa_float_round_mode_32 0
		.amdhsa_float_round_mode_16_64 0
		.amdhsa_float_denorm_mode_32 3
		.amdhsa_float_denorm_mode_16_64 3
		.amdhsa_fp16_overflow 0
		.amdhsa_memory_ordered 1
		.amdhsa_forward_progress 1
		.amdhsa_inst_pref_size 4
		.amdhsa_round_robin_scheduling 0
		.amdhsa_exception_fp_ieee_invalid_op 0
		.amdhsa_exception_fp_denorm_src 0
		.amdhsa_exception_fp_ieee_div_zero 0
		.amdhsa_exception_fp_ieee_overflow 0
		.amdhsa_exception_fp_ieee_underflow 0
		.amdhsa_exception_fp_ieee_inexact 0
		.amdhsa_exception_int_div_zero 0
	.end_amdhsa_kernel
	.section	.text._ZN2at6native12_GLOBAL__N_136reflection_pad1d_backward_out_kernelIdEEvPT_PKS3_lll,"axG",@progbits,_ZN2at6native12_GLOBAL__N_136reflection_pad1d_backward_out_kernelIdEEvPT_PKS3_lll,comdat
.Lfunc_end45:
	.size	_ZN2at6native12_GLOBAL__N_136reflection_pad1d_backward_out_kernelIdEEvPT_PKS3_lll, .Lfunc_end45-_ZN2at6native12_GLOBAL__N_136reflection_pad1d_backward_out_kernelIdEEvPT_PKS3_lll
                                        ; -- End function
	.set _ZN2at6native12_GLOBAL__N_136reflection_pad1d_backward_out_kernelIdEEvPT_PKS3_lll.num_vgpr, 14
	.set _ZN2at6native12_GLOBAL__N_136reflection_pad1d_backward_out_kernelIdEEvPT_PKS3_lll.num_agpr, 0
	.set _ZN2at6native12_GLOBAL__N_136reflection_pad1d_backward_out_kernelIdEEvPT_PKS3_lll.numbered_sgpr, 21
	.set _ZN2at6native12_GLOBAL__N_136reflection_pad1d_backward_out_kernelIdEEvPT_PKS3_lll.num_named_barrier, 0
	.set _ZN2at6native12_GLOBAL__N_136reflection_pad1d_backward_out_kernelIdEEvPT_PKS3_lll.private_seg_size, 0
	.set _ZN2at6native12_GLOBAL__N_136reflection_pad1d_backward_out_kernelIdEEvPT_PKS3_lll.uses_vcc, 0
	.set _ZN2at6native12_GLOBAL__N_136reflection_pad1d_backward_out_kernelIdEEvPT_PKS3_lll.uses_flat_scratch, 0
	.set _ZN2at6native12_GLOBAL__N_136reflection_pad1d_backward_out_kernelIdEEvPT_PKS3_lll.has_dyn_sized_stack, 0
	.set _ZN2at6native12_GLOBAL__N_136reflection_pad1d_backward_out_kernelIdEEvPT_PKS3_lll.has_recursion, 0
	.set _ZN2at6native12_GLOBAL__N_136reflection_pad1d_backward_out_kernelIdEEvPT_PKS3_lll.has_indirect_call, 0
	.section	.AMDGPU.csdata,"",@progbits
; Kernel info:
; codeLenInByte = 432
; TotalNumSgprs: 21
; NumVgprs: 14
; ScratchSize: 0
; MemoryBound: 0
; FloatMode: 240
; IeeeMode: 1
; LDSByteSize: 0 bytes/workgroup (compile time only)
; SGPRBlocks: 0
; VGPRBlocks: 0
; NumSGPRsForWavesPerEU: 21
; NumVGPRsForWavesPerEU: 14
; NamedBarCnt: 0
; Occupancy: 16
; WaveLimiterHint : 0
; COMPUTE_PGM_RSRC2:SCRATCH_EN: 0
; COMPUTE_PGM_RSRC2:USER_SGPR: 2
; COMPUTE_PGM_RSRC2:TRAP_HANDLER: 0
; COMPUTE_PGM_RSRC2:TGID_X_EN: 1
; COMPUTE_PGM_RSRC2:TGID_Y_EN: 1
; COMPUTE_PGM_RSRC2:TGID_Z_EN: 1
; COMPUTE_PGM_RSRC2:TIDIG_COMP_CNT: 0
	.section	.text._ZN2at6native12_GLOBAL__N_130reflection_pad1d_backward_flatIdEEvPT_PKS3_llll,"axG",@progbits,_ZN2at6native12_GLOBAL__N_130reflection_pad1d_backward_flatIdEEvPT_PKS3_llll,comdat
	.globl	_ZN2at6native12_GLOBAL__N_130reflection_pad1d_backward_flatIdEEvPT_PKS3_llll ; -- Begin function _ZN2at6native12_GLOBAL__N_130reflection_pad1d_backward_flatIdEEvPT_PKS3_llll
	.p2align	8
	.type	_ZN2at6native12_GLOBAL__N_130reflection_pad1d_backward_flatIdEEvPT_PKS3_llll,@function
_ZN2at6native12_GLOBAL__N_130reflection_pad1d_backward_flatIdEEvPT_PKS3_llll: ; @_ZN2at6native12_GLOBAL__N_130reflection_pad1d_backward_flatIdEEvPT_PKS3_llll
; %bb.0:
	s_load_b32 s2, s[0:1], 0x3c
	s_bfe_u32 s12, ttmp6, 0x4000c
	s_load_b256 s[4:11], s[0:1], 0x10
	v_mov_b32_e32 v2, 0
	s_add_co_i32 s12, s12, 1
	s_and_b32 s3, ttmp6, 15
	s_mul_i32 s12, ttmp9, s12
	s_getreg_b32 s13, hwreg(HW_REG_IB_STS2, 6, 4)
	v_mov_b32_e32 v1, v2
	s_add_co_i32 s3, s3, s12
	s_mov_b32 s12, exec_lo
	s_wait_kmcnt 0x0
	s_and_b32 s2, s2, 0xffff
	s_cmp_eq_u32 s13, 0
	s_mul_u64 s[10:11], s[10:11], s[8:9]
	s_cselect_b32 s3, ttmp9, s3
	s_delay_alu instid0(SALU_CYCLE_1) | instskip(SKIP_1) | instid1(VALU_DEP_1)
	v_mad_nc_u64_u32 v[0:1], s2, s3, v[0:1]
	s_mov_b32 s3, 0
	v_cmpx_gt_i64_e64 s[10:11], v[0:1]
	s_cbranch_execz .LBB46_13
; %bb.1:
	v_cvt_f32_u32_e32 v3, s8
	s_sub_co_i32 s14, 0, s8
	s_add_nc_u64 s[12:13], s[0:1], 48
	s_mov_b32 s23, s3
	s_load_b32 s22, s[12:13], 0x0
	v_rcp_iflag_f32_e32 v3, v3
	s_sub_nc_u64 s[16:17], 0, s[8:9]
	s_sub_nc_u64 s[6:7], 0, s[6:7]
	s_mov_b64 s[18:19], 0xffffffff
	s_ashr_i32 s24, s9, 31
	s_mov_b32 s30, 0
	v_nop
	v_mul_f32_e32 v3, 0x4f7ffffe, v3
	s_delay_alu instid0(VALU_DEP_1) | instskip(NEXT) | instid1(VALU_DEP_1)
	v_cvt_u32_f32_e32 v3, v3
	v_mul_lo_u32 v4, s14, v3
	s_wait_xcnt 0x0
	s_load_b128 s[12:15], s[0:1], 0x0
	s_wait_xcnt 0x0
	s_lshl_b64 s[0:1], s[4:5], 1
	s_wait_kmcnt 0x0
	s_mul_u64 s[22:23], s[2:3], s[22:23]
	s_add_nc_u64 s[20:21], s[0:1], -2
	s_delay_alu instid0(SALU_CYCLE_1) | instskip(SKIP_3) | instid1(VALU_DEP_2)
	v_cmp_gt_i64_e64 s1, s[20:21], 0
	s_ashr_i32 s26, s21, 31
	v_mul_hi_u32 v6, v3, v4
	v_lshl_add_u64 v[4:5], v[0:1], 3, s[14:15]
	v_add_nc_u32_e32 v12, v3, v6
	s_lshl_b64 s[14:15], s[22:23], 3
	s_branch .LBB46_4
.LBB46_2:                               ;   in Loop: Header=BB46_4 Depth=1
	s_or_b32 exec_lo, exec_lo, s0
	s_delay_alu instid0(VALU_DEP_1) | instskip(NEXT) | instid1(VALU_DEP_1)
	v_ashrrev_i32_e32 v3, 31, v11
	v_and_b32_e32 v9, s21, v3
	v_and_b32_e32 v8, s20, v3
	s_delay_alu instid0(VALU_DEP_1) | instskip(NEXT) | instid1(VALU_DEP_1)
	v_add_nc_u64_e32 v[8:9], v[8:9], v[10:11]
	v_sub_nc_u64_e32 v[10:11], s[20:21], v[8:9]
	v_cmp_gt_i64_e32 vcc_lo, s[4:5], v[8:9]
	s_delay_alu instid0(VALU_DEP_2)
	v_dual_cndmask_b32 v9, v11, v9 :: v_dual_cndmask_b32 v8, v10, v8
.LBB46_3:                               ;   in Loop: Header=BB46_4 Depth=1
	global_load_b64 v[10:11], v[4:5], off
	v_mul_u64_e32 v[6:7], s[4:5], v[6:7]
	v_add_nc_u64_e32 v[0:1], s[22:23], v[0:1]
	s_wait_xcnt 0x0
	v_add_nc_u64_e32 v[4:5], s[14:15], v[4:5]
	s_delay_alu instid0(VALU_DEP_2) | instskip(SKIP_1) | instid1(VALU_DEP_4)
	v_cmp_le_i64_e32 vcc_lo, s[10:11], v[0:1]
	s_or_b32 s30, vcc_lo, s30
	v_lshl_add_u64 v[6:7], v[6:7], 3, s[12:13]
	s_delay_alu instid0(VALU_DEP_1)
	v_lshl_add_u64 v[6:7], v[8:9], 3, v[6:7]
	s_wait_loadcnt 0x0
	global_atomic_add_f64 v[6:7], v[10:11], off scope:SCOPE_DEV
	s_wait_xcnt 0x0
	s_and_not1_b32 exec_lo, exec_lo, s30
	s_cbranch_execz .LBB46_13
.LBB46_4:                               ; =>This Inner Loop Header: Depth=1
	v_or_b32_e32 v3, s9, v1
                                        ; implicit-def: $vgpr6_vgpr7
	s_mov_b32 s0, exec_lo
	s_delay_alu instid0(VALU_DEP_1)
	v_cmpx_ne_u64_e32 0, v[2:3]
	s_xor_b32 s27, exec_lo, s0
	s_cbranch_execnz .LBB46_7
; %bb.5:                                ;   in Loop: Header=BB46_4 Depth=1
	s_and_not1_saveexec_b32 s0, s27
	s_cbranch_execnz .LBB46_8
.LBB46_6:                               ;   in Loop: Header=BB46_4 Depth=1
	s_or_b32 exec_lo, exec_lo, s0
	v_mov_b64_e32 v[8:9], 0
	s_and_not1_b32 vcc_lo, exec_lo, s1
	s_cbranch_vccnz .LBB46_3
	s_branch .LBB46_9
.LBB46_7:                               ;   in Loop: Header=BB46_4 Depth=1
	s_mov_b32 s25, s24
	v_dual_mov_b32 v11, v2 :: v_dual_ashrrev_i32 v6, 31, v1
	s_add_nc_u64 s[28:29], s[8:9], s[24:25]
	s_delay_alu instid0(SALU_CYCLE_1) | instskip(NEXT) | instid1(VALU_DEP_1)
	s_xor_b64 s[28:29], s[28:29], s[24:25]
	v_mov_b32_e32 v7, v6
	s_cvt_f32_u32 s0, s28
	s_cvt_f32_u32 s2, s29
	s_sub_nc_u64 s[36:37], 0, s[28:29]
	s_delay_alu instid0(VALU_DEP_1) | instskip(NEXT) | instid1(SALU_CYCLE_1)
	v_add_nc_u64_e32 v[8:9], v[0:1], v[6:7]
	s_fmamk_f32 s0, s2, 0x4f800000, s0
	v_mov_b32_e32 v17, v2
	s_delay_alu instid0(SALU_CYCLE_2) | instskip(NEXT) | instid1(VALU_DEP_2)
	v_s_rcp_f32 s0, s0
	v_xor_b32_e32 v10, v8, v6
	s_delay_alu instid0(VALU_DEP_3) | instskip(NEXT) | instid1(TRANS32_DEP_1)
	v_dual_mov_b32 v21, v2 :: v_dual_bitop2_b32 v16, v9, v6 bitop3:0x14
	s_mul_f32 s0, s0, 0x5f7ffffc
	s_delay_alu instid0(SALU_CYCLE_3) | instskip(NEXT) | instid1(SALU_CYCLE_3)
	s_mul_f32 s2, s0, 0x2f800000
	s_trunc_f32 s2, s2
	s_delay_alu instid0(SALU_CYCLE_3) | instskip(SKIP_1) | instid1(SALU_CYCLE_2)
	s_fmamk_f32 s0, s2, 0xcf800000, s0
	s_cvt_u32_f32 s35, s2
	s_cvt_u32_f32 s34, s0
	s_delay_alu instid0(SALU_CYCLE_3) | instskip(NEXT) | instid1(SALU_CYCLE_1)
	s_mul_u64 s[38:39], s[36:37], s[34:35]
	s_mul_hi_u32 s41, s34, s39
	s_mul_i32 s40, s34, s39
	s_mul_hi_u32 s2, s34, s38
	s_mul_i32 s25, s35, s38
	s_add_nc_u64 s[40:41], s[2:3], s[40:41]
	s_mul_hi_u32 s0, s35, s38
	s_mul_hi_u32 s31, s35, s39
	s_add_co_u32 s2, s40, s25
	s_add_co_ci_u32 s2, s41, s0
	s_mul_i32 s38, s35, s39
	s_add_co_ci_u32 s39, s31, 0
	s_delay_alu instid0(SALU_CYCLE_1) | instskip(NEXT) | instid1(SALU_CYCLE_1)
	s_add_nc_u64 s[38:39], s[2:3], s[38:39]
	s_add_co_u32 s34, s34, s38
	s_cselect_b32 s0, -1, 0
	s_delay_alu instid0(SALU_CYCLE_1) | instskip(SKIP_1) | instid1(SALU_CYCLE_1)
	s_cmp_lg_u32 s0, 0
	s_add_co_ci_u32 s35, s35, s39
	s_mul_u64 s[36:37], s[36:37], s[34:35]
	s_delay_alu instid0(SALU_CYCLE_1)
	s_mul_hi_u32 s39, s34, s37
	s_mul_i32 s38, s34, s37
	s_mul_hi_u32 s2, s34, s36
	s_mul_i32 s25, s35, s36
	s_add_nc_u64 s[38:39], s[2:3], s[38:39]
	s_mul_hi_u32 s0, s35, s36
	s_mul_hi_u32 s31, s35, s37
	s_add_co_u32 s2, s38, s25
	s_add_co_ci_u32 s2, s39, s0
	s_mul_i32 s36, s35, s37
	s_add_co_ci_u32 s37, s31, 0
	s_delay_alu instid0(SALU_CYCLE_1) | instskip(NEXT) | instid1(SALU_CYCLE_1)
	s_add_nc_u64 s[36:37], s[2:3], s[36:37]
	s_add_co_u32 s0, s34, s36
	s_cselect_b32 s2, -1, 0
	v_mul_hi_u32 v20, v10, s0
	s_cmp_lg_u32 s2, 0
	s_add_co_ci_u32 s2, s35, s37
	s_and_b64 s[34:35], s[0:1], s[18:19]
	v_mul_u64_e32 v[14:15], s[2:3], v[10:11]
	v_mul_u64_e32 v[8:9], s[34:35], v[16:17]
	;; [unrolled: 1-line block ×3, first 2 shown]
	s_delay_alu instid0(VALU_DEP_3) | instskip(NEXT) | instid1(VALU_DEP_1)
	v_add_nc_u64_e32 v[14:15], v[20:21], v[14:15]
	v_add_co_u32 v3, vcc_lo, v14, v8
	s_delay_alu instid0(VALU_DEP_2) | instskip(NEXT) | instid1(VALU_DEP_4)
	v_add_co_ci_u32_e32 v20, vcc_lo, v15, v9, vcc_lo
	v_add_co_ci_u32_e32 v19, vcc_lo, 0, v19, vcc_lo
	s_delay_alu instid0(VALU_DEP_1) | instskip(NEXT) | instid1(VALU_DEP_1)
	v_add_nc_u64_e32 v[8:9], v[20:21], v[18:19]
	v_mul_u64_e32 v[14:15], s[28:29], v[8:9]
	s_delay_alu instid0(VALU_DEP_1) | instskip(NEXT) | instid1(VALU_DEP_2)
	v_sub_nc_u32_e32 v3, v16, v15
	v_sub_co_u32 v7, vcc_lo, v10, v14
	s_delay_alu instid0(VALU_DEP_1) | instskip(NEXT) | instid1(VALU_DEP_3)
	v_sub_co_ci_u32_e64 v13, null, v16, v15, vcc_lo
	v_subrev_co_ci_u32_e64 v3, null, s29, v3, vcc_lo
	s_delay_alu instid0(VALU_DEP_3) | instskip(SKIP_1) | instid1(VALU_DEP_3)
	v_sub_co_u32 v10, s0, v7, s28
	v_add_nc_u64_e32 v[14:15], 1, v[8:9]
	v_subrev_co_ci_u32_e64 v3, null, 0, v3, s0
	s_delay_alu instid0(VALU_DEP_3) | instskip(SKIP_1) | instid1(VALU_DEP_3)
	v_cmp_le_u32_e32 vcc_lo, s28, v10
	v_cndmask_b32_e64 v10, 0, -1, vcc_lo
	v_cmp_le_u32_e32 vcc_lo, s29, v3
	v_cndmask_b32_e64 v11, 0, -1, vcc_lo
	;; [unrolled: 2-line block ×4, first 2 shown]
	v_cmp_eq_u32_e32 vcc_lo, s29, v3
	v_cndmask_b32_e32 v3, v11, v10, vcc_lo
	v_cmp_eq_u32_e32 vcc_lo, s29, v13
	v_add_nc_u64_e32 v[10:11], 2, v[8:9]
	v_cndmask_b32_e32 v7, v16, v7, vcc_lo
	s_delay_alu instid0(VALU_DEP_4) | instskip(NEXT) | instid1(VALU_DEP_2)
	v_cmp_ne_u32_e32 vcc_lo, 0, v3
	v_cmp_ne_u32_e64 s0, 0, v7
	s_delay_alu instid0(VALU_DEP_4) | instskip(NEXT) | instid1(VALU_DEP_1)
	v_dual_cndmask_b32 v3, v15, v11, vcc_lo :: v_dual_cndmask_b32 v7, v14, v10, vcc_lo
	v_dual_cndmask_b32 v3, v9, v3, s0 :: v_dual_bitop2_b32 v6, s24, v6 bitop3:0x14
	s_delay_alu instid0(VALU_DEP_1) | instskip(NEXT) | instid1(VALU_DEP_2)
	v_dual_cndmask_b32 v8, v8, v7, s0 :: v_dual_mov_b32 v7, v6
	v_xor_b32_e32 v9, v3, v6
	s_delay_alu instid0(VALU_DEP_2) | instskip(NEXT) | instid1(VALU_DEP_1)
	v_xor_b32_e32 v8, v8, v6
	v_sub_nc_u64_e32 v[6:7], v[8:9], v[6:7]
	s_and_not1_saveexec_b32 s0, s27
	s_cbranch_execz .LBB46_6
.LBB46_8:                               ;   in Loop: Header=BB46_4 Depth=1
	v_mul_hi_u32 v3, v0, v12
	s_delay_alu instid0(VALU_DEP_1) | instskip(NEXT) | instid1(VALU_DEP_1)
	v_mul_lo_u32 v6, v3, s8
	v_dual_add_nc_u32 v7, 1, v3 :: v_dual_sub_nc_u32 v6, v0, v6
	s_delay_alu instid0(VALU_DEP_1) | instskip(SKIP_1) | instid1(VALU_DEP_2)
	v_subrev_nc_u32_e32 v8, s8, v6
	v_cmp_le_u32_e32 vcc_lo, s8, v6
	v_dual_cndmask_b32 v6, v6, v8 :: v_dual_cndmask_b32 v3, v3, v7
	s_delay_alu instid0(VALU_DEP_1) | instskip(NEXT) | instid1(VALU_DEP_2)
	v_cmp_le_u32_e32 vcc_lo, s8, v6
	v_add_nc_u32_e32 v7, 1, v3
	s_delay_alu instid0(VALU_DEP_1)
	v_dual_cndmask_b32 v6, v3, v7 :: v_dual_mov_b32 v7, v2
	s_or_b32 exec_lo, exec_lo, s0
	v_mov_b64_e32 v[8:9], 0
	s_and_not1_b32 vcc_lo, exec_lo, s1
	s_cbranch_vccnz .LBB46_3
.LBB46_9:                               ;   in Loop: Header=BB46_4 Depth=1
	v_add_nc_u64_e32 v[8:9], s[6:7], v[0:1]
                                        ; implicit-def: $vgpr10_vgpr11
	s_mov_b32 s0, exec_lo
	s_delay_alu instid0(VALU_DEP_1) | instskip(NEXT) | instid1(VALU_DEP_1)
	v_mad_nc_u64_u32 v[8:9], s16, v6, v[8:9]
	v_mad_u32 v3, s17, v6, v9
	s_delay_alu instid0(VALU_DEP_1) | instskip(NEXT) | instid1(VALU_DEP_1)
	v_mad_u32 v9, s16, v7, v3
	v_or_b32_e32 v3, s21, v9
	s_delay_alu instid0(VALU_DEP_1)
	v_cmpx_ne_u64_e32 0, v[2:3]
	s_xor_b32 s25, exec_lo, s0
	s_cbranch_execz .LBB46_11
; %bb.10:                               ;   in Loop: Header=BB46_4 Depth=1
	s_mov_b32 s27, s26
	v_dual_mov_b32 v15, v2 :: v_dual_ashrrev_i32 v10, 31, v9
	s_add_nc_u64 s[28:29], s[20:21], s[26:27]
	v_mov_b32_e32 v23, v2
	s_xor_b64 s[28:29], s[28:29], s[26:27]
	s_delay_alu instid0(VALU_DEP_2) | instskip(SKIP_3) | instid1(VALU_DEP_1)
	v_mov_b32_e32 v11, v10
	s_cvt_f32_u32 s0, s28
	s_cvt_f32_u32 s2, s29
	s_sub_nc_u64 s[36:37], 0, s[28:29]
	v_add_nc_u64_e32 v[8:9], v[8:9], v[10:11]
	s_delay_alu instid0(SALU_CYCLE_1) | instskip(SKIP_1) | instid1(SALU_CYCLE_2)
	s_fmamk_f32 s0, s2, 0x4f800000, s0
	v_mov_b32_e32 v19, v2
	v_s_rcp_f32 s0, s0
	s_delay_alu instid0(VALU_DEP_2) | instskip(NEXT) | instid1(VALU_DEP_3)
	v_xor_b32_e32 v14, v8, v10
	v_xor_b32_e32 v18, v9, v10
	s_delay_alu instid0(TRANS32_DEP_1) | instskip(NEXT) | instid1(SALU_CYCLE_3)
	s_mul_f32 s0, s0, 0x5f7ffffc
	s_mul_f32 s2, s0, 0x2f800000
	s_delay_alu instid0(SALU_CYCLE_3) | instskip(NEXT) | instid1(SALU_CYCLE_3)
	s_trunc_f32 s2, s2
	s_fmamk_f32 s0, s2, 0xcf800000, s0
	s_cvt_u32_f32 s35, s2
	s_delay_alu instid0(SALU_CYCLE_2) | instskip(NEXT) | instid1(SALU_CYCLE_3)
	s_cvt_u32_f32 s34, s0
	s_mul_u64 s[38:39], s[36:37], s[34:35]
	s_delay_alu instid0(SALU_CYCLE_1)
	s_mul_hi_u32 s41, s34, s39
	s_mul_i32 s40, s34, s39
	s_mul_hi_u32 s2, s34, s38
	s_mul_i32 s27, s35, s38
	s_add_nc_u64 s[40:41], s[2:3], s[40:41]
	s_mul_hi_u32 s0, s35, s38
	s_mul_hi_u32 s31, s35, s39
	s_add_co_u32 s2, s40, s27
	s_add_co_ci_u32 s2, s41, s0
	s_mul_i32 s38, s35, s39
	s_add_co_ci_u32 s39, s31, 0
	s_delay_alu instid0(SALU_CYCLE_1) | instskip(NEXT) | instid1(SALU_CYCLE_1)
	s_add_nc_u64 s[38:39], s[2:3], s[38:39]
	s_add_co_u32 s34, s34, s38
	s_cselect_b32 s0, -1, 0
	s_delay_alu instid0(SALU_CYCLE_1) | instskip(SKIP_1) | instid1(SALU_CYCLE_1)
	s_cmp_lg_u32 s0, 0
	s_add_co_ci_u32 s35, s35, s39
	s_mul_u64 s[36:37], s[36:37], s[34:35]
	s_delay_alu instid0(SALU_CYCLE_1)
	s_mul_hi_u32 s39, s34, s37
	s_mul_i32 s38, s34, s37
	s_mul_hi_u32 s2, s34, s36
	s_mul_i32 s27, s35, s36
	s_add_nc_u64 s[38:39], s[2:3], s[38:39]
	s_mul_hi_u32 s0, s35, s36
	s_mul_hi_u32 s31, s35, s37
	s_add_co_u32 s2, s38, s27
	s_add_co_ci_u32 s2, s39, s0
	s_mul_i32 s36, s35, s37
	s_add_co_ci_u32 s37, s31, 0
	s_delay_alu instid0(SALU_CYCLE_1) | instskip(NEXT) | instid1(SALU_CYCLE_1)
	s_add_nc_u64 s[36:37], s[2:3], s[36:37]
	s_add_co_u32 s0, s34, s36
	s_cselect_b32 s2, -1, 0
	v_mul_hi_u32 v22, v14, s0
	s_cmp_lg_u32 s2, 0
	s_add_co_ci_u32 s2, s35, s37
	s_and_b64 s[34:35], s[0:1], s[18:19]
	v_mul_u64_e32 v[16:17], s[2:3], v[14:15]
	v_mul_u64_e32 v[8:9], s[34:35], v[18:19]
	;; [unrolled: 1-line block ×3, first 2 shown]
	s_delay_alu instid0(VALU_DEP_3) | instskip(NEXT) | instid1(VALU_DEP_1)
	v_add_nc_u64_e32 v[16:17], v[22:23], v[16:17]
	v_add_co_u32 v3, vcc_lo, v16, v8
	s_delay_alu instid0(VALU_DEP_2) | instskip(NEXT) | instid1(VALU_DEP_4)
	v_add_co_ci_u32_e32 v22, vcc_lo, v17, v9, vcc_lo
	v_add_co_ci_u32_e32 v21, vcc_lo, 0, v21, vcc_lo
	s_delay_alu instid0(VALU_DEP_1) | instskip(NEXT) | instid1(VALU_DEP_1)
	v_add_nc_u64_e32 v[8:9], v[22:23], v[20:21]
	v_mul_u64_e32 v[8:9], s[28:29], v[8:9]
	s_delay_alu instid0(VALU_DEP_1) | instskip(NEXT) | instid1(VALU_DEP_1)
	v_sub_co_u32 v8, vcc_lo, v14, v8
	v_cmp_le_u32_e64 s0, s28, v8
	s_delay_alu instid0(VALU_DEP_1) | instskip(NEXT) | instid1(VALU_DEP_4)
	v_cndmask_b32_e64 v15, 0, -1, s0
	v_sub_nc_u32_e32 v3, v18, v9
	v_sub_co_ci_u32_e64 v9, null, v18, v9, vcc_lo
	s_delay_alu instid0(VALU_DEP_2) | instskip(SKIP_1) | instid1(VALU_DEP_1)
	v_subrev_co_ci_u32_e64 v3, null, s29, v3, vcc_lo
	v_sub_co_u32 v13, vcc_lo, v8, s28
	v_subrev_co_ci_u32_e64 v14, null, 0, v3, vcc_lo
	s_delay_alu instid0(VALU_DEP_2) | instskip(SKIP_2) | instid1(VALU_DEP_3)
	v_cmp_le_u32_e64 s0, s28, v13
	v_subrev_co_ci_u32_e64 v3, null, s29, v3, vcc_lo
	v_cmp_le_u32_e32 vcc_lo, s29, v9
	v_cndmask_b32_e64 v16, 0, -1, s0
	v_cmp_le_u32_e64 s0, s29, v14
	v_cndmask_b32_e64 v18, 0, -1, vcc_lo
	v_cmp_eq_u32_e32 vcc_lo, s29, v14
	s_delay_alu instid0(VALU_DEP_3) | instskip(SKIP_1) | instid1(VALU_DEP_2)
	v_cndmask_b32_e64 v17, 0, -1, s0
	v_cmp_eq_u32_e64 s0, s29, v9
	v_cndmask_b32_e32 v16, v17, v16, vcc_lo
	v_sub_co_u32 v17, vcc_lo, v13, s28
	s_delay_alu instid0(VALU_DEP_1) | instskip(NEXT) | instid1(VALU_DEP_3)
	v_subrev_co_ci_u32_e64 v3, null, 0, v3, vcc_lo
	v_cmp_ne_u32_e32 vcc_lo, 0, v16
	v_cndmask_b32_e64 v15, v18, v15, s0
	s_delay_alu instid0(VALU_DEP_3) | instskip(NEXT) | instid1(VALU_DEP_2)
	v_dual_cndmask_b32 v3, v14, v3, vcc_lo :: v_dual_cndmask_b32 v13, v13, v17, vcc_lo
	v_cmp_ne_u32_e32 vcc_lo, 0, v15
	s_delay_alu instid0(VALU_DEP_2) | instskip(NEXT) | instid1(VALU_DEP_1)
	v_dual_cndmask_b32 v3, v9, v3 :: v_dual_cndmask_b32 v8, v8, v13
	v_xor_b32_e32 v9, v3, v10
	s_delay_alu instid0(VALU_DEP_2) | instskip(NEXT) | instid1(VALU_DEP_1)
	v_xor_b32_e32 v8, v8, v10
	v_sub_nc_u64_e32 v[10:11], v[8:9], v[10:11]
                                        ; implicit-def: $vgpr8_vgpr9
.LBB46_11:                              ;   in Loop: Header=BB46_4 Depth=1
	s_and_not1_saveexec_b32 s0, s25
	s_cbranch_execz .LBB46_2
; %bb.12:                               ;   in Loop: Header=BB46_4 Depth=1
	v_cvt_f32_u32_e32 v3, s20
	s_sub_co_i32 s2, 0, s20
	v_mov_b32_e32 v11, v2
	s_delay_alu instid0(VALU_DEP_2) | instskip(SKIP_1) | instid1(TRANS32_DEP_1)
	v_rcp_iflag_f32_e32 v3, v3
	v_nop
	v_mul_f32_e32 v3, 0x4f7ffffe, v3
	s_delay_alu instid0(VALU_DEP_1) | instskip(NEXT) | instid1(VALU_DEP_1)
	v_cvt_u32_f32_e32 v3, v3
	v_mul_lo_u32 v9, s2, v3
	s_delay_alu instid0(VALU_DEP_1) | instskip(NEXT) | instid1(VALU_DEP_1)
	v_mul_hi_u32 v9, v3, v9
	v_add_nc_u32_e32 v3, v3, v9
	s_delay_alu instid0(VALU_DEP_1) | instskip(NEXT) | instid1(VALU_DEP_1)
	v_mul_hi_u32 v3, v8, v3
	v_mul_lo_u32 v3, v3, s20
	s_delay_alu instid0(VALU_DEP_1) | instskip(NEXT) | instid1(VALU_DEP_1)
	v_sub_nc_u32_e32 v3, v8, v3
	v_subrev_nc_u32_e32 v8, s20, v3
	v_cmp_le_u32_e32 vcc_lo, s20, v3
	s_delay_alu instid0(VALU_DEP_2) | instskip(NEXT) | instid1(VALU_DEP_1)
	v_cndmask_b32_e32 v3, v3, v8, vcc_lo
	v_subrev_nc_u32_e32 v8, s20, v3
	v_cmp_le_u32_e32 vcc_lo, s20, v3
	s_delay_alu instid0(VALU_DEP_2)
	v_cndmask_b32_e32 v10, v3, v8, vcc_lo
	s_branch .LBB46_2
.LBB46_13:
	s_endpgm
	.section	.rodata,"a",@progbits
	.p2align	6, 0x0
	.amdhsa_kernel _ZN2at6native12_GLOBAL__N_130reflection_pad1d_backward_flatIdEEvPT_PKS3_llll
		.amdhsa_group_segment_fixed_size 0
		.amdhsa_private_segment_fixed_size 0
		.amdhsa_kernarg_size 304
		.amdhsa_user_sgpr_count 2
		.amdhsa_user_sgpr_dispatch_ptr 0
		.amdhsa_user_sgpr_queue_ptr 0
		.amdhsa_user_sgpr_kernarg_segment_ptr 1
		.amdhsa_user_sgpr_dispatch_id 0
		.amdhsa_user_sgpr_kernarg_preload_length 0
		.amdhsa_user_sgpr_kernarg_preload_offset 0
		.amdhsa_user_sgpr_private_segment_size 0
		.amdhsa_wavefront_size32 1
		.amdhsa_uses_dynamic_stack 0
		.amdhsa_enable_private_segment 0
		.amdhsa_system_sgpr_workgroup_id_x 1
		.amdhsa_system_sgpr_workgroup_id_y 0
		.amdhsa_system_sgpr_workgroup_id_z 0
		.amdhsa_system_sgpr_workgroup_info 0
		.amdhsa_system_vgpr_workitem_id 0
		.amdhsa_next_free_vgpr 24
		.amdhsa_next_free_sgpr 42
		.amdhsa_named_barrier_count 0
		.amdhsa_reserve_vcc 1
		.amdhsa_float_round_mode_32 0
		.amdhsa_float_round_mode_16_64 0
		.amdhsa_float_denorm_mode_32 3
		.amdhsa_float_denorm_mode_16_64 3
		.amdhsa_fp16_overflow 0
		.amdhsa_memory_ordered 1
		.amdhsa_forward_progress 1
		.amdhsa_inst_pref_size 15
		.amdhsa_round_robin_scheduling 0
		.amdhsa_exception_fp_ieee_invalid_op 0
		.amdhsa_exception_fp_denorm_src 0
		.amdhsa_exception_fp_ieee_div_zero 0
		.amdhsa_exception_fp_ieee_overflow 0
		.amdhsa_exception_fp_ieee_underflow 0
		.amdhsa_exception_fp_ieee_inexact 0
		.amdhsa_exception_int_div_zero 0
	.end_amdhsa_kernel
	.section	.text._ZN2at6native12_GLOBAL__N_130reflection_pad1d_backward_flatIdEEvPT_PKS3_llll,"axG",@progbits,_ZN2at6native12_GLOBAL__N_130reflection_pad1d_backward_flatIdEEvPT_PKS3_llll,comdat
.Lfunc_end46:
	.size	_ZN2at6native12_GLOBAL__N_130reflection_pad1d_backward_flatIdEEvPT_PKS3_llll, .Lfunc_end46-_ZN2at6native12_GLOBAL__N_130reflection_pad1d_backward_flatIdEEvPT_PKS3_llll
                                        ; -- End function
	.set _ZN2at6native12_GLOBAL__N_130reflection_pad1d_backward_flatIdEEvPT_PKS3_llll.num_vgpr, 24
	.set _ZN2at6native12_GLOBAL__N_130reflection_pad1d_backward_flatIdEEvPT_PKS3_llll.num_agpr, 0
	.set _ZN2at6native12_GLOBAL__N_130reflection_pad1d_backward_flatIdEEvPT_PKS3_llll.numbered_sgpr, 42
	.set _ZN2at6native12_GLOBAL__N_130reflection_pad1d_backward_flatIdEEvPT_PKS3_llll.num_named_barrier, 0
	.set _ZN2at6native12_GLOBAL__N_130reflection_pad1d_backward_flatIdEEvPT_PKS3_llll.private_seg_size, 0
	.set _ZN2at6native12_GLOBAL__N_130reflection_pad1d_backward_flatIdEEvPT_PKS3_llll.uses_vcc, 1
	.set _ZN2at6native12_GLOBAL__N_130reflection_pad1d_backward_flatIdEEvPT_PKS3_llll.uses_flat_scratch, 0
	.set _ZN2at6native12_GLOBAL__N_130reflection_pad1d_backward_flatIdEEvPT_PKS3_llll.has_dyn_sized_stack, 0
	.set _ZN2at6native12_GLOBAL__N_130reflection_pad1d_backward_flatIdEEvPT_PKS3_llll.has_recursion, 0
	.set _ZN2at6native12_GLOBAL__N_130reflection_pad1d_backward_flatIdEEvPT_PKS3_llll.has_indirect_call, 0
	.section	.AMDGPU.csdata,"",@progbits
; Kernel info:
; codeLenInByte = 1896
; TotalNumSgprs: 44
; NumVgprs: 24
; ScratchSize: 0
; MemoryBound: 0
; FloatMode: 240
; IeeeMode: 1
; LDSByteSize: 0 bytes/workgroup (compile time only)
; SGPRBlocks: 0
; VGPRBlocks: 1
; NumSGPRsForWavesPerEU: 44
; NumVGPRsForWavesPerEU: 24
; NamedBarCnt: 0
; Occupancy: 16
; WaveLimiterHint : 0
; COMPUTE_PGM_RSRC2:SCRATCH_EN: 0
; COMPUTE_PGM_RSRC2:USER_SGPR: 2
; COMPUTE_PGM_RSRC2:TRAP_HANDLER: 0
; COMPUTE_PGM_RSRC2:TGID_X_EN: 1
; COMPUTE_PGM_RSRC2:TGID_Y_EN: 0
; COMPUTE_PGM_RSRC2:TGID_Z_EN: 0
; COMPUTE_PGM_RSRC2:TIDIG_COMP_CNT: 0
	.section	.text._ZN2at6native12_GLOBAL__N_136reflection_pad1d_backward_out_kernelIfEEvPT_PKS3_lll,"axG",@progbits,_ZN2at6native12_GLOBAL__N_136reflection_pad1d_backward_out_kernelIfEEvPT_PKS3_lll,comdat
	.globl	_ZN2at6native12_GLOBAL__N_136reflection_pad1d_backward_out_kernelIfEEvPT_PKS3_lll ; -- Begin function _ZN2at6native12_GLOBAL__N_136reflection_pad1d_backward_out_kernelIfEEvPT_PKS3_lll
	.p2align	8
	.type	_ZN2at6native12_GLOBAL__N_136reflection_pad1d_backward_out_kernelIfEEvPT_PKS3_lll,@function
_ZN2at6native12_GLOBAL__N_136reflection_pad1d_backward_out_kernelIfEEvPT_PKS3_lll: ; @_ZN2at6native12_GLOBAL__N_136reflection_pad1d_backward_out_kernelIfEEvPT_PKS3_lll
; %bb.0:
	s_clause 0x2
	s_load_b32 s3, s[0:1], 0x34
	s_load_b64 s[14:15], s[0:1], 0x20
	s_load_b256 s[4:11], s[0:1], 0x0
	s_bfe_u32 s2, ttmp6, 0x4000c
	s_and_b32 s12, ttmp6, 15
	s_add_co_i32 s13, s2, 1
	s_getreg_b32 s2, hwreg(HW_REG_IB_STS2, 6, 4)
	s_mul_i32 s13, ttmp9, s13
	v_mov_b32_e32 v1, 0
	s_add_co_i32 s12, s12, s13
	s_mov_b32 s16, exec_lo
	s_wait_kmcnt 0x0
	s_and_b32 s3, s3, 0xffff
	s_cmp_eq_u32 s2, 0
	s_cselect_b32 s12, ttmp9, s12
	s_delay_alu instid0(SALU_CYCLE_1)
	v_mad_nc_u64_u32 v[0:1], s3, s12, v[0:1]
	s_add_nc_u64 s[12:13], s[10:11], s[8:9]
	s_mov_b32 s3, 0
	s_add_nc_u64 s[14:15], s[12:13], s[14:15]
	s_delay_alu instid0(VALU_DEP_1) | instid1(SALU_CYCLE_1)
	v_cmpx_gt_i64_e64 s[14:15], v[0:1]
	s_cbranch_execz .LBB47_2
; %bb.1:
	s_add_nc_u64 s[0:1], s[0:1], 40
	s_bfe_u32 s16, ttmp6, 0x40010
	s_load_b32 s0, s[0:1], 0x4
	s_bfe_u32 s19, ttmp6, 0x40014
	s_wait_xcnt 0x0
	s_and_b32 s1, ttmp7, 0xffff
	s_lshr_b32 s18, ttmp7, 16
	s_add_co_i32 s16, s16, 1
	s_add_co_i32 s19, s19, 1
	s_bfe_u32 s17, ttmp6, 0x40004
	s_bfe_u32 s20, ttmp6, 0x40008
	s_mul_i32 s16, s1, s16
	s_mul_i32 s19, s18, s19
	s_add_co_i32 s17, s17, s16
	s_add_co_i32 s20, s20, s19
	s_cmp_eq_u32 s2, 0
	v_max_i64 v[4:5], s[10:11], 0
	s_cselect_b32 s2, s18, s20
	s_cselect_b32 s1, s1, s17
	v_sub_nc_u64_e64 v[8:9], v[0:1], s[10:11]
	s_wait_kmcnt 0x0
	s_mul_i32 s0, s0, s2
	s_delay_alu instid0(SALU_CYCLE_1) | instskip(NEXT) | instid1(VALU_DEP_1)
	s_add_co_i32 s2, s0, s1
	v_sub_nc_u64_e32 v[10:11], 0, v[8:9]
	s_mul_u64 s[0:1], s[14:15], s[2:3]
	s_delay_alu instid0(SALU_CYCLE_1) | instskip(NEXT) | instid1(SALU_CYCLE_1)
	s_lshl_b64 s[0:1], s[0:1], 2
	s_add_nc_u64 s[0:1], s[6:7], s[0:1]
	s_delay_alu instid0(VALU_DEP_1)
	v_max_i64 v[8:9], v[8:9], v[10:11]
	v_lshl_add_u64 v[2:3], v[0:1], 2, s[0:1]
	s_sub_nc_u64 s[0:1], 0, s[10:11]
	global_load_b32 v12, v[2:3], off
	s_wait_xcnt 0x0
	v_sub_nc_u64_e64 v[2:3], v[0:1], s[12:13]
	s_delay_alu instid0(VALU_DEP_1) | instskip(SKIP_4) | instid1(VALU_DEP_3)
	v_add_nc_u64_e32 v[6:7], 1, v[2:3]
	v_not_b32_e32 v3, v3
	v_not_b32_e32 v2, v2
	;; [unrolled: 1-line block ×4, first 2 shown]
	v_max_i64 v[2:3], v[6:7], v[2:3]
	v_max_i64 v[6:7], s[0:1], 0
	s_add_nc_u64 s[0:1], s[12:13], s[10:11]
	s_delay_alu instid0(VALU_DEP_3) | instid1(SALU_CYCLE_1)
	v_add_nc_u64_e32 v[4:5], s[0:1], v[4:5]
	s_mul_u64 s[0:1], s[8:9], s[2:3]
	s_delay_alu instid0(VALU_DEP_3) | instskip(NEXT) | instid1(VALU_DEP_2)
	v_add_nc_u64_e32 v[0:1], v[0:1], v[2:3]
	v_add_nc_u64_e32 v[2:3], v[4:5], v[6:7]
	s_delay_alu instid0(VALU_DEP_1) | instskip(NEXT) | instid1(VALU_DEP_1)
	v_sub_nc_u64_e32 v[0:1], v[2:3], v[0:1]
	v_lshl_add_u64 v[0:1], v[0:1], 2, s[4:5]
	s_delay_alu instid0(VALU_DEP_1) | instskip(NEXT) | instid1(VALU_DEP_1)
	v_lshl_add_u64 v[0:1], v[8:9], 2, v[0:1]
	v_lshl_add_u64 v[0:1], s[0:1], 2, v[0:1]
	s_wait_loadcnt 0x0
	global_atomic_add_f32 v[0:1], v12, off scope:SCOPE_DEV
.LBB47_2:
	s_endpgm
	.section	.rodata,"a",@progbits
	.p2align	6, 0x0
	.amdhsa_kernel _ZN2at6native12_GLOBAL__N_136reflection_pad1d_backward_out_kernelIfEEvPT_PKS3_lll
		.amdhsa_group_segment_fixed_size 0
		.amdhsa_private_segment_fixed_size 0
		.amdhsa_kernarg_size 296
		.amdhsa_user_sgpr_count 2
		.amdhsa_user_sgpr_dispatch_ptr 0
		.amdhsa_user_sgpr_queue_ptr 0
		.amdhsa_user_sgpr_kernarg_segment_ptr 1
		.amdhsa_user_sgpr_dispatch_id 0
		.amdhsa_user_sgpr_kernarg_preload_length 0
		.amdhsa_user_sgpr_kernarg_preload_offset 0
		.amdhsa_user_sgpr_private_segment_size 0
		.amdhsa_wavefront_size32 1
		.amdhsa_uses_dynamic_stack 0
		.amdhsa_enable_private_segment 0
		.amdhsa_system_sgpr_workgroup_id_x 1
		.amdhsa_system_sgpr_workgroup_id_y 1
		.amdhsa_system_sgpr_workgroup_id_z 1
		.amdhsa_system_sgpr_workgroup_info 0
		.amdhsa_system_vgpr_workitem_id 0
		.amdhsa_next_free_vgpr 13
		.amdhsa_next_free_sgpr 21
		.amdhsa_named_barrier_count 0
		.amdhsa_reserve_vcc 0
		.amdhsa_float_round_mode_32 0
		.amdhsa_float_round_mode_16_64 0
		.amdhsa_float_denorm_mode_32 3
		.amdhsa_float_denorm_mode_16_64 3
		.amdhsa_fp16_overflow 0
		.amdhsa_memory_ordered 1
		.amdhsa_forward_progress 1
		.amdhsa_inst_pref_size 4
		.amdhsa_round_robin_scheduling 0
		.amdhsa_exception_fp_ieee_invalid_op 0
		.amdhsa_exception_fp_denorm_src 0
		.amdhsa_exception_fp_ieee_div_zero 0
		.amdhsa_exception_fp_ieee_overflow 0
		.amdhsa_exception_fp_ieee_underflow 0
		.amdhsa_exception_fp_ieee_inexact 0
		.amdhsa_exception_int_div_zero 0
	.end_amdhsa_kernel
	.section	.text._ZN2at6native12_GLOBAL__N_136reflection_pad1d_backward_out_kernelIfEEvPT_PKS3_lll,"axG",@progbits,_ZN2at6native12_GLOBAL__N_136reflection_pad1d_backward_out_kernelIfEEvPT_PKS3_lll,comdat
.Lfunc_end47:
	.size	_ZN2at6native12_GLOBAL__N_136reflection_pad1d_backward_out_kernelIfEEvPT_PKS3_lll, .Lfunc_end47-_ZN2at6native12_GLOBAL__N_136reflection_pad1d_backward_out_kernelIfEEvPT_PKS3_lll
                                        ; -- End function
	.set _ZN2at6native12_GLOBAL__N_136reflection_pad1d_backward_out_kernelIfEEvPT_PKS3_lll.num_vgpr, 13
	.set _ZN2at6native12_GLOBAL__N_136reflection_pad1d_backward_out_kernelIfEEvPT_PKS3_lll.num_agpr, 0
	.set _ZN2at6native12_GLOBAL__N_136reflection_pad1d_backward_out_kernelIfEEvPT_PKS3_lll.numbered_sgpr, 21
	.set _ZN2at6native12_GLOBAL__N_136reflection_pad1d_backward_out_kernelIfEEvPT_PKS3_lll.num_named_barrier, 0
	.set _ZN2at6native12_GLOBAL__N_136reflection_pad1d_backward_out_kernelIfEEvPT_PKS3_lll.private_seg_size, 0
	.set _ZN2at6native12_GLOBAL__N_136reflection_pad1d_backward_out_kernelIfEEvPT_PKS3_lll.uses_vcc, 0
	.set _ZN2at6native12_GLOBAL__N_136reflection_pad1d_backward_out_kernelIfEEvPT_PKS3_lll.uses_flat_scratch, 0
	.set _ZN2at6native12_GLOBAL__N_136reflection_pad1d_backward_out_kernelIfEEvPT_PKS3_lll.has_dyn_sized_stack, 0
	.set _ZN2at6native12_GLOBAL__N_136reflection_pad1d_backward_out_kernelIfEEvPT_PKS3_lll.has_recursion, 0
	.set _ZN2at6native12_GLOBAL__N_136reflection_pad1d_backward_out_kernelIfEEvPT_PKS3_lll.has_indirect_call, 0
	.section	.AMDGPU.csdata,"",@progbits
; Kernel info:
; codeLenInByte = 444
; TotalNumSgprs: 21
; NumVgprs: 13
; ScratchSize: 0
; MemoryBound: 0
; FloatMode: 240
; IeeeMode: 1
; LDSByteSize: 0 bytes/workgroup (compile time only)
; SGPRBlocks: 0
; VGPRBlocks: 0
; NumSGPRsForWavesPerEU: 21
; NumVGPRsForWavesPerEU: 13
; NamedBarCnt: 0
; Occupancy: 16
; WaveLimiterHint : 0
; COMPUTE_PGM_RSRC2:SCRATCH_EN: 0
; COMPUTE_PGM_RSRC2:USER_SGPR: 2
; COMPUTE_PGM_RSRC2:TRAP_HANDLER: 0
; COMPUTE_PGM_RSRC2:TGID_X_EN: 1
; COMPUTE_PGM_RSRC2:TGID_Y_EN: 1
; COMPUTE_PGM_RSRC2:TGID_Z_EN: 1
; COMPUTE_PGM_RSRC2:TIDIG_COMP_CNT: 0
	.section	.text._ZN2at6native12_GLOBAL__N_130reflection_pad1d_backward_flatIfEEvPT_PKS3_llll,"axG",@progbits,_ZN2at6native12_GLOBAL__N_130reflection_pad1d_backward_flatIfEEvPT_PKS3_llll,comdat
	.globl	_ZN2at6native12_GLOBAL__N_130reflection_pad1d_backward_flatIfEEvPT_PKS3_llll ; -- Begin function _ZN2at6native12_GLOBAL__N_130reflection_pad1d_backward_flatIfEEvPT_PKS3_llll
	.p2align	8
	.type	_ZN2at6native12_GLOBAL__N_130reflection_pad1d_backward_flatIfEEvPT_PKS3_llll,@function
_ZN2at6native12_GLOBAL__N_130reflection_pad1d_backward_flatIfEEvPT_PKS3_llll: ; @_ZN2at6native12_GLOBAL__N_130reflection_pad1d_backward_flatIfEEvPT_PKS3_llll
; %bb.0:
	s_load_b32 s2, s[0:1], 0x3c
	s_bfe_u32 s12, ttmp6, 0x4000c
	s_load_b256 s[4:11], s[0:1], 0x10
	v_mov_b32_e32 v2, 0
	s_add_co_i32 s12, s12, 1
	s_and_b32 s3, ttmp6, 15
	s_mul_i32 s12, ttmp9, s12
	s_getreg_b32 s13, hwreg(HW_REG_IB_STS2, 6, 4)
	v_mov_b32_e32 v1, v2
	s_add_co_i32 s3, s3, s12
	s_mov_b32 s12, exec_lo
	s_wait_kmcnt 0x0
	s_and_b32 s2, s2, 0xffff
	s_cmp_eq_u32 s13, 0
	s_mul_u64 s[10:11], s[10:11], s[8:9]
	s_cselect_b32 s3, ttmp9, s3
	s_delay_alu instid0(SALU_CYCLE_1) | instskip(SKIP_1) | instid1(VALU_DEP_1)
	v_mad_nc_u64_u32 v[0:1], s2, s3, v[0:1]
	s_mov_b32 s3, 0
	v_cmpx_gt_i64_e64 s[10:11], v[0:1]
	s_cbranch_execz .LBB48_13
; %bb.1:
	v_cvt_f32_u32_e32 v3, s8
	s_sub_co_i32 s14, 0, s8
	s_add_nc_u64 s[12:13], s[0:1], 48
	s_mov_b32 s23, s3
	s_load_b32 s22, s[12:13], 0x0
	v_rcp_iflag_f32_e32 v3, v3
	s_sub_nc_u64 s[16:17], 0, s[8:9]
	s_sub_nc_u64 s[6:7], 0, s[6:7]
	s_mov_b64 s[18:19], 0xffffffff
	s_ashr_i32 s24, s9, 31
	s_mov_b32 s30, 0
	v_nop
	v_mul_f32_e32 v3, 0x4f7ffffe, v3
	s_delay_alu instid0(VALU_DEP_1) | instskip(NEXT) | instid1(VALU_DEP_1)
	v_cvt_u32_f32_e32 v3, v3
	v_mul_lo_u32 v4, s14, v3
	s_wait_xcnt 0x0
	s_load_b128 s[12:15], s[0:1], 0x0
	s_wait_xcnt 0x0
	s_lshl_b64 s[0:1], s[4:5], 1
	s_wait_kmcnt 0x0
	s_mul_u64 s[22:23], s[2:3], s[22:23]
	s_add_nc_u64 s[20:21], s[0:1], -2
	s_delay_alu instid0(SALU_CYCLE_1) | instskip(SKIP_3) | instid1(VALU_DEP_2)
	v_cmp_gt_i64_e64 s1, s[20:21], 0
	s_ashr_i32 s26, s21, 31
	v_mul_hi_u32 v6, v3, v4
	v_lshl_add_u64 v[4:5], v[0:1], 2, s[14:15]
	v_add_nc_u32_e32 v12, v3, v6
	s_lshl_b64 s[14:15], s[22:23], 2
	s_branch .LBB48_4
.LBB48_2:                               ;   in Loop: Header=BB48_4 Depth=1
	s_or_b32 exec_lo, exec_lo, s0
	s_delay_alu instid0(VALU_DEP_1) | instskip(NEXT) | instid1(VALU_DEP_1)
	v_ashrrev_i32_e32 v3, 31, v11
	v_and_b32_e32 v9, s21, v3
	v_and_b32_e32 v8, s20, v3
	s_delay_alu instid0(VALU_DEP_1) | instskip(NEXT) | instid1(VALU_DEP_1)
	v_add_nc_u64_e32 v[8:9], v[8:9], v[10:11]
	v_sub_nc_u64_e32 v[10:11], s[20:21], v[8:9]
	v_cmp_gt_i64_e32 vcc_lo, s[4:5], v[8:9]
	s_delay_alu instid0(VALU_DEP_2)
	v_dual_cndmask_b32 v9, v11, v9 :: v_dual_cndmask_b32 v8, v10, v8
.LBB48_3:                               ;   in Loop: Header=BB48_4 Depth=1
	global_load_b32 v3, v[4:5], off
	v_mul_u64_e32 v[6:7], s[4:5], v[6:7]
	v_add_nc_u64_e32 v[0:1], s[22:23], v[0:1]
	s_wait_xcnt 0x0
	v_add_nc_u64_e32 v[4:5], s[14:15], v[4:5]
	s_delay_alu instid0(VALU_DEP_2) | instskip(SKIP_1) | instid1(VALU_DEP_4)
	v_cmp_le_i64_e32 vcc_lo, s[10:11], v[0:1]
	s_or_b32 s30, vcc_lo, s30
	v_lshl_add_u64 v[6:7], v[6:7], 2, s[12:13]
	s_delay_alu instid0(VALU_DEP_1)
	v_lshl_add_u64 v[6:7], v[8:9], 2, v[6:7]
	s_wait_loadcnt 0x0
	global_atomic_add_f32 v[6:7], v3, off scope:SCOPE_DEV
	s_wait_xcnt 0x0
	s_and_not1_b32 exec_lo, exec_lo, s30
	s_cbranch_execz .LBB48_13
.LBB48_4:                               ; =>This Inner Loop Header: Depth=1
	v_or_b32_e32 v3, s9, v1
                                        ; implicit-def: $vgpr6_vgpr7
	s_mov_b32 s0, exec_lo
	s_delay_alu instid0(VALU_DEP_1)
	v_cmpx_ne_u64_e32 0, v[2:3]
	s_xor_b32 s27, exec_lo, s0
	s_cbranch_execnz .LBB48_7
; %bb.5:                                ;   in Loop: Header=BB48_4 Depth=1
	s_and_not1_saveexec_b32 s0, s27
	s_cbranch_execnz .LBB48_8
.LBB48_6:                               ;   in Loop: Header=BB48_4 Depth=1
	s_or_b32 exec_lo, exec_lo, s0
	v_mov_b64_e32 v[8:9], 0
	s_and_not1_b32 vcc_lo, exec_lo, s1
	s_cbranch_vccnz .LBB48_3
	s_branch .LBB48_9
.LBB48_7:                               ;   in Loop: Header=BB48_4 Depth=1
	s_mov_b32 s25, s24
	v_dual_mov_b32 v11, v2 :: v_dual_ashrrev_i32 v6, 31, v1
	s_add_nc_u64 s[28:29], s[8:9], s[24:25]
	s_delay_alu instid0(SALU_CYCLE_1) | instskip(NEXT) | instid1(VALU_DEP_1)
	s_xor_b64 s[28:29], s[28:29], s[24:25]
	v_mov_b32_e32 v7, v6
	s_cvt_f32_u32 s0, s28
	s_cvt_f32_u32 s2, s29
	s_sub_nc_u64 s[36:37], 0, s[28:29]
	s_delay_alu instid0(VALU_DEP_1) | instskip(NEXT) | instid1(SALU_CYCLE_1)
	v_add_nc_u64_e32 v[8:9], v[0:1], v[6:7]
	s_fmamk_f32 s0, s2, 0x4f800000, s0
	v_mov_b32_e32 v17, v2
	s_delay_alu instid0(SALU_CYCLE_2) | instskip(NEXT) | instid1(VALU_DEP_2)
	v_s_rcp_f32 s0, s0
	v_xor_b32_e32 v10, v8, v6
	s_delay_alu instid0(VALU_DEP_3) | instskip(NEXT) | instid1(TRANS32_DEP_1)
	v_dual_mov_b32 v21, v2 :: v_dual_bitop2_b32 v16, v9, v6 bitop3:0x14
	s_mul_f32 s0, s0, 0x5f7ffffc
	s_delay_alu instid0(SALU_CYCLE_3) | instskip(NEXT) | instid1(SALU_CYCLE_3)
	s_mul_f32 s2, s0, 0x2f800000
	s_trunc_f32 s2, s2
	s_delay_alu instid0(SALU_CYCLE_3) | instskip(SKIP_1) | instid1(SALU_CYCLE_2)
	s_fmamk_f32 s0, s2, 0xcf800000, s0
	s_cvt_u32_f32 s35, s2
	s_cvt_u32_f32 s34, s0
	s_delay_alu instid0(SALU_CYCLE_3) | instskip(NEXT) | instid1(SALU_CYCLE_1)
	s_mul_u64 s[38:39], s[36:37], s[34:35]
	s_mul_hi_u32 s41, s34, s39
	s_mul_i32 s40, s34, s39
	s_mul_hi_u32 s2, s34, s38
	s_mul_i32 s25, s35, s38
	s_add_nc_u64 s[40:41], s[2:3], s[40:41]
	s_mul_hi_u32 s0, s35, s38
	s_mul_hi_u32 s31, s35, s39
	s_add_co_u32 s2, s40, s25
	s_add_co_ci_u32 s2, s41, s0
	s_mul_i32 s38, s35, s39
	s_add_co_ci_u32 s39, s31, 0
	s_delay_alu instid0(SALU_CYCLE_1) | instskip(NEXT) | instid1(SALU_CYCLE_1)
	s_add_nc_u64 s[38:39], s[2:3], s[38:39]
	s_add_co_u32 s34, s34, s38
	s_cselect_b32 s0, -1, 0
	s_delay_alu instid0(SALU_CYCLE_1) | instskip(SKIP_1) | instid1(SALU_CYCLE_1)
	s_cmp_lg_u32 s0, 0
	s_add_co_ci_u32 s35, s35, s39
	s_mul_u64 s[36:37], s[36:37], s[34:35]
	s_delay_alu instid0(SALU_CYCLE_1)
	s_mul_hi_u32 s39, s34, s37
	s_mul_i32 s38, s34, s37
	s_mul_hi_u32 s2, s34, s36
	s_mul_i32 s25, s35, s36
	s_add_nc_u64 s[38:39], s[2:3], s[38:39]
	s_mul_hi_u32 s0, s35, s36
	s_mul_hi_u32 s31, s35, s37
	s_add_co_u32 s2, s38, s25
	s_add_co_ci_u32 s2, s39, s0
	s_mul_i32 s36, s35, s37
	s_add_co_ci_u32 s37, s31, 0
	s_delay_alu instid0(SALU_CYCLE_1) | instskip(NEXT) | instid1(SALU_CYCLE_1)
	s_add_nc_u64 s[36:37], s[2:3], s[36:37]
	s_add_co_u32 s0, s34, s36
	s_cselect_b32 s2, -1, 0
	v_mul_hi_u32 v20, v10, s0
	s_cmp_lg_u32 s2, 0
	s_add_co_ci_u32 s2, s35, s37
	s_and_b64 s[34:35], s[0:1], s[18:19]
	v_mul_u64_e32 v[14:15], s[2:3], v[10:11]
	v_mul_u64_e32 v[8:9], s[34:35], v[16:17]
	;; [unrolled: 1-line block ×3, first 2 shown]
	s_delay_alu instid0(VALU_DEP_3) | instskip(NEXT) | instid1(VALU_DEP_1)
	v_add_nc_u64_e32 v[14:15], v[20:21], v[14:15]
	v_add_co_u32 v3, vcc_lo, v14, v8
	s_delay_alu instid0(VALU_DEP_2) | instskip(NEXT) | instid1(VALU_DEP_4)
	v_add_co_ci_u32_e32 v20, vcc_lo, v15, v9, vcc_lo
	v_add_co_ci_u32_e32 v19, vcc_lo, 0, v19, vcc_lo
	s_delay_alu instid0(VALU_DEP_1) | instskip(NEXT) | instid1(VALU_DEP_1)
	v_add_nc_u64_e32 v[8:9], v[20:21], v[18:19]
	v_mul_u64_e32 v[14:15], s[28:29], v[8:9]
	s_delay_alu instid0(VALU_DEP_1) | instskip(NEXT) | instid1(VALU_DEP_2)
	v_sub_nc_u32_e32 v3, v16, v15
	v_sub_co_u32 v7, vcc_lo, v10, v14
	s_delay_alu instid0(VALU_DEP_1) | instskip(NEXT) | instid1(VALU_DEP_3)
	v_sub_co_ci_u32_e64 v13, null, v16, v15, vcc_lo
	v_subrev_co_ci_u32_e64 v3, null, s29, v3, vcc_lo
	s_delay_alu instid0(VALU_DEP_3) | instskip(SKIP_1) | instid1(VALU_DEP_3)
	v_sub_co_u32 v10, s0, v7, s28
	v_add_nc_u64_e32 v[14:15], 1, v[8:9]
	v_subrev_co_ci_u32_e64 v3, null, 0, v3, s0
	s_delay_alu instid0(VALU_DEP_3) | instskip(SKIP_1) | instid1(VALU_DEP_3)
	v_cmp_le_u32_e32 vcc_lo, s28, v10
	v_cndmask_b32_e64 v10, 0, -1, vcc_lo
	v_cmp_le_u32_e32 vcc_lo, s29, v3
	v_cndmask_b32_e64 v11, 0, -1, vcc_lo
	;; [unrolled: 2-line block ×4, first 2 shown]
	v_cmp_eq_u32_e32 vcc_lo, s29, v3
	v_cndmask_b32_e32 v3, v11, v10, vcc_lo
	v_cmp_eq_u32_e32 vcc_lo, s29, v13
	v_add_nc_u64_e32 v[10:11], 2, v[8:9]
	v_cndmask_b32_e32 v7, v16, v7, vcc_lo
	s_delay_alu instid0(VALU_DEP_4) | instskip(NEXT) | instid1(VALU_DEP_2)
	v_cmp_ne_u32_e32 vcc_lo, 0, v3
	v_cmp_ne_u32_e64 s0, 0, v7
	s_delay_alu instid0(VALU_DEP_4) | instskip(NEXT) | instid1(VALU_DEP_1)
	v_dual_cndmask_b32 v3, v15, v11, vcc_lo :: v_dual_cndmask_b32 v7, v14, v10, vcc_lo
	v_dual_cndmask_b32 v3, v9, v3, s0 :: v_dual_bitop2_b32 v6, s24, v6 bitop3:0x14
	s_delay_alu instid0(VALU_DEP_1) | instskip(NEXT) | instid1(VALU_DEP_2)
	v_dual_cndmask_b32 v8, v8, v7, s0 :: v_dual_mov_b32 v7, v6
	v_xor_b32_e32 v9, v3, v6
	s_delay_alu instid0(VALU_DEP_2) | instskip(NEXT) | instid1(VALU_DEP_1)
	v_xor_b32_e32 v8, v8, v6
	v_sub_nc_u64_e32 v[6:7], v[8:9], v[6:7]
	s_and_not1_saveexec_b32 s0, s27
	s_cbranch_execz .LBB48_6
.LBB48_8:                               ;   in Loop: Header=BB48_4 Depth=1
	v_mul_hi_u32 v3, v0, v12
	s_delay_alu instid0(VALU_DEP_1) | instskip(NEXT) | instid1(VALU_DEP_1)
	v_mul_lo_u32 v6, v3, s8
	v_dual_add_nc_u32 v7, 1, v3 :: v_dual_sub_nc_u32 v6, v0, v6
	s_delay_alu instid0(VALU_DEP_1) | instskip(SKIP_1) | instid1(VALU_DEP_2)
	v_subrev_nc_u32_e32 v8, s8, v6
	v_cmp_le_u32_e32 vcc_lo, s8, v6
	v_dual_cndmask_b32 v6, v6, v8 :: v_dual_cndmask_b32 v3, v3, v7
	s_delay_alu instid0(VALU_DEP_1) | instskip(NEXT) | instid1(VALU_DEP_2)
	v_cmp_le_u32_e32 vcc_lo, s8, v6
	v_add_nc_u32_e32 v7, 1, v3
	s_delay_alu instid0(VALU_DEP_1)
	v_dual_cndmask_b32 v6, v3, v7 :: v_dual_mov_b32 v7, v2
	s_or_b32 exec_lo, exec_lo, s0
	v_mov_b64_e32 v[8:9], 0
	s_and_not1_b32 vcc_lo, exec_lo, s1
	s_cbranch_vccnz .LBB48_3
.LBB48_9:                               ;   in Loop: Header=BB48_4 Depth=1
	v_add_nc_u64_e32 v[8:9], s[6:7], v[0:1]
                                        ; implicit-def: $vgpr10_vgpr11
	s_mov_b32 s0, exec_lo
	s_delay_alu instid0(VALU_DEP_1) | instskip(NEXT) | instid1(VALU_DEP_1)
	v_mad_nc_u64_u32 v[8:9], s16, v6, v[8:9]
	v_mad_u32 v3, s17, v6, v9
	s_delay_alu instid0(VALU_DEP_1) | instskip(NEXT) | instid1(VALU_DEP_1)
	v_mad_u32 v9, s16, v7, v3
	v_or_b32_e32 v3, s21, v9
	s_delay_alu instid0(VALU_DEP_1)
	v_cmpx_ne_u64_e32 0, v[2:3]
	s_xor_b32 s25, exec_lo, s0
	s_cbranch_execz .LBB48_11
; %bb.10:                               ;   in Loop: Header=BB48_4 Depth=1
	s_mov_b32 s27, s26
	v_dual_mov_b32 v15, v2 :: v_dual_ashrrev_i32 v10, 31, v9
	s_add_nc_u64 s[28:29], s[20:21], s[26:27]
	v_mov_b32_e32 v23, v2
	s_xor_b64 s[28:29], s[28:29], s[26:27]
	s_delay_alu instid0(VALU_DEP_2) | instskip(SKIP_3) | instid1(VALU_DEP_1)
	v_mov_b32_e32 v11, v10
	s_cvt_f32_u32 s0, s28
	s_cvt_f32_u32 s2, s29
	s_sub_nc_u64 s[36:37], 0, s[28:29]
	v_add_nc_u64_e32 v[8:9], v[8:9], v[10:11]
	s_delay_alu instid0(SALU_CYCLE_1) | instskip(SKIP_1) | instid1(SALU_CYCLE_2)
	s_fmamk_f32 s0, s2, 0x4f800000, s0
	v_mov_b32_e32 v19, v2
	v_s_rcp_f32 s0, s0
	s_delay_alu instid0(VALU_DEP_2) | instskip(NEXT) | instid1(VALU_DEP_3)
	v_xor_b32_e32 v14, v8, v10
	v_xor_b32_e32 v18, v9, v10
	s_delay_alu instid0(TRANS32_DEP_1) | instskip(NEXT) | instid1(SALU_CYCLE_3)
	s_mul_f32 s0, s0, 0x5f7ffffc
	s_mul_f32 s2, s0, 0x2f800000
	s_delay_alu instid0(SALU_CYCLE_3) | instskip(NEXT) | instid1(SALU_CYCLE_3)
	s_trunc_f32 s2, s2
	s_fmamk_f32 s0, s2, 0xcf800000, s0
	s_cvt_u32_f32 s35, s2
	s_delay_alu instid0(SALU_CYCLE_2) | instskip(NEXT) | instid1(SALU_CYCLE_3)
	s_cvt_u32_f32 s34, s0
	s_mul_u64 s[38:39], s[36:37], s[34:35]
	s_delay_alu instid0(SALU_CYCLE_1)
	s_mul_hi_u32 s41, s34, s39
	s_mul_i32 s40, s34, s39
	s_mul_hi_u32 s2, s34, s38
	s_mul_i32 s27, s35, s38
	s_add_nc_u64 s[40:41], s[2:3], s[40:41]
	s_mul_hi_u32 s0, s35, s38
	s_mul_hi_u32 s31, s35, s39
	s_add_co_u32 s2, s40, s27
	s_add_co_ci_u32 s2, s41, s0
	s_mul_i32 s38, s35, s39
	s_add_co_ci_u32 s39, s31, 0
	s_delay_alu instid0(SALU_CYCLE_1) | instskip(NEXT) | instid1(SALU_CYCLE_1)
	s_add_nc_u64 s[38:39], s[2:3], s[38:39]
	s_add_co_u32 s34, s34, s38
	s_cselect_b32 s0, -1, 0
	s_delay_alu instid0(SALU_CYCLE_1) | instskip(SKIP_1) | instid1(SALU_CYCLE_1)
	s_cmp_lg_u32 s0, 0
	s_add_co_ci_u32 s35, s35, s39
	s_mul_u64 s[36:37], s[36:37], s[34:35]
	s_delay_alu instid0(SALU_CYCLE_1)
	s_mul_hi_u32 s39, s34, s37
	s_mul_i32 s38, s34, s37
	s_mul_hi_u32 s2, s34, s36
	s_mul_i32 s27, s35, s36
	s_add_nc_u64 s[38:39], s[2:3], s[38:39]
	s_mul_hi_u32 s0, s35, s36
	s_mul_hi_u32 s31, s35, s37
	s_add_co_u32 s2, s38, s27
	s_add_co_ci_u32 s2, s39, s0
	s_mul_i32 s36, s35, s37
	s_add_co_ci_u32 s37, s31, 0
	s_delay_alu instid0(SALU_CYCLE_1) | instskip(NEXT) | instid1(SALU_CYCLE_1)
	s_add_nc_u64 s[36:37], s[2:3], s[36:37]
	s_add_co_u32 s0, s34, s36
	s_cselect_b32 s2, -1, 0
	v_mul_hi_u32 v22, v14, s0
	s_cmp_lg_u32 s2, 0
	s_add_co_ci_u32 s2, s35, s37
	s_and_b64 s[34:35], s[0:1], s[18:19]
	v_mul_u64_e32 v[16:17], s[2:3], v[14:15]
	v_mul_u64_e32 v[8:9], s[34:35], v[18:19]
	;; [unrolled: 1-line block ×3, first 2 shown]
	s_delay_alu instid0(VALU_DEP_3) | instskip(NEXT) | instid1(VALU_DEP_1)
	v_add_nc_u64_e32 v[16:17], v[22:23], v[16:17]
	v_add_co_u32 v3, vcc_lo, v16, v8
	s_delay_alu instid0(VALU_DEP_2) | instskip(NEXT) | instid1(VALU_DEP_4)
	v_add_co_ci_u32_e32 v22, vcc_lo, v17, v9, vcc_lo
	v_add_co_ci_u32_e32 v21, vcc_lo, 0, v21, vcc_lo
	s_delay_alu instid0(VALU_DEP_1) | instskip(NEXT) | instid1(VALU_DEP_1)
	v_add_nc_u64_e32 v[8:9], v[22:23], v[20:21]
	v_mul_u64_e32 v[8:9], s[28:29], v[8:9]
	s_delay_alu instid0(VALU_DEP_1) | instskip(NEXT) | instid1(VALU_DEP_1)
	v_sub_co_u32 v8, vcc_lo, v14, v8
	v_cmp_le_u32_e64 s0, s28, v8
	s_delay_alu instid0(VALU_DEP_1) | instskip(NEXT) | instid1(VALU_DEP_4)
	v_cndmask_b32_e64 v15, 0, -1, s0
	v_sub_nc_u32_e32 v3, v18, v9
	v_sub_co_ci_u32_e64 v9, null, v18, v9, vcc_lo
	s_delay_alu instid0(VALU_DEP_2) | instskip(SKIP_1) | instid1(VALU_DEP_1)
	v_subrev_co_ci_u32_e64 v3, null, s29, v3, vcc_lo
	v_sub_co_u32 v13, vcc_lo, v8, s28
	v_subrev_co_ci_u32_e64 v14, null, 0, v3, vcc_lo
	s_delay_alu instid0(VALU_DEP_2) | instskip(SKIP_2) | instid1(VALU_DEP_3)
	v_cmp_le_u32_e64 s0, s28, v13
	v_subrev_co_ci_u32_e64 v3, null, s29, v3, vcc_lo
	v_cmp_le_u32_e32 vcc_lo, s29, v9
	v_cndmask_b32_e64 v16, 0, -1, s0
	v_cmp_le_u32_e64 s0, s29, v14
	v_cndmask_b32_e64 v18, 0, -1, vcc_lo
	v_cmp_eq_u32_e32 vcc_lo, s29, v14
	s_delay_alu instid0(VALU_DEP_3) | instskip(SKIP_1) | instid1(VALU_DEP_2)
	v_cndmask_b32_e64 v17, 0, -1, s0
	v_cmp_eq_u32_e64 s0, s29, v9
	v_cndmask_b32_e32 v16, v17, v16, vcc_lo
	v_sub_co_u32 v17, vcc_lo, v13, s28
	s_delay_alu instid0(VALU_DEP_1) | instskip(NEXT) | instid1(VALU_DEP_3)
	v_subrev_co_ci_u32_e64 v3, null, 0, v3, vcc_lo
	v_cmp_ne_u32_e32 vcc_lo, 0, v16
	v_cndmask_b32_e64 v15, v18, v15, s0
	s_delay_alu instid0(VALU_DEP_3) | instskip(NEXT) | instid1(VALU_DEP_2)
	v_dual_cndmask_b32 v3, v14, v3, vcc_lo :: v_dual_cndmask_b32 v13, v13, v17, vcc_lo
	v_cmp_ne_u32_e32 vcc_lo, 0, v15
	s_delay_alu instid0(VALU_DEP_2) | instskip(NEXT) | instid1(VALU_DEP_1)
	v_dual_cndmask_b32 v3, v9, v3 :: v_dual_cndmask_b32 v8, v8, v13
	v_xor_b32_e32 v9, v3, v10
	s_delay_alu instid0(VALU_DEP_2) | instskip(NEXT) | instid1(VALU_DEP_1)
	v_xor_b32_e32 v8, v8, v10
	v_sub_nc_u64_e32 v[10:11], v[8:9], v[10:11]
                                        ; implicit-def: $vgpr8_vgpr9
.LBB48_11:                              ;   in Loop: Header=BB48_4 Depth=1
	s_and_not1_saveexec_b32 s0, s25
	s_cbranch_execz .LBB48_2
; %bb.12:                               ;   in Loop: Header=BB48_4 Depth=1
	v_cvt_f32_u32_e32 v3, s20
	s_sub_co_i32 s2, 0, s20
	v_mov_b32_e32 v11, v2
	s_delay_alu instid0(VALU_DEP_2) | instskip(SKIP_1) | instid1(TRANS32_DEP_1)
	v_rcp_iflag_f32_e32 v3, v3
	v_nop
	v_mul_f32_e32 v3, 0x4f7ffffe, v3
	s_delay_alu instid0(VALU_DEP_1) | instskip(NEXT) | instid1(VALU_DEP_1)
	v_cvt_u32_f32_e32 v3, v3
	v_mul_lo_u32 v9, s2, v3
	s_delay_alu instid0(VALU_DEP_1) | instskip(NEXT) | instid1(VALU_DEP_1)
	v_mul_hi_u32 v9, v3, v9
	v_add_nc_u32_e32 v3, v3, v9
	s_delay_alu instid0(VALU_DEP_1) | instskip(NEXT) | instid1(VALU_DEP_1)
	v_mul_hi_u32 v3, v8, v3
	v_mul_lo_u32 v3, v3, s20
	s_delay_alu instid0(VALU_DEP_1) | instskip(NEXT) | instid1(VALU_DEP_1)
	v_sub_nc_u32_e32 v3, v8, v3
	v_subrev_nc_u32_e32 v8, s20, v3
	v_cmp_le_u32_e32 vcc_lo, s20, v3
	s_delay_alu instid0(VALU_DEP_2) | instskip(NEXT) | instid1(VALU_DEP_1)
	v_cndmask_b32_e32 v3, v3, v8, vcc_lo
	v_subrev_nc_u32_e32 v8, s20, v3
	v_cmp_le_u32_e32 vcc_lo, s20, v3
	s_delay_alu instid0(VALU_DEP_2)
	v_cndmask_b32_e32 v10, v3, v8, vcc_lo
	s_branch .LBB48_2
.LBB48_13:
	s_endpgm
	.section	.rodata,"a",@progbits
	.p2align	6, 0x0
	.amdhsa_kernel _ZN2at6native12_GLOBAL__N_130reflection_pad1d_backward_flatIfEEvPT_PKS3_llll
		.amdhsa_group_segment_fixed_size 0
		.amdhsa_private_segment_fixed_size 0
		.amdhsa_kernarg_size 304
		.amdhsa_user_sgpr_count 2
		.amdhsa_user_sgpr_dispatch_ptr 0
		.amdhsa_user_sgpr_queue_ptr 0
		.amdhsa_user_sgpr_kernarg_segment_ptr 1
		.amdhsa_user_sgpr_dispatch_id 0
		.amdhsa_user_sgpr_kernarg_preload_length 0
		.amdhsa_user_sgpr_kernarg_preload_offset 0
		.amdhsa_user_sgpr_private_segment_size 0
		.amdhsa_wavefront_size32 1
		.amdhsa_uses_dynamic_stack 0
		.amdhsa_enable_private_segment 0
		.amdhsa_system_sgpr_workgroup_id_x 1
		.amdhsa_system_sgpr_workgroup_id_y 0
		.amdhsa_system_sgpr_workgroup_id_z 0
		.amdhsa_system_sgpr_workgroup_info 0
		.amdhsa_system_vgpr_workitem_id 0
		.amdhsa_next_free_vgpr 24
		.amdhsa_next_free_sgpr 42
		.amdhsa_named_barrier_count 0
		.amdhsa_reserve_vcc 1
		.amdhsa_float_round_mode_32 0
		.amdhsa_float_round_mode_16_64 0
		.amdhsa_float_denorm_mode_32 3
		.amdhsa_float_denorm_mode_16_64 3
		.amdhsa_fp16_overflow 0
		.amdhsa_memory_ordered 1
		.amdhsa_forward_progress 1
		.amdhsa_inst_pref_size 15
		.amdhsa_round_robin_scheduling 0
		.amdhsa_exception_fp_ieee_invalid_op 0
		.amdhsa_exception_fp_denorm_src 0
		.amdhsa_exception_fp_ieee_div_zero 0
		.amdhsa_exception_fp_ieee_overflow 0
		.amdhsa_exception_fp_ieee_underflow 0
		.amdhsa_exception_fp_ieee_inexact 0
		.amdhsa_exception_int_div_zero 0
	.end_amdhsa_kernel
	.section	.text._ZN2at6native12_GLOBAL__N_130reflection_pad1d_backward_flatIfEEvPT_PKS3_llll,"axG",@progbits,_ZN2at6native12_GLOBAL__N_130reflection_pad1d_backward_flatIfEEvPT_PKS3_llll,comdat
.Lfunc_end48:
	.size	_ZN2at6native12_GLOBAL__N_130reflection_pad1d_backward_flatIfEEvPT_PKS3_llll, .Lfunc_end48-_ZN2at6native12_GLOBAL__N_130reflection_pad1d_backward_flatIfEEvPT_PKS3_llll
                                        ; -- End function
	.set _ZN2at6native12_GLOBAL__N_130reflection_pad1d_backward_flatIfEEvPT_PKS3_llll.num_vgpr, 24
	.set _ZN2at6native12_GLOBAL__N_130reflection_pad1d_backward_flatIfEEvPT_PKS3_llll.num_agpr, 0
	.set _ZN2at6native12_GLOBAL__N_130reflection_pad1d_backward_flatIfEEvPT_PKS3_llll.numbered_sgpr, 42
	.set _ZN2at6native12_GLOBAL__N_130reflection_pad1d_backward_flatIfEEvPT_PKS3_llll.num_named_barrier, 0
	.set _ZN2at6native12_GLOBAL__N_130reflection_pad1d_backward_flatIfEEvPT_PKS3_llll.private_seg_size, 0
	.set _ZN2at6native12_GLOBAL__N_130reflection_pad1d_backward_flatIfEEvPT_PKS3_llll.uses_vcc, 1
	.set _ZN2at6native12_GLOBAL__N_130reflection_pad1d_backward_flatIfEEvPT_PKS3_llll.uses_flat_scratch, 0
	.set _ZN2at6native12_GLOBAL__N_130reflection_pad1d_backward_flatIfEEvPT_PKS3_llll.has_dyn_sized_stack, 0
	.set _ZN2at6native12_GLOBAL__N_130reflection_pad1d_backward_flatIfEEvPT_PKS3_llll.has_recursion, 0
	.set _ZN2at6native12_GLOBAL__N_130reflection_pad1d_backward_flatIfEEvPT_PKS3_llll.has_indirect_call, 0
	.section	.AMDGPU.csdata,"",@progbits
; Kernel info:
; codeLenInByte = 1896
; TotalNumSgprs: 44
; NumVgprs: 24
; ScratchSize: 0
; MemoryBound: 0
; FloatMode: 240
; IeeeMode: 1
; LDSByteSize: 0 bytes/workgroup (compile time only)
; SGPRBlocks: 0
; VGPRBlocks: 1
; NumSGPRsForWavesPerEU: 44
; NumVGPRsForWavesPerEU: 24
; NamedBarCnt: 0
; Occupancy: 16
; WaveLimiterHint : 0
; COMPUTE_PGM_RSRC2:SCRATCH_EN: 0
; COMPUTE_PGM_RSRC2:USER_SGPR: 2
; COMPUTE_PGM_RSRC2:TRAP_HANDLER: 0
; COMPUTE_PGM_RSRC2:TGID_X_EN: 1
; COMPUTE_PGM_RSRC2:TGID_Y_EN: 0
; COMPUTE_PGM_RSRC2:TGID_Z_EN: 0
; COMPUTE_PGM_RSRC2:TIDIG_COMP_CNT: 0
	.section	.text._ZN2at6native12_GLOBAL__N_136reflection_pad1d_backward_out_kernelIN3c107complexIdEEEEvPT_PKS6_lll,"axG",@progbits,_ZN2at6native12_GLOBAL__N_136reflection_pad1d_backward_out_kernelIN3c107complexIdEEEEvPT_PKS6_lll,comdat
	.globl	_ZN2at6native12_GLOBAL__N_136reflection_pad1d_backward_out_kernelIN3c107complexIdEEEEvPT_PKS6_lll ; -- Begin function _ZN2at6native12_GLOBAL__N_136reflection_pad1d_backward_out_kernelIN3c107complexIdEEEEvPT_PKS6_lll
	.p2align	8
	.type	_ZN2at6native12_GLOBAL__N_136reflection_pad1d_backward_out_kernelIN3c107complexIdEEEEvPT_PKS6_lll,@function
_ZN2at6native12_GLOBAL__N_136reflection_pad1d_backward_out_kernelIN3c107complexIdEEEEvPT_PKS6_lll: ; @_ZN2at6native12_GLOBAL__N_136reflection_pad1d_backward_out_kernelIN3c107complexIdEEEEvPT_PKS6_lll
; %bb.0:
	s_clause 0x2
	s_load_b32 s3, s[0:1], 0x34
	s_load_b64 s[14:15], s[0:1], 0x20
	s_load_b256 s[4:11], s[0:1], 0x0
	s_bfe_u32 s2, ttmp6, 0x4000c
	s_and_b32 s12, ttmp6, 15
	s_add_co_i32 s13, s2, 1
	s_getreg_b32 s2, hwreg(HW_REG_IB_STS2, 6, 4)
	s_mul_i32 s13, ttmp9, s13
	v_mov_b32_e32 v1, 0
	s_add_co_i32 s12, s12, s13
	s_mov_b32 s16, exec_lo
	s_wait_kmcnt 0x0
	s_and_b32 s3, s3, 0xffff
	s_cmp_eq_u32 s2, 0
	s_cselect_b32 s12, ttmp9, s12
	s_delay_alu instid0(SALU_CYCLE_1)
	v_mad_nc_u64_u32 v[0:1], s3, s12, v[0:1]
	s_add_nc_u64 s[12:13], s[10:11], s[8:9]
	s_mov_b32 s3, 0
	s_add_nc_u64 s[14:15], s[12:13], s[14:15]
	s_delay_alu instid0(VALU_DEP_1) | instid1(SALU_CYCLE_1)
	v_cmpx_gt_i64_e64 s[14:15], v[0:1]
	s_cbranch_execz .LBB49_2
; %bb.1:
	s_add_nc_u64 s[0:1], s[0:1], 40
	s_bfe_u32 s16, ttmp6, 0x40010
	s_load_b32 s0, s[0:1], 0x4
	s_bfe_u32 s19, ttmp6, 0x40014
	s_wait_xcnt 0x0
	s_and_b32 s1, ttmp7, 0xffff
	s_lshr_b32 s18, ttmp7, 16
	s_add_co_i32 s16, s16, 1
	s_add_co_i32 s19, s19, 1
	s_bfe_u32 s17, ttmp6, 0x40004
	s_bfe_u32 s20, ttmp6, 0x40008
	s_mul_i32 s16, s1, s16
	s_mul_i32 s19, s18, s19
	s_add_co_i32 s17, s17, s16
	s_add_co_i32 s20, s20, s19
	s_cmp_eq_u32 s2, 0
	v_sub_nc_u64_e64 v[6:7], v[0:1], s[12:13]
	s_cselect_b32 s2, s18, s20
	s_cselect_b32 s1, s1, s17
	v_max_i64 v[8:9], s[10:11], 0
	v_sub_nc_u64_e64 v[12:13], v[0:1], s[10:11]
	s_delay_alu instid0(VALU_DEP_3)
	v_add_nc_u64_e32 v[10:11], 1, v[6:7]
	s_wait_kmcnt 0x0
	s_mul_i32 s0, s0, s2
	v_not_b32_e32 v7, v7
	s_add_co_i32 s2, s0, s1
	v_not_b32_e32 v6, v6
	s_mul_u64 s[0:1], s[14:15], s[2:3]
	v_sub_nc_u64_e32 v[14:15], 0, v[12:13]
	s_lshl_b64 s[0:1], s[0:1], 4
	s_delay_alu instid0(SALU_CYCLE_1) | instskip(SKIP_3) | instid1(VALU_DEP_3)
	s_add_nc_u64 s[0:1], s[6:7], s[0:1]
	v_max_i64 v[6:7], v[10:11], v[6:7]
	v_lshl_add_u64 v[2:3], v[0:1], 4, s[0:1]
	s_sub_nc_u64 s[0:1], 0, s[10:11]
	v_max_i64 v[12:13], v[12:13], v[14:15]
	v_max_i64 v[10:11], s[0:1], 0
	s_add_nc_u64 s[0:1], s[12:13], s[10:11]
	global_load_b128 v[2:5], v[2:3], off
	v_not_b32_e32 v8, v8
	v_not_b32_e32 v9, v9
	s_delay_alu instid0(VALU_DEP_1) | instskip(SKIP_2) | instid1(VALU_DEP_2)
	v_add_nc_u64_e32 v[8:9], s[0:1], v[8:9]
	s_mul_u64 s[0:1], s[8:9], s[2:3]
	v_add_nc_u64_e32 v[0:1], v[0:1], v[6:7]
	v_add_nc_u64_e32 v[6:7], v[8:9], v[10:11]
	s_delay_alu instid0(VALU_DEP_1) | instskip(NEXT) | instid1(VALU_DEP_1)
	v_sub_nc_u64_e32 v[0:1], v[6:7], v[0:1]
	v_lshl_add_u64 v[0:1], v[0:1], 4, s[4:5]
	s_delay_alu instid0(VALU_DEP_1) | instskip(NEXT) | instid1(VALU_DEP_1)
	v_lshl_add_u64 v[0:1], v[12:13], 4, v[0:1]
	v_lshl_add_u64 v[0:1], s[0:1], 4, v[0:1]
	s_wait_xcnt 0x0
	s_wait_loadcnt 0x0
	global_atomic_add_f64 v[0:1], v[2:3], off scope:SCOPE_DEV
	s_wait_xcnt 0x0
	global_atomic_add_f64 v[0:1], v[4:5], off offset:8 scope:SCOPE_DEV
.LBB49_2:
	s_endpgm
	.section	.rodata,"a",@progbits
	.p2align	6, 0x0
	.amdhsa_kernel _ZN2at6native12_GLOBAL__N_136reflection_pad1d_backward_out_kernelIN3c107complexIdEEEEvPT_PKS6_lll
		.amdhsa_group_segment_fixed_size 0
		.amdhsa_private_segment_fixed_size 0
		.amdhsa_kernarg_size 296
		.amdhsa_user_sgpr_count 2
		.amdhsa_user_sgpr_dispatch_ptr 0
		.amdhsa_user_sgpr_queue_ptr 0
		.amdhsa_user_sgpr_kernarg_segment_ptr 1
		.amdhsa_user_sgpr_dispatch_id 0
		.amdhsa_user_sgpr_kernarg_preload_length 0
		.amdhsa_user_sgpr_kernarg_preload_offset 0
		.amdhsa_user_sgpr_private_segment_size 0
		.amdhsa_wavefront_size32 1
		.amdhsa_uses_dynamic_stack 0
		.amdhsa_enable_private_segment 0
		.amdhsa_system_sgpr_workgroup_id_x 1
		.amdhsa_system_sgpr_workgroup_id_y 1
		.amdhsa_system_sgpr_workgroup_id_z 1
		.amdhsa_system_sgpr_workgroup_info 0
		.amdhsa_system_vgpr_workitem_id 0
		.amdhsa_next_free_vgpr 16
		.amdhsa_next_free_sgpr 21
		.amdhsa_named_barrier_count 0
		.amdhsa_reserve_vcc 0
		.amdhsa_float_round_mode_32 0
		.amdhsa_float_round_mode_16_64 0
		.amdhsa_float_denorm_mode_32 3
		.amdhsa_float_denorm_mode_16_64 3
		.amdhsa_fp16_overflow 0
		.amdhsa_memory_ordered 1
		.amdhsa_forward_progress 1
		.amdhsa_inst_pref_size 4
		.amdhsa_round_robin_scheduling 0
		.amdhsa_exception_fp_ieee_invalid_op 0
		.amdhsa_exception_fp_denorm_src 0
		.amdhsa_exception_fp_ieee_div_zero 0
		.amdhsa_exception_fp_ieee_overflow 0
		.amdhsa_exception_fp_ieee_underflow 0
		.amdhsa_exception_fp_ieee_inexact 0
		.amdhsa_exception_int_div_zero 0
	.end_amdhsa_kernel
	.section	.text._ZN2at6native12_GLOBAL__N_136reflection_pad1d_backward_out_kernelIN3c107complexIdEEEEvPT_PKS6_lll,"axG",@progbits,_ZN2at6native12_GLOBAL__N_136reflection_pad1d_backward_out_kernelIN3c107complexIdEEEEvPT_PKS6_lll,comdat
.Lfunc_end49:
	.size	_ZN2at6native12_GLOBAL__N_136reflection_pad1d_backward_out_kernelIN3c107complexIdEEEEvPT_PKS6_lll, .Lfunc_end49-_ZN2at6native12_GLOBAL__N_136reflection_pad1d_backward_out_kernelIN3c107complexIdEEEEvPT_PKS6_lll
                                        ; -- End function
	.set _ZN2at6native12_GLOBAL__N_136reflection_pad1d_backward_out_kernelIN3c107complexIdEEEEvPT_PKS6_lll.num_vgpr, 16
	.set _ZN2at6native12_GLOBAL__N_136reflection_pad1d_backward_out_kernelIN3c107complexIdEEEEvPT_PKS6_lll.num_agpr, 0
	.set _ZN2at6native12_GLOBAL__N_136reflection_pad1d_backward_out_kernelIN3c107complexIdEEEEvPT_PKS6_lll.numbered_sgpr, 21
	.set _ZN2at6native12_GLOBAL__N_136reflection_pad1d_backward_out_kernelIN3c107complexIdEEEEvPT_PKS6_lll.num_named_barrier, 0
	.set _ZN2at6native12_GLOBAL__N_136reflection_pad1d_backward_out_kernelIN3c107complexIdEEEEvPT_PKS6_lll.private_seg_size, 0
	.set _ZN2at6native12_GLOBAL__N_136reflection_pad1d_backward_out_kernelIN3c107complexIdEEEEvPT_PKS6_lll.uses_vcc, 0
	.set _ZN2at6native12_GLOBAL__N_136reflection_pad1d_backward_out_kernelIN3c107complexIdEEEEvPT_PKS6_lll.uses_flat_scratch, 0
	.set _ZN2at6native12_GLOBAL__N_136reflection_pad1d_backward_out_kernelIN3c107complexIdEEEEvPT_PKS6_lll.has_dyn_sized_stack, 0
	.set _ZN2at6native12_GLOBAL__N_136reflection_pad1d_backward_out_kernelIN3c107complexIdEEEEvPT_PKS6_lll.has_recursion, 0
	.set _ZN2at6native12_GLOBAL__N_136reflection_pad1d_backward_out_kernelIN3c107complexIdEEEEvPT_PKS6_lll.has_indirect_call, 0
	.section	.AMDGPU.csdata,"",@progbits
; Kernel info:
; codeLenInByte = 448
; TotalNumSgprs: 21
; NumVgprs: 16
; ScratchSize: 0
; MemoryBound: 0
; FloatMode: 240
; IeeeMode: 1
; LDSByteSize: 0 bytes/workgroup (compile time only)
; SGPRBlocks: 0
; VGPRBlocks: 0
; NumSGPRsForWavesPerEU: 21
; NumVGPRsForWavesPerEU: 16
; NamedBarCnt: 0
; Occupancy: 16
; WaveLimiterHint : 0
; COMPUTE_PGM_RSRC2:SCRATCH_EN: 0
; COMPUTE_PGM_RSRC2:USER_SGPR: 2
; COMPUTE_PGM_RSRC2:TRAP_HANDLER: 0
; COMPUTE_PGM_RSRC2:TGID_X_EN: 1
; COMPUTE_PGM_RSRC2:TGID_Y_EN: 1
; COMPUTE_PGM_RSRC2:TGID_Z_EN: 1
; COMPUTE_PGM_RSRC2:TIDIG_COMP_CNT: 0
	.section	.text._ZN2at6native12_GLOBAL__N_130reflection_pad1d_backward_flatIN3c107complexIdEEEEvPT_PKS6_llll,"axG",@progbits,_ZN2at6native12_GLOBAL__N_130reflection_pad1d_backward_flatIN3c107complexIdEEEEvPT_PKS6_llll,comdat
	.globl	_ZN2at6native12_GLOBAL__N_130reflection_pad1d_backward_flatIN3c107complexIdEEEEvPT_PKS6_llll ; -- Begin function _ZN2at6native12_GLOBAL__N_130reflection_pad1d_backward_flatIN3c107complexIdEEEEvPT_PKS6_llll
	.p2align	8
	.type	_ZN2at6native12_GLOBAL__N_130reflection_pad1d_backward_flatIN3c107complexIdEEEEvPT_PKS6_llll,@function
_ZN2at6native12_GLOBAL__N_130reflection_pad1d_backward_flatIN3c107complexIdEEEEvPT_PKS6_llll: ; @_ZN2at6native12_GLOBAL__N_130reflection_pad1d_backward_flatIN3c107complexIdEEEEvPT_PKS6_llll
; %bb.0:
	s_load_b32 s2, s[0:1], 0x3c
	s_bfe_u32 s12, ttmp6, 0x4000c
	s_load_b256 s[4:11], s[0:1], 0x10
	v_mov_b32_e32 v2, 0
	s_add_co_i32 s12, s12, 1
	s_and_b32 s3, ttmp6, 15
	s_mul_i32 s12, ttmp9, s12
	s_getreg_b32 s13, hwreg(HW_REG_IB_STS2, 6, 4)
	v_mov_b32_e32 v1, v2
	s_add_co_i32 s3, s3, s12
	s_mov_b32 s12, exec_lo
	s_wait_kmcnt 0x0
	s_and_b32 s2, s2, 0xffff
	s_cmp_eq_u32 s13, 0
	s_mul_u64 s[10:11], s[10:11], s[8:9]
	s_cselect_b32 s3, ttmp9, s3
	s_delay_alu instid0(SALU_CYCLE_1) | instskip(SKIP_1) | instid1(VALU_DEP_1)
	v_mad_nc_u64_u32 v[0:1], s2, s3, v[0:1]
	s_mov_b32 s3, 0
	v_cmpx_gt_i64_e64 s[10:11], v[0:1]
	s_cbranch_execz .LBB50_13
; %bb.1:
	v_cvt_f32_u32_e32 v3, s8
	s_load_b128 s[12:15], s[0:1], 0x0
	s_wait_xcnt 0x0
	s_add_nc_u64 s[0:1], s[0:1], 48
	s_sub_co_i32 s16, 0, s8
	s_load_b32 s0, s[0:1], 0x0
	v_rcp_iflag_f32_e32 v3, v3
	s_lshl_b64 s[20:21], s[4:5], 1
	s_wait_xcnt 0x0
	s_mov_b32 s1, s3
	s_add_nc_u64 s[20:21], s[20:21], -2
	s_sub_nc_u64 s[6:7], 0, s[6:7]
	s_ashr_i32 s24, s9, 31
	s_ashr_i32 s26, s21, 31
	v_nop
	v_mul_f32_e32 v3, 0x4f7ffffe, v3
	s_mov_b32 s30, 0
	s_delay_alu instid0(VALU_DEP_1) | instskip(NEXT) | instid1(VALU_DEP_1)
	v_cvt_u32_f32_e32 v3, v3
	v_mul_lo_u32 v4, s16, v3
	s_sub_nc_u64 s[16:17], 0, s[8:9]
	s_wait_kmcnt 0x0
	s_mul_u64 s[18:19], s[2:3], s[0:1]
	v_cmp_gt_i64_e64 s1, s[20:21], 0
	s_lshl_b64 s[22:23], s[18:19], 4
	v_mul_hi_u32 v6, v3, v4
	v_lshl_add_u64 v[4:5], v[0:1], 4, s[14:15]
	s_mov_b64 s[14:15], 0xffffffff
	s_delay_alu instid0(VALU_DEP_1) | instskip(NEXT) | instid1(VALU_DEP_3)
	v_add_nc_u64_e32 v[4:5], 8, v[4:5]
	v_add_nc_u32_e32 v12, v3, v6
	s_branch .LBB50_4
.LBB50_2:                               ;   in Loop: Header=BB50_4 Depth=1
	s_or_b32 exec_lo, exec_lo, s0
	s_delay_alu instid0(VALU_DEP_1) | instskip(NEXT) | instid1(VALU_DEP_1)
	v_ashrrev_i32_e32 v3, 31, v11
	v_and_b32_e32 v9, s21, v3
	v_and_b32_e32 v8, s20, v3
	s_delay_alu instid0(VALU_DEP_1) | instskip(NEXT) | instid1(VALU_DEP_1)
	v_add_nc_u64_e32 v[8:9], v[8:9], v[10:11]
	v_sub_nc_u64_e32 v[10:11], s[20:21], v[8:9]
	v_cmp_gt_i64_e32 vcc_lo, s[4:5], v[8:9]
	s_delay_alu instid0(VALU_DEP_2)
	v_dual_cndmask_b32 v9, v11, v9 :: v_dual_cndmask_b32 v8, v10, v8
.LBB50_3:                               ;   in Loop: Header=BB50_4 Depth=1
	global_load_b128 v[14:17], v[4:5], off offset:-8
	v_mul_u64_e32 v[6:7], s[4:5], v[6:7]
	v_add_nc_u64_e32 v[0:1], s[18:19], v[0:1]
	s_wait_xcnt 0x0
	v_add_nc_u64_e32 v[4:5], s[22:23], v[4:5]
	s_delay_alu instid0(VALU_DEP_2) | instskip(SKIP_1) | instid1(VALU_DEP_4)
	v_cmp_le_i64_e32 vcc_lo, s[10:11], v[0:1]
	s_or_b32 s30, vcc_lo, s30
	v_lshl_add_u64 v[6:7], v[6:7], 4, s[12:13]
	s_delay_alu instid0(VALU_DEP_1)
	v_lshl_add_u64 v[6:7], v[8:9], 4, v[6:7]
	s_wait_loadcnt 0x0
	global_atomic_add_f64 v[6:7], v[14:15], off scope:SCOPE_DEV
	s_wait_xcnt 0x0
	global_atomic_add_f64 v[6:7], v[16:17], off offset:8 scope:SCOPE_DEV
	s_wait_xcnt 0x0
	s_and_not1_b32 exec_lo, exec_lo, s30
	s_cbranch_execz .LBB50_13
.LBB50_4:                               ; =>This Inner Loop Header: Depth=1
	v_or_b32_e32 v3, s9, v1
                                        ; implicit-def: $vgpr6_vgpr7
	s_mov_b32 s0, exec_lo
	s_delay_alu instid0(VALU_DEP_1)
	v_cmpx_ne_u64_e32 0, v[2:3]
	s_xor_b32 s27, exec_lo, s0
	s_cbranch_execnz .LBB50_7
; %bb.5:                                ;   in Loop: Header=BB50_4 Depth=1
	s_and_not1_saveexec_b32 s0, s27
	s_cbranch_execnz .LBB50_8
.LBB50_6:                               ;   in Loop: Header=BB50_4 Depth=1
	s_or_b32 exec_lo, exec_lo, s0
	v_mov_b64_e32 v[8:9], 0
	s_and_not1_b32 vcc_lo, exec_lo, s1
	s_cbranch_vccnz .LBB50_3
	s_branch .LBB50_9
.LBB50_7:                               ;   in Loop: Header=BB50_4 Depth=1
	s_mov_b32 s25, s24
	v_dual_mov_b32 v11, v2 :: v_dual_ashrrev_i32 v6, 31, v1
	s_add_nc_u64 s[28:29], s[8:9], s[24:25]
	s_delay_alu instid0(SALU_CYCLE_1) | instskip(NEXT) | instid1(VALU_DEP_1)
	s_xor_b64 s[28:29], s[28:29], s[24:25]
	v_mov_b32_e32 v7, v6
	s_cvt_f32_u32 s0, s28
	s_cvt_f32_u32 s2, s29
	s_sub_nc_u64 s[36:37], 0, s[28:29]
	s_delay_alu instid0(VALU_DEP_1) | instskip(NEXT) | instid1(SALU_CYCLE_1)
	v_add_nc_u64_e32 v[8:9], v[0:1], v[6:7]
	s_fmamk_f32 s0, s2, 0x4f800000, s0
	v_mov_b32_e32 v17, v2
	s_delay_alu instid0(SALU_CYCLE_2) | instskip(NEXT) | instid1(VALU_DEP_2)
	v_s_rcp_f32 s0, s0
	v_xor_b32_e32 v10, v8, v6
	s_delay_alu instid0(VALU_DEP_3) | instskip(NEXT) | instid1(TRANS32_DEP_1)
	v_dual_mov_b32 v21, v2 :: v_dual_bitop2_b32 v16, v9, v6 bitop3:0x14
	s_mul_f32 s0, s0, 0x5f7ffffc
	s_delay_alu instid0(SALU_CYCLE_3) | instskip(NEXT) | instid1(SALU_CYCLE_3)
	s_mul_f32 s2, s0, 0x2f800000
	s_trunc_f32 s2, s2
	s_delay_alu instid0(SALU_CYCLE_3) | instskip(SKIP_1) | instid1(SALU_CYCLE_2)
	s_fmamk_f32 s0, s2, 0xcf800000, s0
	s_cvt_u32_f32 s35, s2
	s_cvt_u32_f32 s34, s0
	s_delay_alu instid0(SALU_CYCLE_3) | instskip(NEXT) | instid1(SALU_CYCLE_1)
	s_mul_u64 s[38:39], s[36:37], s[34:35]
	s_mul_hi_u32 s41, s34, s39
	s_mul_i32 s40, s34, s39
	s_mul_hi_u32 s2, s34, s38
	s_mul_i32 s25, s35, s38
	s_add_nc_u64 s[40:41], s[2:3], s[40:41]
	s_mul_hi_u32 s0, s35, s38
	s_mul_hi_u32 s31, s35, s39
	s_add_co_u32 s2, s40, s25
	s_add_co_ci_u32 s2, s41, s0
	s_mul_i32 s38, s35, s39
	s_add_co_ci_u32 s39, s31, 0
	s_delay_alu instid0(SALU_CYCLE_1) | instskip(NEXT) | instid1(SALU_CYCLE_1)
	s_add_nc_u64 s[38:39], s[2:3], s[38:39]
	s_add_co_u32 s34, s34, s38
	s_cselect_b32 s0, -1, 0
	s_delay_alu instid0(SALU_CYCLE_1) | instskip(SKIP_1) | instid1(SALU_CYCLE_1)
	s_cmp_lg_u32 s0, 0
	s_add_co_ci_u32 s35, s35, s39
	s_mul_u64 s[36:37], s[36:37], s[34:35]
	s_delay_alu instid0(SALU_CYCLE_1)
	s_mul_hi_u32 s39, s34, s37
	s_mul_i32 s38, s34, s37
	s_mul_hi_u32 s2, s34, s36
	s_mul_i32 s25, s35, s36
	s_add_nc_u64 s[38:39], s[2:3], s[38:39]
	s_mul_hi_u32 s0, s35, s36
	s_mul_hi_u32 s31, s35, s37
	s_add_co_u32 s2, s38, s25
	s_add_co_ci_u32 s2, s39, s0
	s_mul_i32 s36, s35, s37
	s_add_co_ci_u32 s37, s31, 0
	s_delay_alu instid0(SALU_CYCLE_1) | instskip(NEXT) | instid1(SALU_CYCLE_1)
	s_add_nc_u64 s[36:37], s[2:3], s[36:37]
	s_add_co_u32 s0, s34, s36
	s_cselect_b32 s2, -1, 0
	v_mul_hi_u32 v20, v10, s0
	s_cmp_lg_u32 s2, 0
	s_add_co_ci_u32 s2, s35, s37
	s_and_b64 s[34:35], s[0:1], s[14:15]
	v_mul_u64_e32 v[14:15], s[2:3], v[10:11]
	v_mul_u64_e32 v[8:9], s[34:35], v[16:17]
	v_mul_u64_e32 v[18:19], s[2:3], v[16:17]
	s_delay_alu instid0(VALU_DEP_3) | instskip(NEXT) | instid1(VALU_DEP_1)
	v_add_nc_u64_e32 v[14:15], v[20:21], v[14:15]
	v_add_co_u32 v3, vcc_lo, v14, v8
	s_delay_alu instid0(VALU_DEP_2) | instskip(NEXT) | instid1(VALU_DEP_4)
	v_add_co_ci_u32_e32 v20, vcc_lo, v15, v9, vcc_lo
	v_add_co_ci_u32_e32 v19, vcc_lo, 0, v19, vcc_lo
	s_delay_alu instid0(VALU_DEP_1) | instskip(NEXT) | instid1(VALU_DEP_1)
	v_add_nc_u64_e32 v[8:9], v[20:21], v[18:19]
	v_mul_u64_e32 v[14:15], s[28:29], v[8:9]
	s_delay_alu instid0(VALU_DEP_1) | instskip(NEXT) | instid1(VALU_DEP_2)
	v_sub_nc_u32_e32 v3, v16, v15
	v_sub_co_u32 v7, vcc_lo, v10, v14
	s_delay_alu instid0(VALU_DEP_1) | instskip(NEXT) | instid1(VALU_DEP_3)
	v_sub_co_ci_u32_e64 v13, null, v16, v15, vcc_lo
	v_subrev_co_ci_u32_e64 v3, null, s29, v3, vcc_lo
	s_delay_alu instid0(VALU_DEP_3) | instskip(SKIP_1) | instid1(VALU_DEP_3)
	v_sub_co_u32 v10, s0, v7, s28
	v_add_nc_u64_e32 v[14:15], 1, v[8:9]
	v_subrev_co_ci_u32_e64 v3, null, 0, v3, s0
	s_delay_alu instid0(VALU_DEP_3) | instskip(SKIP_1) | instid1(VALU_DEP_3)
	v_cmp_le_u32_e32 vcc_lo, s28, v10
	v_cndmask_b32_e64 v10, 0, -1, vcc_lo
	v_cmp_le_u32_e32 vcc_lo, s29, v3
	v_cndmask_b32_e64 v11, 0, -1, vcc_lo
	;; [unrolled: 2-line block ×4, first 2 shown]
	v_cmp_eq_u32_e32 vcc_lo, s29, v3
	v_cndmask_b32_e32 v3, v11, v10, vcc_lo
	v_cmp_eq_u32_e32 vcc_lo, s29, v13
	v_add_nc_u64_e32 v[10:11], 2, v[8:9]
	v_cndmask_b32_e32 v7, v16, v7, vcc_lo
	s_delay_alu instid0(VALU_DEP_4) | instskip(NEXT) | instid1(VALU_DEP_2)
	v_cmp_ne_u32_e32 vcc_lo, 0, v3
	v_cmp_ne_u32_e64 s0, 0, v7
	s_delay_alu instid0(VALU_DEP_4) | instskip(NEXT) | instid1(VALU_DEP_1)
	v_dual_cndmask_b32 v3, v15, v11, vcc_lo :: v_dual_cndmask_b32 v7, v14, v10, vcc_lo
	v_dual_cndmask_b32 v3, v9, v3, s0 :: v_dual_bitop2_b32 v6, s24, v6 bitop3:0x14
	s_delay_alu instid0(VALU_DEP_1) | instskip(NEXT) | instid1(VALU_DEP_2)
	v_dual_cndmask_b32 v8, v8, v7, s0 :: v_dual_mov_b32 v7, v6
	v_xor_b32_e32 v9, v3, v6
	s_delay_alu instid0(VALU_DEP_2) | instskip(NEXT) | instid1(VALU_DEP_1)
	v_xor_b32_e32 v8, v8, v6
	v_sub_nc_u64_e32 v[6:7], v[8:9], v[6:7]
	s_and_not1_saveexec_b32 s0, s27
	s_cbranch_execz .LBB50_6
.LBB50_8:                               ;   in Loop: Header=BB50_4 Depth=1
	v_mul_hi_u32 v3, v0, v12
	s_delay_alu instid0(VALU_DEP_1) | instskip(NEXT) | instid1(VALU_DEP_1)
	v_mul_lo_u32 v6, v3, s8
	v_dual_add_nc_u32 v7, 1, v3 :: v_dual_sub_nc_u32 v6, v0, v6
	s_delay_alu instid0(VALU_DEP_1) | instskip(SKIP_1) | instid1(VALU_DEP_2)
	v_subrev_nc_u32_e32 v8, s8, v6
	v_cmp_le_u32_e32 vcc_lo, s8, v6
	v_dual_cndmask_b32 v6, v6, v8 :: v_dual_cndmask_b32 v3, v3, v7
	s_delay_alu instid0(VALU_DEP_1) | instskip(NEXT) | instid1(VALU_DEP_2)
	v_cmp_le_u32_e32 vcc_lo, s8, v6
	v_add_nc_u32_e32 v7, 1, v3
	s_delay_alu instid0(VALU_DEP_1)
	v_dual_cndmask_b32 v6, v3, v7 :: v_dual_mov_b32 v7, v2
	s_or_b32 exec_lo, exec_lo, s0
	v_mov_b64_e32 v[8:9], 0
	s_and_not1_b32 vcc_lo, exec_lo, s1
	s_cbranch_vccnz .LBB50_3
.LBB50_9:                               ;   in Loop: Header=BB50_4 Depth=1
	v_add_nc_u64_e32 v[8:9], s[6:7], v[0:1]
                                        ; implicit-def: $vgpr10_vgpr11
	s_mov_b32 s0, exec_lo
	s_delay_alu instid0(VALU_DEP_1) | instskip(NEXT) | instid1(VALU_DEP_1)
	v_mad_nc_u64_u32 v[8:9], s16, v6, v[8:9]
	v_mad_u32 v3, s17, v6, v9
	s_delay_alu instid0(VALU_DEP_1) | instskip(NEXT) | instid1(VALU_DEP_1)
	v_mad_u32 v9, s16, v7, v3
	v_or_b32_e32 v3, s21, v9
	s_delay_alu instid0(VALU_DEP_1)
	v_cmpx_ne_u64_e32 0, v[2:3]
	s_xor_b32 s25, exec_lo, s0
	s_cbranch_execz .LBB50_11
; %bb.10:                               ;   in Loop: Header=BB50_4 Depth=1
	s_mov_b32 s27, s26
	v_dual_mov_b32 v15, v2 :: v_dual_ashrrev_i32 v10, 31, v9
	s_add_nc_u64 s[28:29], s[20:21], s[26:27]
	v_mov_b32_e32 v23, v2
	s_xor_b64 s[28:29], s[28:29], s[26:27]
	s_delay_alu instid0(VALU_DEP_2) | instskip(SKIP_3) | instid1(VALU_DEP_1)
	v_mov_b32_e32 v11, v10
	s_cvt_f32_u32 s0, s28
	s_cvt_f32_u32 s2, s29
	s_sub_nc_u64 s[36:37], 0, s[28:29]
	v_add_nc_u64_e32 v[8:9], v[8:9], v[10:11]
	s_delay_alu instid0(SALU_CYCLE_1) | instskip(SKIP_1) | instid1(SALU_CYCLE_2)
	s_fmamk_f32 s0, s2, 0x4f800000, s0
	v_mov_b32_e32 v19, v2
	v_s_rcp_f32 s0, s0
	s_delay_alu instid0(VALU_DEP_2) | instskip(NEXT) | instid1(VALU_DEP_3)
	v_xor_b32_e32 v14, v8, v10
	v_xor_b32_e32 v18, v9, v10
	s_delay_alu instid0(TRANS32_DEP_1) | instskip(NEXT) | instid1(SALU_CYCLE_3)
	s_mul_f32 s0, s0, 0x5f7ffffc
	s_mul_f32 s2, s0, 0x2f800000
	s_delay_alu instid0(SALU_CYCLE_3) | instskip(NEXT) | instid1(SALU_CYCLE_3)
	s_trunc_f32 s2, s2
	s_fmamk_f32 s0, s2, 0xcf800000, s0
	s_cvt_u32_f32 s35, s2
	s_delay_alu instid0(SALU_CYCLE_2) | instskip(NEXT) | instid1(SALU_CYCLE_3)
	s_cvt_u32_f32 s34, s0
	s_mul_u64 s[38:39], s[36:37], s[34:35]
	s_delay_alu instid0(SALU_CYCLE_1)
	s_mul_hi_u32 s41, s34, s39
	s_mul_i32 s40, s34, s39
	s_mul_hi_u32 s2, s34, s38
	s_mul_i32 s27, s35, s38
	s_add_nc_u64 s[40:41], s[2:3], s[40:41]
	s_mul_hi_u32 s0, s35, s38
	s_mul_hi_u32 s31, s35, s39
	s_add_co_u32 s2, s40, s27
	s_add_co_ci_u32 s2, s41, s0
	s_mul_i32 s38, s35, s39
	s_add_co_ci_u32 s39, s31, 0
	s_delay_alu instid0(SALU_CYCLE_1) | instskip(NEXT) | instid1(SALU_CYCLE_1)
	s_add_nc_u64 s[38:39], s[2:3], s[38:39]
	s_add_co_u32 s34, s34, s38
	s_cselect_b32 s0, -1, 0
	s_delay_alu instid0(SALU_CYCLE_1) | instskip(SKIP_1) | instid1(SALU_CYCLE_1)
	s_cmp_lg_u32 s0, 0
	s_add_co_ci_u32 s35, s35, s39
	s_mul_u64 s[36:37], s[36:37], s[34:35]
	s_delay_alu instid0(SALU_CYCLE_1)
	s_mul_hi_u32 s39, s34, s37
	s_mul_i32 s38, s34, s37
	s_mul_hi_u32 s2, s34, s36
	s_mul_i32 s27, s35, s36
	s_add_nc_u64 s[38:39], s[2:3], s[38:39]
	s_mul_hi_u32 s0, s35, s36
	s_mul_hi_u32 s31, s35, s37
	s_add_co_u32 s2, s38, s27
	s_add_co_ci_u32 s2, s39, s0
	s_mul_i32 s36, s35, s37
	s_add_co_ci_u32 s37, s31, 0
	s_delay_alu instid0(SALU_CYCLE_1) | instskip(NEXT) | instid1(SALU_CYCLE_1)
	s_add_nc_u64 s[36:37], s[2:3], s[36:37]
	s_add_co_u32 s0, s34, s36
	s_cselect_b32 s2, -1, 0
	v_mul_hi_u32 v22, v14, s0
	s_cmp_lg_u32 s2, 0
	s_add_co_ci_u32 s2, s35, s37
	s_and_b64 s[34:35], s[0:1], s[14:15]
	v_mul_u64_e32 v[16:17], s[2:3], v[14:15]
	v_mul_u64_e32 v[8:9], s[34:35], v[18:19]
	;; [unrolled: 1-line block ×3, first 2 shown]
	s_delay_alu instid0(VALU_DEP_3) | instskip(NEXT) | instid1(VALU_DEP_1)
	v_add_nc_u64_e32 v[16:17], v[22:23], v[16:17]
	v_add_co_u32 v3, vcc_lo, v16, v8
	s_delay_alu instid0(VALU_DEP_2) | instskip(NEXT) | instid1(VALU_DEP_4)
	v_add_co_ci_u32_e32 v22, vcc_lo, v17, v9, vcc_lo
	v_add_co_ci_u32_e32 v21, vcc_lo, 0, v21, vcc_lo
	s_delay_alu instid0(VALU_DEP_1) | instskip(NEXT) | instid1(VALU_DEP_1)
	v_add_nc_u64_e32 v[8:9], v[22:23], v[20:21]
	v_mul_u64_e32 v[8:9], s[28:29], v[8:9]
	s_delay_alu instid0(VALU_DEP_1) | instskip(NEXT) | instid1(VALU_DEP_1)
	v_sub_co_u32 v8, vcc_lo, v14, v8
	v_cmp_le_u32_e64 s0, s28, v8
	s_delay_alu instid0(VALU_DEP_1) | instskip(NEXT) | instid1(VALU_DEP_4)
	v_cndmask_b32_e64 v15, 0, -1, s0
	v_sub_nc_u32_e32 v3, v18, v9
	v_sub_co_ci_u32_e64 v9, null, v18, v9, vcc_lo
	s_delay_alu instid0(VALU_DEP_2) | instskip(SKIP_1) | instid1(VALU_DEP_1)
	v_subrev_co_ci_u32_e64 v3, null, s29, v3, vcc_lo
	v_sub_co_u32 v13, vcc_lo, v8, s28
	v_subrev_co_ci_u32_e64 v14, null, 0, v3, vcc_lo
	s_delay_alu instid0(VALU_DEP_2) | instskip(SKIP_2) | instid1(VALU_DEP_3)
	v_cmp_le_u32_e64 s0, s28, v13
	v_subrev_co_ci_u32_e64 v3, null, s29, v3, vcc_lo
	v_cmp_le_u32_e32 vcc_lo, s29, v9
	v_cndmask_b32_e64 v16, 0, -1, s0
	v_cmp_le_u32_e64 s0, s29, v14
	v_cndmask_b32_e64 v18, 0, -1, vcc_lo
	v_cmp_eq_u32_e32 vcc_lo, s29, v14
	s_delay_alu instid0(VALU_DEP_3) | instskip(SKIP_1) | instid1(VALU_DEP_2)
	v_cndmask_b32_e64 v17, 0, -1, s0
	v_cmp_eq_u32_e64 s0, s29, v9
	v_cndmask_b32_e32 v16, v17, v16, vcc_lo
	v_sub_co_u32 v17, vcc_lo, v13, s28
	s_delay_alu instid0(VALU_DEP_1) | instskip(NEXT) | instid1(VALU_DEP_3)
	v_subrev_co_ci_u32_e64 v3, null, 0, v3, vcc_lo
	v_cmp_ne_u32_e32 vcc_lo, 0, v16
	v_cndmask_b32_e64 v15, v18, v15, s0
	s_delay_alu instid0(VALU_DEP_3) | instskip(NEXT) | instid1(VALU_DEP_2)
	v_dual_cndmask_b32 v3, v14, v3, vcc_lo :: v_dual_cndmask_b32 v13, v13, v17, vcc_lo
	v_cmp_ne_u32_e32 vcc_lo, 0, v15
	s_delay_alu instid0(VALU_DEP_2) | instskip(NEXT) | instid1(VALU_DEP_1)
	v_dual_cndmask_b32 v3, v9, v3 :: v_dual_cndmask_b32 v8, v8, v13
	v_xor_b32_e32 v9, v3, v10
	s_delay_alu instid0(VALU_DEP_2) | instskip(NEXT) | instid1(VALU_DEP_1)
	v_xor_b32_e32 v8, v8, v10
	v_sub_nc_u64_e32 v[10:11], v[8:9], v[10:11]
                                        ; implicit-def: $vgpr8_vgpr9
.LBB50_11:                              ;   in Loop: Header=BB50_4 Depth=1
	s_and_not1_saveexec_b32 s0, s25
	s_cbranch_execz .LBB50_2
; %bb.12:                               ;   in Loop: Header=BB50_4 Depth=1
	v_cvt_f32_u32_e32 v3, s20
	s_sub_co_i32 s2, 0, s20
	v_mov_b32_e32 v11, v2
	s_delay_alu instid0(VALU_DEP_2) | instskip(SKIP_1) | instid1(TRANS32_DEP_1)
	v_rcp_iflag_f32_e32 v3, v3
	v_nop
	v_mul_f32_e32 v3, 0x4f7ffffe, v3
	s_delay_alu instid0(VALU_DEP_1) | instskip(NEXT) | instid1(VALU_DEP_1)
	v_cvt_u32_f32_e32 v3, v3
	v_mul_lo_u32 v9, s2, v3
	s_delay_alu instid0(VALU_DEP_1) | instskip(NEXT) | instid1(VALU_DEP_1)
	v_mul_hi_u32 v9, v3, v9
	v_add_nc_u32_e32 v3, v3, v9
	s_delay_alu instid0(VALU_DEP_1) | instskip(NEXT) | instid1(VALU_DEP_1)
	v_mul_hi_u32 v3, v8, v3
	v_mul_lo_u32 v3, v3, s20
	s_delay_alu instid0(VALU_DEP_1) | instskip(NEXT) | instid1(VALU_DEP_1)
	v_sub_nc_u32_e32 v3, v8, v3
	v_subrev_nc_u32_e32 v8, s20, v3
	v_cmp_le_u32_e32 vcc_lo, s20, v3
	s_delay_alu instid0(VALU_DEP_2) | instskip(NEXT) | instid1(VALU_DEP_1)
	v_cndmask_b32_e32 v3, v3, v8, vcc_lo
	v_subrev_nc_u32_e32 v8, s20, v3
	v_cmp_le_u32_e32 vcc_lo, s20, v3
	s_delay_alu instid0(VALU_DEP_2)
	v_cndmask_b32_e32 v10, v3, v8, vcc_lo
	s_branch .LBB50_2
.LBB50_13:
	s_endpgm
	.section	.rodata,"a",@progbits
	.p2align	6, 0x0
	.amdhsa_kernel _ZN2at6native12_GLOBAL__N_130reflection_pad1d_backward_flatIN3c107complexIdEEEEvPT_PKS6_llll
		.amdhsa_group_segment_fixed_size 0
		.amdhsa_private_segment_fixed_size 0
		.amdhsa_kernarg_size 304
		.amdhsa_user_sgpr_count 2
		.amdhsa_user_sgpr_dispatch_ptr 0
		.amdhsa_user_sgpr_queue_ptr 0
		.amdhsa_user_sgpr_kernarg_segment_ptr 1
		.amdhsa_user_sgpr_dispatch_id 0
		.amdhsa_user_sgpr_kernarg_preload_length 0
		.amdhsa_user_sgpr_kernarg_preload_offset 0
		.amdhsa_user_sgpr_private_segment_size 0
		.amdhsa_wavefront_size32 1
		.amdhsa_uses_dynamic_stack 0
		.amdhsa_enable_private_segment 0
		.amdhsa_system_sgpr_workgroup_id_x 1
		.amdhsa_system_sgpr_workgroup_id_y 0
		.amdhsa_system_sgpr_workgroup_id_z 0
		.amdhsa_system_sgpr_workgroup_info 0
		.amdhsa_system_vgpr_workitem_id 0
		.amdhsa_next_free_vgpr 24
		.amdhsa_next_free_sgpr 42
		.amdhsa_named_barrier_count 0
		.amdhsa_reserve_vcc 1
		.amdhsa_float_round_mode_32 0
		.amdhsa_float_round_mode_16_64 0
		.amdhsa_float_denorm_mode_32 3
		.amdhsa_float_denorm_mode_16_64 3
		.amdhsa_fp16_overflow 0
		.amdhsa_memory_ordered 1
		.amdhsa_forward_progress 1
		.amdhsa_inst_pref_size 15
		.amdhsa_round_robin_scheduling 0
		.amdhsa_exception_fp_ieee_invalid_op 0
		.amdhsa_exception_fp_denorm_src 0
		.amdhsa_exception_fp_ieee_div_zero 0
		.amdhsa_exception_fp_ieee_overflow 0
		.amdhsa_exception_fp_ieee_underflow 0
		.amdhsa_exception_fp_ieee_inexact 0
		.amdhsa_exception_int_div_zero 0
	.end_amdhsa_kernel
	.section	.text._ZN2at6native12_GLOBAL__N_130reflection_pad1d_backward_flatIN3c107complexIdEEEEvPT_PKS6_llll,"axG",@progbits,_ZN2at6native12_GLOBAL__N_130reflection_pad1d_backward_flatIN3c107complexIdEEEEvPT_PKS6_llll,comdat
.Lfunc_end50:
	.size	_ZN2at6native12_GLOBAL__N_130reflection_pad1d_backward_flatIN3c107complexIdEEEEvPT_PKS6_llll, .Lfunc_end50-_ZN2at6native12_GLOBAL__N_130reflection_pad1d_backward_flatIN3c107complexIdEEEEvPT_PKS6_llll
                                        ; -- End function
	.set _ZN2at6native12_GLOBAL__N_130reflection_pad1d_backward_flatIN3c107complexIdEEEEvPT_PKS6_llll.num_vgpr, 24
	.set _ZN2at6native12_GLOBAL__N_130reflection_pad1d_backward_flatIN3c107complexIdEEEEvPT_PKS6_llll.num_agpr, 0
	.set _ZN2at6native12_GLOBAL__N_130reflection_pad1d_backward_flatIN3c107complexIdEEEEvPT_PKS6_llll.numbered_sgpr, 42
	.set _ZN2at6native12_GLOBAL__N_130reflection_pad1d_backward_flatIN3c107complexIdEEEEvPT_PKS6_llll.num_named_barrier, 0
	.set _ZN2at6native12_GLOBAL__N_130reflection_pad1d_backward_flatIN3c107complexIdEEEEvPT_PKS6_llll.private_seg_size, 0
	.set _ZN2at6native12_GLOBAL__N_130reflection_pad1d_backward_flatIN3c107complexIdEEEEvPT_PKS6_llll.uses_vcc, 1
	.set _ZN2at6native12_GLOBAL__N_130reflection_pad1d_backward_flatIN3c107complexIdEEEEvPT_PKS6_llll.uses_flat_scratch, 0
	.set _ZN2at6native12_GLOBAL__N_130reflection_pad1d_backward_flatIN3c107complexIdEEEEvPT_PKS6_llll.has_dyn_sized_stack, 0
	.set _ZN2at6native12_GLOBAL__N_130reflection_pad1d_backward_flatIN3c107complexIdEEEEvPT_PKS6_llll.has_recursion, 0
	.set _ZN2at6native12_GLOBAL__N_130reflection_pad1d_backward_flatIN3c107complexIdEEEEvPT_PKS6_llll.has_indirect_call, 0
	.section	.AMDGPU.csdata,"",@progbits
; Kernel info:
; codeLenInByte = 1916
; TotalNumSgprs: 44
; NumVgprs: 24
; ScratchSize: 0
; MemoryBound: 0
; FloatMode: 240
; IeeeMode: 1
; LDSByteSize: 0 bytes/workgroup (compile time only)
; SGPRBlocks: 0
; VGPRBlocks: 1
; NumSGPRsForWavesPerEU: 44
; NumVGPRsForWavesPerEU: 24
; NamedBarCnt: 0
; Occupancy: 16
; WaveLimiterHint : 0
; COMPUTE_PGM_RSRC2:SCRATCH_EN: 0
; COMPUTE_PGM_RSRC2:USER_SGPR: 2
; COMPUTE_PGM_RSRC2:TRAP_HANDLER: 0
; COMPUTE_PGM_RSRC2:TGID_X_EN: 1
; COMPUTE_PGM_RSRC2:TGID_Y_EN: 0
; COMPUTE_PGM_RSRC2:TGID_Z_EN: 0
; COMPUTE_PGM_RSRC2:TIDIG_COMP_CNT: 0
	.section	.text._ZN2at6native12_GLOBAL__N_136reflection_pad1d_backward_out_kernelIN3c107complexIfEEEEvPT_PKS6_lll,"axG",@progbits,_ZN2at6native12_GLOBAL__N_136reflection_pad1d_backward_out_kernelIN3c107complexIfEEEEvPT_PKS6_lll,comdat
	.globl	_ZN2at6native12_GLOBAL__N_136reflection_pad1d_backward_out_kernelIN3c107complexIfEEEEvPT_PKS6_lll ; -- Begin function _ZN2at6native12_GLOBAL__N_136reflection_pad1d_backward_out_kernelIN3c107complexIfEEEEvPT_PKS6_lll
	.p2align	8
	.type	_ZN2at6native12_GLOBAL__N_136reflection_pad1d_backward_out_kernelIN3c107complexIfEEEEvPT_PKS6_lll,@function
_ZN2at6native12_GLOBAL__N_136reflection_pad1d_backward_out_kernelIN3c107complexIfEEEEvPT_PKS6_lll: ; @_ZN2at6native12_GLOBAL__N_136reflection_pad1d_backward_out_kernelIN3c107complexIfEEEEvPT_PKS6_lll
; %bb.0:
	s_clause 0x2
	s_load_b32 s3, s[0:1], 0x34
	s_load_b64 s[14:15], s[0:1], 0x20
	s_load_b256 s[4:11], s[0:1], 0x0
	s_bfe_u32 s2, ttmp6, 0x4000c
	s_and_b32 s12, ttmp6, 15
	s_add_co_i32 s13, s2, 1
	s_getreg_b32 s2, hwreg(HW_REG_IB_STS2, 6, 4)
	s_mul_i32 s13, ttmp9, s13
	v_mov_b32_e32 v1, 0
	s_add_co_i32 s12, s12, s13
	s_mov_b32 s16, exec_lo
	s_wait_kmcnt 0x0
	s_and_b32 s3, s3, 0xffff
	s_cmp_eq_u32 s2, 0
	s_cselect_b32 s12, ttmp9, s12
	s_delay_alu instid0(SALU_CYCLE_1)
	v_mad_nc_u64_u32 v[0:1], s3, s12, v[0:1]
	s_add_nc_u64 s[12:13], s[10:11], s[8:9]
	s_mov_b32 s3, 0
	s_add_nc_u64 s[14:15], s[12:13], s[14:15]
	s_delay_alu instid0(VALU_DEP_1) | instid1(SALU_CYCLE_1)
	v_cmpx_gt_i64_e64 s[14:15], v[0:1]
	s_cbranch_execz .LBB51_2
; %bb.1:
	s_add_nc_u64 s[0:1], s[0:1], 40
	s_bfe_u32 s16, ttmp6, 0x40010
	s_load_b32 s0, s[0:1], 0x4
	s_bfe_u32 s19, ttmp6, 0x40014
	s_wait_xcnt 0x0
	s_and_b32 s1, ttmp7, 0xffff
	s_lshr_b32 s18, ttmp7, 16
	s_add_co_i32 s16, s16, 1
	s_add_co_i32 s19, s19, 1
	s_bfe_u32 s17, ttmp6, 0x40004
	s_bfe_u32 s20, ttmp6, 0x40008
	s_mul_i32 s16, s1, s16
	s_mul_i32 s19, s18, s19
	s_add_co_i32 s17, s17, s16
	s_add_co_i32 s20, s20, s19
	s_cmp_eq_u32 s2, 0
	v_sub_nc_u64_e64 v[4:5], v[0:1], s[12:13]
	s_cselect_b32 s2, s18, s20
	s_cselect_b32 s1, s1, s17
	v_max_i64 v[6:7], s[10:11], 0
	v_sub_nc_u64_e64 v[10:11], v[0:1], s[10:11]
	s_delay_alu instid0(VALU_DEP_3)
	v_add_nc_u64_e32 v[8:9], 1, v[4:5]
	s_wait_kmcnt 0x0
	s_mul_i32 s0, s0, s2
	v_not_b32_e32 v5, v5
	s_add_co_i32 s2, s0, s1
	v_not_b32_e32 v4, v4
	s_mul_u64 s[0:1], s[14:15], s[2:3]
	v_sub_nc_u64_e32 v[12:13], 0, v[10:11]
	s_lshl_b64 s[0:1], s[0:1], 3
	s_delay_alu instid0(SALU_CYCLE_1) | instskip(SKIP_3) | instid1(VALU_DEP_3)
	s_add_nc_u64 s[0:1], s[6:7], s[0:1]
	v_max_i64 v[4:5], v[8:9], v[4:5]
	v_lshl_add_u64 v[2:3], v[0:1], 3, s[0:1]
	s_sub_nc_u64 s[0:1], 0, s[10:11]
	v_max_i64 v[10:11], v[10:11], v[12:13]
	v_max_i64 v[8:9], s[0:1], 0
	s_add_nc_u64 s[0:1], s[12:13], s[10:11]
	global_load_b64 v[2:3], v[2:3], off
	v_not_b32_e32 v6, v6
	v_not_b32_e32 v7, v7
	s_delay_alu instid0(VALU_DEP_1) | instskip(SKIP_2) | instid1(VALU_DEP_2)
	v_add_nc_u64_e32 v[6:7], s[0:1], v[6:7]
	s_mul_u64 s[0:1], s[8:9], s[2:3]
	v_add_nc_u64_e32 v[0:1], v[0:1], v[4:5]
	v_add_nc_u64_e32 v[4:5], v[6:7], v[8:9]
	s_delay_alu instid0(VALU_DEP_1) | instskip(NEXT) | instid1(VALU_DEP_1)
	v_sub_nc_u64_e32 v[0:1], v[4:5], v[0:1]
	v_lshl_add_u64 v[0:1], v[0:1], 3, s[4:5]
	s_delay_alu instid0(VALU_DEP_1) | instskip(NEXT) | instid1(VALU_DEP_1)
	v_lshl_add_u64 v[0:1], v[10:11], 3, v[0:1]
	v_lshl_add_u64 v[0:1], s[0:1], 3, v[0:1]
	s_wait_xcnt 0x0
	s_wait_loadcnt 0x0
	global_atomic_add_f32 v[0:1], v2, off scope:SCOPE_DEV
	s_wait_xcnt 0x0
	global_atomic_add_f32 v[0:1], v3, off offset:4 scope:SCOPE_DEV
.LBB51_2:
	s_endpgm
	.section	.rodata,"a",@progbits
	.p2align	6, 0x0
	.amdhsa_kernel _ZN2at6native12_GLOBAL__N_136reflection_pad1d_backward_out_kernelIN3c107complexIfEEEEvPT_PKS6_lll
		.amdhsa_group_segment_fixed_size 0
		.amdhsa_private_segment_fixed_size 0
		.amdhsa_kernarg_size 296
		.amdhsa_user_sgpr_count 2
		.amdhsa_user_sgpr_dispatch_ptr 0
		.amdhsa_user_sgpr_queue_ptr 0
		.amdhsa_user_sgpr_kernarg_segment_ptr 1
		.amdhsa_user_sgpr_dispatch_id 0
		.amdhsa_user_sgpr_kernarg_preload_length 0
		.amdhsa_user_sgpr_kernarg_preload_offset 0
		.amdhsa_user_sgpr_private_segment_size 0
		.amdhsa_wavefront_size32 1
		.amdhsa_uses_dynamic_stack 0
		.amdhsa_enable_private_segment 0
		.amdhsa_system_sgpr_workgroup_id_x 1
		.amdhsa_system_sgpr_workgroup_id_y 1
		.amdhsa_system_sgpr_workgroup_id_z 1
		.amdhsa_system_sgpr_workgroup_info 0
		.amdhsa_system_vgpr_workitem_id 0
		.amdhsa_next_free_vgpr 14
		.amdhsa_next_free_sgpr 21
		.amdhsa_named_barrier_count 0
		.amdhsa_reserve_vcc 0
		.amdhsa_float_round_mode_32 0
		.amdhsa_float_round_mode_16_64 0
		.amdhsa_float_denorm_mode_32 3
		.amdhsa_float_denorm_mode_16_64 3
		.amdhsa_fp16_overflow 0
		.amdhsa_memory_ordered 1
		.amdhsa_forward_progress 1
		.amdhsa_inst_pref_size 4
		.amdhsa_round_robin_scheduling 0
		.amdhsa_exception_fp_ieee_invalid_op 0
		.amdhsa_exception_fp_denorm_src 0
		.amdhsa_exception_fp_ieee_div_zero 0
		.amdhsa_exception_fp_ieee_overflow 0
		.amdhsa_exception_fp_ieee_underflow 0
		.amdhsa_exception_fp_ieee_inexact 0
		.amdhsa_exception_int_div_zero 0
	.end_amdhsa_kernel
	.section	.text._ZN2at6native12_GLOBAL__N_136reflection_pad1d_backward_out_kernelIN3c107complexIfEEEEvPT_PKS6_lll,"axG",@progbits,_ZN2at6native12_GLOBAL__N_136reflection_pad1d_backward_out_kernelIN3c107complexIfEEEEvPT_PKS6_lll,comdat
.Lfunc_end51:
	.size	_ZN2at6native12_GLOBAL__N_136reflection_pad1d_backward_out_kernelIN3c107complexIfEEEEvPT_PKS6_lll, .Lfunc_end51-_ZN2at6native12_GLOBAL__N_136reflection_pad1d_backward_out_kernelIN3c107complexIfEEEEvPT_PKS6_lll
                                        ; -- End function
	.set _ZN2at6native12_GLOBAL__N_136reflection_pad1d_backward_out_kernelIN3c107complexIfEEEEvPT_PKS6_lll.num_vgpr, 14
	.set _ZN2at6native12_GLOBAL__N_136reflection_pad1d_backward_out_kernelIN3c107complexIfEEEEvPT_PKS6_lll.num_agpr, 0
	.set _ZN2at6native12_GLOBAL__N_136reflection_pad1d_backward_out_kernelIN3c107complexIfEEEEvPT_PKS6_lll.numbered_sgpr, 21
	.set _ZN2at6native12_GLOBAL__N_136reflection_pad1d_backward_out_kernelIN3c107complexIfEEEEvPT_PKS6_lll.num_named_barrier, 0
	.set _ZN2at6native12_GLOBAL__N_136reflection_pad1d_backward_out_kernelIN3c107complexIfEEEEvPT_PKS6_lll.private_seg_size, 0
	.set _ZN2at6native12_GLOBAL__N_136reflection_pad1d_backward_out_kernelIN3c107complexIfEEEEvPT_PKS6_lll.uses_vcc, 0
	.set _ZN2at6native12_GLOBAL__N_136reflection_pad1d_backward_out_kernelIN3c107complexIfEEEEvPT_PKS6_lll.uses_flat_scratch, 0
	.set _ZN2at6native12_GLOBAL__N_136reflection_pad1d_backward_out_kernelIN3c107complexIfEEEEvPT_PKS6_lll.has_dyn_sized_stack, 0
	.set _ZN2at6native12_GLOBAL__N_136reflection_pad1d_backward_out_kernelIN3c107complexIfEEEEvPT_PKS6_lll.has_recursion, 0
	.set _ZN2at6native12_GLOBAL__N_136reflection_pad1d_backward_out_kernelIN3c107complexIfEEEEvPT_PKS6_lll.has_indirect_call, 0
	.section	.AMDGPU.csdata,"",@progbits
; Kernel info:
; codeLenInByte = 448
; TotalNumSgprs: 21
; NumVgprs: 14
; ScratchSize: 0
; MemoryBound: 0
; FloatMode: 240
; IeeeMode: 1
; LDSByteSize: 0 bytes/workgroup (compile time only)
; SGPRBlocks: 0
; VGPRBlocks: 0
; NumSGPRsForWavesPerEU: 21
; NumVGPRsForWavesPerEU: 14
; NamedBarCnt: 0
; Occupancy: 16
; WaveLimiterHint : 0
; COMPUTE_PGM_RSRC2:SCRATCH_EN: 0
; COMPUTE_PGM_RSRC2:USER_SGPR: 2
; COMPUTE_PGM_RSRC2:TRAP_HANDLER: 0
; COMPUTE_PGM_RSRC2:TGID_X_EN: 1
; COMPUTE_PGM_RSRC2:TGID_Y_EN: 1
; COMPUTE_PGM_RSRC2:TGID_Z_EN: 1
; COMPUTE_PGM_RSRC2:TIDIG_COMP_CNT: 0
	.section	.text._ZN2at6native12_GLOBAL__N_130reflection_pad1d_backward_flatIN3c107complexIfEEEEvPT_PKS6_llll,"axG",@progbits,_ZN2at6native12_GLOBAL__N_130reflection_pad1d_backward_flatIN3c107complexIfEEEEvPT_PKS6_llll,comdat
	.globl	_ZN2at6native12_GLOBAL__N_130reflection_pad1d_backward_flatIN3c107complexIfEEEEvPT_PKS6_llll ; -- Begin function _ZN2at6native12_GLOBAL__N_130reflection_pad1d_backward_flatIN3c107complexIfEEEEvPT_PKS6_llll
	.p2align	8
	.type	_ZN2at6native12_GLOBAL__N_130reflection_pad1d_backward_flatIN3c107complexIfEEEEvPT_PKS6_llll,@function
_ZN2at6native12_GLOBAL__N_130reflection_pad1d_backward_flatIN3c107complexIfEEEEvPT_PKS6_llll: ; @_ZN2at6native12_GLOBAL__N_130reflection_pad1d_backward_flatIN3c107complexIfEEEEvPT_PKS6_llll
; %bb.0:
	s_load_b32 s2, s[0:1], 0x3c
	s_bfe_u32 s12, ttmp6, 0x4000c
	s_load_b256 s[4:11], s[0:1], 0x10
	v_mov_b32_e32 v2, 0
	s_add_co_i32 s12, s12, 1
	s_and_b32 s3, ttmp6, 15
	s_mul_i32 s12, ttmp9, s12
	s_getreg_b32 s13, hwreg(HW_REG_IB_STS2, 6, 4)
	v_mov_b32_e32 v1, v2
	s_add_co_i32 s3, s3, s12
	s_mov_b32 s12, exec_lo
	s_wait_kmcnt 0x0
	s_and_b32 s2, s2, 0xffff
	s_cmp_eq_u32 s13, 0
	s_mul_u64 s[10:11], s[10:11], s[8:9]
	s_cselect_b32 s3, ttmp9, s3
	s_delay_alu instid0(SALU_CYCLE_1) | instskip(SKIP_1) | instid1(VALU_DEP_1)
	v_mad_nc_u64_u32 v[0:1], s2, s3, v[0:1]
	s_mov_b32 s3, 0
	v_cmpx_gt_i64_e64 s[10:11], v[0:1]
	s_cbranch_execz .LBB52_13
; %bb.1:
	v_cvt_f32_u32_e32 v3, s8
	s_load_b128 s[12:15], s[0:1], 0x0
	s_wait_xcnt 0x0
	s_add_nc_u64 s[0:1], s[0:1], 48
	s_sub_co_i32 s16, 0, s8
	s_load_b32 s0, s[0:1], 0x0
	v_rcp_iflag_f32_e32 v3, v3
	s_lshl_b64 s[20:21], s[4:5], 1
	s_wait_xcnt 0x0
	s_mov_b32 s1, s3
	s_add_nc_u64 s[20:21], s[20:21], -2
	s_sub_nc_u64 s[6:7], 0, s[6:7]
	s_ashr_i32 s24, s9, 31
	s_ashr_i32 s26, s21, 31
	v_nop
	v_mul_f32_e32 v3, 0x4f7ffffe, v3
	s_mov_b32 s30, 0
	s_delay_alu instid0(VALU_DEP_1) | instskip(NEXT) | instid1(VALU_DEP_1)
	v_cvt_u32_f32_e32 v3, v3
	v_mul_lo_u32 v4, s16, v3
	s_sub_nc_u64 s[16:17], 0, s[8:9]
	s_wait_kmcnt 0x0
	s_mul_u64 s[18:19], s[2:3], s[0:1]
	v_cmp_gt_i64_e64 s1, s[20:21], 0
	s_lshl_b64 s[22:23], s[18:19], 3
	v_mul_hi_u32 v6, v3, v4
	v_lshl_add_u64 v[4:5], v[0:1], 3, s[14:15]
	s_mov_b64 s[14:15], 0xffffffff
	s_delay_alu instid0(VALU_DEP_1) | instskip(NEXT) | instid1(VALU_DEP_3)
	v_add_nc_u64_e32 v[4:5], 4, v[4:5]
	v_add_nc_u32_e32 v12, v3, v6
	s_branch .LBB52_4
.LBB52_2:                               ;   in Loop: Header=BB52_4 Depth=1
	s_or_b32 exec_lo, exec_lo, s0
	s_delay_alu instid0(VALU_DEP_1) | instskip(NEXT) | instid1(VALU_DEP_1)
	v_ashrrev_i32_e32 v3, 31, v11
	v_and_b32_e32 v9, s21, v3
	v_and_b32_e32 v8, s20, v3
	s_delay_alu instid0(VALU_DEP_1) | instskip(NEXT) | instid1(VALU_DEP_1)
	v_add_nc_u64_e32 v[8:9], v[8:9], v[10:11]
	v_sub_nc_u64_e32 v[10:11], s[20:21], v[8:9]
	v_cmp_gt_i64_e32 vcc_lo, s[4:5], v[8:9]
	s_delay_alu instid0(VALU_DEP_2)
	v_dual_cndmask_b32 v9, v11, v9 :: v_dual_cndmask_b32 v8, v10, v8
.LBB52_3:                               ;   in Loop: Header=BB52_4 Depth=1
	global_load_b64 v[10:11], v[4:5], off offset:-4
	v_mul_u64_e32 v[6:7], s[4:5], v[6:7]
	v_add_nc_u64_e32 v[0:1], s[18:19], v[0:1]
	s_wait_xcnt 0x0
	v_add_nc_u64_e32 v[4:5], s[22:23], v[4:5]
	s_delay_alu instid0(VALU_DEP_2) | instskip(SKIP_1) | instid1(VALU_DEP_4)
	v_cmp_le_i64_e32 vcc_lo, s[10:11], v[0:1]
	s_or_b32 s30, vcc_lo, s30
	v_lshl_add_u64 v[6:7], v[6:7], 3, s[12:13]
	s_delay_alu instid0(VALU_DEP_1)
	v_lshl_add_u64 v[6:7], v[8:9], 3, v[6:7]
	s_wait_loadcnt 0x0
	global_atomic_add_f32 v[6:7], v10, off scope:SCOPE_DEV
	s_wait_xcnt 0x0
	global_atomic_add_f32 v[6:7], v11, off offset:4 scope:SCOPE_DEV
	s_wait_xcnt 0x0
	s_and_not1_b32 exec_lo, exec_lo, s30
	s_cbranch_execz .LBB52_13
.LBB52_4:                               ; =>This Inner Loop Header: Depth=1
	v_or_b32_e32 v3, s9, v1
                                        ; implicit-def: $vgpr6_vgpr7
	s_mov_b32 s0, exec_lo
	s_delay_alu instid0(VALU_DEP_1)
	v_cmpx_ne_u64_e32 0, v[2:3]
	s_xor_b32 s27, exec_lo, s0
	s_cbranch_execnz .LBB52_7
; %bb.5:                                ;   in Loop: Header=BB52_4 Depth=1
	s_and_not1_saveexec_b32 s0, s27
	s_cbranch_execnz .LBB52_8
.LBB52_6:                               ;   in Loop: Header=BB52_4 Depth=1
	s_or_b32 exec_lo, exec_lo, s0
	v_mov_b64_e32 v[8:9], 0
	s_and_not1_b32 vcc_lo, exec_lo, s1
	s_cbranch_vccnz .LBB52_3
	s_branch .LBB52_9
.LBB52_7:                               ;   in Loop: Header=BB52_4 Depth=1
	s_mov_b32 s25, s24
	v_dual_mov_b32 v11, v2 :: v_dual_ashrrev_i32 v6, 31, v1
	s_add_nc_u64 s[28:29], s[8:9], s[24:25]
	s_delay_alu instid0(SALU_CYCLE_1) | instskip(NEXT) | instid1(VALU_DEP_1)
	s_xor_b64 s[28:29], s[28:29], s[24:25]
	v_mov_b32_e32 v7, v6
	s_cvt_f32_u32 s0, s28
	s_cvt_f32_u32 s2, s29
	s_sub_nc_u64 s[36:37], 0, s[28:29]
	s_delay_alu instid0(VALU_DEP_1) | instskip(NEXT) | instid1(SALU_CYCLE_1)
	v_add_nc_u64_e32 v[8:9], v[0:1], v[6:7]
	s_fmamk_f32 s0, s2, 0x4f800000, s0
	v_mov_b32_e32 v17, v2
	s_delay_alu instid0(SALU_CYCLE_2) | instskip(NEXT) | instid1(VALU_DEP_2)
	v_s_rcp_f32 s0, s0
	v_xor_b32_e32 v10, v8, v6
	s_delay_alu instid0(VALU_DEP_3) | instskip(NEXT) | instid1(TRANS32_DEP_1)
	v_dual_mov_b32 v21, v2 :: v_dual_bitop2_b32 v16, v9, v6 bitop3:0x14
	s_mul_f32 s0, s0, 0x5f7ffffc
	s_delay_alu instid0(SALU_CYCLE_3) | instskip(NEXT) | instid1(SALU_CYCLE_3)
	s_mul_f32 s2, s0, 0x2f800000
	s_trunc_f32 s2, s2
	s_delay_alu instid0(SALU_CYCLE_3) | instskip(SKIP_1) | instid1(SALU_CYCLE_2)
	s_fmamk_f32 s0, s2, 0xcf800000, s0
	s_cvt_u32_f32 s35, s2
	s_cvt_u32_f32 s34, s0
	s_delay_alu instid0(SALU_CYCLE_3) | instskip(NEXT) | instid1(SALU_CYCLE_1)
	s_mul_u64 s[38:39], s[36:37], s[34:35]
	s_mul_hi_u32 s41, s34, s39
	s_mul_i32 s40, s34, s39
	s_mul_hi_u32 s2, s34, s38
	s_mul_i32 s25, s35, s38
	s_add_nc_u64 s[40:41], s[2:3], s[40:41]
	s_mul_hi_u32 s0, s35, s38
	s_mul_hi_u32 s31, s35, s39
	s_add_co_u32 s2, s40, s25
	s_add_co_ci_u32 s2, s41, s0
	s_mul_i32 s38, s35, s39
	s_add_co_ci_u32 s39, s31, 0
	s_delay_alu instid0(SALU_CYCLE_1) | instskip(NEXT) | instid1(SALU_CYCLE_1)
	s_add_nc_u64 s[38:39], s[2:3], s[38:39]
	s_add_co_u32 s34, s34, s38
	s_cselect_b32 s0, -1, 0
	s_delay_alu instid0(SALU_CYCLE_1) | instskip(SKIP_1) | instid1(SALU_CYCLE_1)
	s_cmp_lg_u32 s0, 0
	s_add_co_ci_u32 s35, s35, s39
	s_mul_u64 s[36:37], s[36:37], s[34:35]
	s_delay_alu instid0(SALU_CYCLE_1)
	s_mul_hi_u32 s39, s34, s37
	s_mul_i32 s38, s34, s37
	s_mul_hi_u32 s2, s34, s36
	s_mul_i32 s25, s35, s36
	s_add_nc_u64 s[38:39], s[2:3], s[38:39]
	s_mul_hi_u32 s0, s35, s36
	s_mul_hi_u32 s31, s35, s37
	s_add_co_u32 s2, s38, s25
	s_add_co_ci_u32 s2, s39, s0
	s_mul_i32 s36, s35, s37
	s_add_co_ci_u32 s37, s31, 0
	s_delay_alu instid0(SALU_CYCLE_1) | instskip(NEXT) | instid1(SALU_CYCLE_1)
	s_add_nc_u64 s[36:37], s[2:3], s[36:37]
	s_add_co_u32 s0, s34, s36
	s_cselect_b32 s2, -1, 0
	v_mul_hi_u32 v20, v10, s0
	s_cmp_lg_u32 s2, 0
	s_add_co_ci_u32 s2, s35, s37
	s_and_b64 s[34:35], s[0:1], s[14:15]
	v_mul_u64_e32 v[14:15], s[2:3], v[10:11]
	v_mul_u64_e32 v[8:9], s[34:35], v[16:17]
	;; [unrolled: 1-line block ×3, first 2 shown]
	s_delay_alu instid0(VALU_DEP_3) | instskip(NEXT) | instid1(VALU_DEP_1)
	v_add_nc_u64_e32 v[14:15], v[20:21], v[14:15]
	v_add_co_u32 v3, vcc_lo, v14, v8
	s_delay_alu instid0(VALU_DEP_2) | instskip(NEXT) | instid1(VALU_DEP_4)
	v_add_co_ci_u32_e32 v20, vcc_lo, v15, v9, vcc_lo
	v_add_co_ci_u32_e32 v19, vcc_lo, 0, v19, vcc_lo
	s_delay_alu instid0(VALU_DEP_1) | instskip(NEXT) | instid1(VALU_DEP_1)
	v_add_nc_u64_e32 v[8:9], v[20:21], v[18:19]
	v_mul_u64_e32 v[14:15], s[28:29], v[8:9]
	s_delay_alu instid0(VALU_DEP_1) | instskip(NEXT) | instid1(VALU_DEP_2)
	v_sub_nc_u32_e32 v3, v16, v15
	v_sub_co_u32 v7, vcc_lo, v10, v14
	s_delay_alu instid0(VALU_DEP_1) | instskip(NEXT) | instid1(VALU_DEP_3)
	v_sub_co_ci_u32_e64 v13, null, v16, v15, vcc_lo
	v_subrev_co_ci_u32_e64 v3, null, s29, v3, vcc_lo
	s_delay_alu instid0(VALU_DEP_3) | instskip(SKIP_1) | instid1(VALU_DEP_3)
	v_sub_co_u32 v10, s0, v7, s28
	v_add_nc_u64_e32 v[14:15], 1, v[8:9]
	v_subrev_co_ci_u32_e64 v3, null, 0, v3, s0
	s_delay_alu instid0(VALU_DEP_3) | instskip(SKIP_1) | instid1(VALU_DEP_3)
	v_cmp_le_u32_e32 vcc_lo, s28, v10
	v_cndmask_b32_e64 v10, 0, -1, vcc_lo
	v_cmp_le_u32_e32 vcc_lo, s29, v3
	v_cndmask_b32_e64 v11, 0, -1, vcc_lo
	;; [unrolled: 2-line block ×4, first 2 shown]
	v_cmp_eq_u32_e32 vcc_lo, s29, v3
	v_cndmask_b32_e32 v3, v11, v10, vcc_lo
	v_cmp_eq_u32_e32 vcc_lo, s29, v13
	v_add_nc_u64_e32 v[10:11], 2, v[8:9]
	v_cndmask_b32_e32 v7, v16, v7, vcc_lo
	s_delay_alu instid0(VALU_DEP_4) | instskip(NEXT) | instid1(VALU_DEP_2)
	v_cmp_ne_u32_e32 vcc_lo, 0, v3
	v_cmp_ne_u32_e64 s0, 0, v7
	s_delay_alu instid0(VALU_DEP_4) | instskip(NEXT) | instid1(VALU_DEP_1)
	v_dual_cndmask_b32 v3, v15, v11, vcc_lo :: v_dual_cndmask_b32 v7, v14, v10, vcc_lo
	v_dual_cndmask_b32 v3, v9, v3, s0 :: v_dual_bitop2_b32 v6, s24, v6 bitop3:0x14
	s_delay_alu instid0(VALU_DEP_1) | instskip(NEXT) | instid1(VALU_DEP_2)
	v_dual_cndmask_b32 v8, v8, v7, s0 :: v_dual_mov_b32 v7, v6
	v_xor_b32_e32 v9, v3, v6
	s_delay_alu instid0(VALU_DEP_2) | instskip(NEXT) | instid1(VALU_DEP_1)
	v_xor_b32_e32 v8, v8, v6
	v_sub_nc_u64_e32 v[6:7], v[8:9], v[6:7]
	s_and_not1_saveexec_b32 s0, s27
	s_cbranch_execz .LBB52_6
.LBB52_8:                               ;   in Loop: Header=BB52_4 Depth=1
	v_mul_hi_u32 v3, v0, v12
	s_delay_alu instid0(VALU_DEP_1) | instskip(NEXT) | instid1(VALU_DEP_1)
	v_mul_lo_u32 v6, v3, s8
	v_dual_add_nc_u32 v7, 1, v3 :: v_dual_sub_nc_u32 v6, v0, v6
	s_delay_alu instid0(VALU_DEP_1) | instskip(SKIP_1) | instid1(VALU_DEP_2)
	v_subrev_nc_u32_e32 v8, s8, v6
	v_cmp_le_u32_e32 vcc_lo, s8, v6
	v_dual_cndmask_b32 v6, v6, v8 :: v_dual_cndmask_b32 v3, v3, v7
	s_delay_alu instid0(VALU_DEP_1) | instskip(NEXT) | instid1(VALU_DEP_2)
	v_cmp_le_u32_e32 vcc_lo, s8, v6
	v_add_nc_u32_e32 v7, 1, v3
	s_delay_alu instid0(VALU_DEP_1)
	v_dual_cndmask_b32 v6, v3, v7 :: v_dual_mov_b32 v7, v2
	s_or_b32 exec_lo, exec_lo, s0
	v_mov_b64_e32 v[8:9], 0
	s_and_not1_b32 vcc_lo, exec_lo, s1
	s_cbranch_vccnz .LBB52_3
.LBB52_9:                               ;   in Loop: Header=BB52_4 Depth=1
	v_add_nc_u64_e32 v[8:9], s[6:7], v[0:1]
                                        ; implicit-def: $vgpr10_vgpr11
	s_mov_b32 s0, exec_lo
	s_delay_alu instid0(VALU_DEP_1) | instskip(NEXT) | instid1(VALU_DEP_1)
	v_mad_nc_u64_u32 v[8:9], s16, v6, v[8:9]
	v_mad_u32 v3, s17, v6, v9
	s_delay_alu instid0(VALU_DEP_1) | instskip(NEXT) | instid1(VALU_DEP_1)
	v_mad_u32 v9, s16, v7, v3
	v_or_b32_e32 v3, s21, v9
	s_delay_alu instid0(VALU_DEP_1)
	v_cmpx_ne_u64_e32 0, v[2:3]
	s_xor_b32 s25, exec_lo, s0
	s_cbranch_execz .LBB52_11
; %bb.10:                               ;   in Loop: Header=BB52_4 Depth=1
	s_mov_b32 s27, s26
	v_dual_mov_b32 v15, v2 :: v_dual_ashrrev_i32 v10, 31, v9
	s_add_nc_u64 s[28:29], s[20:21], s[26:27]
	v_mov_b32_e32 v23, v2
	s_xor_b64 s[28:29], s[28:29], s[26:27]
	s_delay_alu instid0(VALU_DEP_2) | instskip(SKIP_3) | instid1(VALU_DEP_1)
	v_mov_b32_e32 v11, v10
	s_cvt_f32_u32 s0, s28
	s_cvt_f32_u32 s2, s29
	s_sub_nc_u64 s[36:37], 0, s[28:29]
	v_add_nc_u64_e32 v[8:9], v[8:9], v[10:11]
	s_delay_alu instid0(SALU_CYCLE_1) | instskip(SKIP_1) | instid1(SALU_CYCLE_2)
	s_fmamk_f32 s0, s2, 0x4f800000, s0
	v_mov_b32_e32 v19, v2
	v_s_rcp_f32 s0, s0
	s_delay_alu instid0(VALU_DEP_2) | instskip(NEXT) | instid1(VALU_DEP_3)
	v_xor_b32_e32 v14, v8, v10
	v_xor_b32_e32 v18, v9, v10
	s_delay_alu instid0(TRANS32_DEP_1) | instskip(NEXT) | instid1(SALU_CYCLE_3)
	s_mul_f32 s0, s0, 0x5f7ffffc
	s_mul_f32 s2, s0, 0x2f800000
	s_delay_alu instid0(SALU_CYCLE_3) | instskip(NEXT) | instid1(SALU_CYCLE_3)
	s_trunc_f32 s2, s2
	s_fmamk_f32 s0, s2, 0xcf800000, s0
	s_cvt_u32_f32 s35, s2
	s_delay_alu instid0(SALU_CYCLE_2) | instskip(NEXT) | instid1(SALU_CYCLE_3)
	s_cvt_u32_f32 s34, s0
	s_mul_u64 s[38:39], s[36:37], s[34:35]
	s_delay_alu instid0(SALU_CYCLE_1)
	s_mul_hi_u32 s41, s34, s39
	s_mul_i32 s40, s34, s39
	s_mul_hi_u32 s2, s34, s38
	s_mul_i32 s27, s35, s38
	s_add_nc_u64 s[40:41], s[2:3], s[40:41]
	s_mul_hi_u32 s0, s35, s38
	s_mul_hi_u32 s31, s35, s39
	s_add_co_u32 s2, s40, s27
	s_add_co_ci_u32 s2, s41, s0
	s_mul_i32 s38, s35, s39
	s_add_co_ci_u32 s39, s31, 0
	s_delay_alu instid0(SALU_CYCLE_1) | instskip(NEXT) | instid1(SALU_CYCLE_1)
	s_add_nc_u64 s[38:39], s[2:3], s[38:39]
	s_add_co_u32 s34, s34, s38
	s_cselect_b32 s0, -1, 0
	s_delay_alu instid0(SALU_CYCLE_1) | instskip(SKIP_1) | instid1(SALU_CYCLE_1)
	s_cmp_lg_u32 s0, 0
	s_add_co_ci_u32 s35, s35, s39
	s_mul_u64 s[36:37], s[36:37], s[34:35]
	s_delay_alu instid0(SALU_CYCLE_1)
	s_mul_hi_u32 s39, s34, s37
	s_mul_i32 s38, s34, s37
	s_mul_hi_u32 s2, s34, s36
	s_mul_i32 s27, s35, s36
	s_add_nc_u64 s[38:39], s[2:3], s[38:39]
	s_mul_hi_u32 s0, s35, s36
	s_mul_hi_u32 s31, s35, s37
	s_add_co_u32 s2, s38, s27
	s_add_co_ci_u32 s2, s39, s0
	s_mul_i32 s36, s35, s37
	s_add_co_ci_u32 s37, s31, 0
	s_delay_alu instid0(SALU_CYCLE_1) | instskip(NEXT) | instid1(SALU_CYCLE_1)
	s_add_nc_u64 s[36:37], s[2:3], s[36:37]
	s_add_co_u32 s0, s34, s36
	s_cselect_b32 s2, -1, 0
	v_mul_hi_u32 v22, v14, s0
	s_cmp_lg_u32 s2, 0
	s_add_co_ci_u32 s2, s35, s37
	s_and_b64 s[34:35], s[0:1], s[14:15]
	v_mul_u64_e32 v[16:17], s[2:3], v[14:15]
	v_mul_u64_e32 v[8:9], s[34:35], v[18:19]
	;; [unrolled: 1-line block ×3, first 2 shown]
	s_delay_alu instid0(VALU_DEP_3) | instskip(NEXT) | instid1(VALU_DEP_1)
	v_add_nc_u64_e32 v[16:17], v[22:23], v[16:17]
	v_add_co_u32 v3, vcc_lo, v16, v8
	s_delay_alu instid0(VALU_DEP_2) | instskip(NEXT) | instid1(VALU_DEP_4)
	v_add_co_ci_u32_e32 v22, vcc_lo, v17, v9, vcc_lo
	v_add_co_ci_u32_e32 v21, vcc_lo, 0, v21, vcc_lo
	s_delay_alu instid0(VALU_DEP_1) | instskip(NEXT) | instid1(VALU_DEP_1)
	v_add_nc_u64_e32 v[8:9], v[22:23], v[20:21]
	v_mul_u64_e32 v[8:9], s[28:29], v[8:9]
	s_delay_alu instid0(VALU_DEP_1) | instskip(NEXT) | instid1(VALU_DEP_1)
	v_sub_co_u32 v8, vcc_lo, v14, v8
	v_cmp_le_u32_e64 s0, s28, v8
	s_delay_alu instid0(VALU_DEP_1) | instskip(NEXT) | instid1(VALU_DEP_4)
	v_cndmask_b32_e64 v15, 0, -1, s0
	v_sub_nc_u32_e32 v3, v18, v9
	v_sub_co_ci_u32_e64 v9, null, v18, v9, vcc_lo
	s_delay_alu instid0(VALU_DEP_2) | instskip(SKIP_1) | instid1(VALU_DEP_1)
	v_subrev_co_ci_u32_e64 v3, null, s29, v3, vcc_lo
	v_sub_co_u32 v13, vcc_lo, v8, s28
	v_subrev_co_ci_u32_e64 v14, null, 0, v3, vcc_lo
	s_delay_alu instid0(VALU_DEP_2) | instskip(SKIP_2) | instid1(VALU_DEP_3)
	v_cmp_le_u32_e64 s0, s28, v13
	v_subrev_co_ci_u32_e64 v3, null, s29, v3, vcc_lo
	v_cmp_le_u32_e32 vcc_lo, s29, v9
	v_cndmask_b32_e64 v16, 0, -1, s0
	v_cmp_le_u32_e64 s0, s29, v14
	v_cndmask_b32_e64 v18, 0, -1, vcc_lo
	v_cmp_eq_u32_e32 vcc_lo, s29, v14
	s_delay_alu instid0(VALU_DEP_3) | instskip(SKIP_1) | instid1(VALU_DEP_2)
	v_cndmask_b32_e64 v17, 0, -1, s0
	v_cmp_eq_u32_e64 s0, s29, v9
	v_cndmask_b32_e32 v16, v17, v16, vcc_lo
	v_sub_co_u32 v17, vcc_lo, v13, s28
	s_delay_alu instid0(VALU_DEP_1) | instskip(NEXT) | instid1(VALU_DEP_3)
	v_subrev_co_ci_u32_e64 v3, null, 0, v3, vcc_lo
	v_cmp_ne_u32_e32 vcc_lo, 0, v16
	v_cndmask_b32_e64 v15, v18, v15, s0
	s_delay_alu instid0(VALU_DEP_3) | instskip(NEXT) | instid1(VALU_DEP_2)
	v_dual_cndmask_b32 v3, v14, v3, vcc_lo :: v_dual_cndmask_b32 v13, v13, v17, vcc_lo
	v_cmp_ne_u32_e32 vcc_lo, 0, v15
	s_delay_alu instid0(VALU_DEP_2) | instskip(NEXT) | instid1(VALU_DEP_1)
	v_dual_cndmask_b32 v3, v9, v3 :: v_dual_cndmask_b32 v8, v8, v13
	v_xor_b32_e32 v9, v3, v10
	s_delay_alu instid0(VALU_DEP_2) | instskip(NEXT) | instid1(VALU_DEP_1)
	v_xor_b32_e32 v8, v8, v10
	v_sub_nc_u64_e32 v[10:11], v[8:9], v[10:11]
                                        ; implicit-def: $vgpr8_vgpr9
.LBB52_11:                              ;   in Loop: Header=BB52_4 Depth=1
	s_and_not1_saveexec_b32 s0, s25
	s_cbranch_execz .LBB52_2
; %bb.12:                               ;   in Loop: Header=BB52_4 Depth=1
	v_cvt_f32_u32_e32 v3, s20
	s_sub_co_i32 s2, 0, s20
	v_mov_b32_e32 v11, v2
	s_delay_alu instid0(VALU_DEP_2) | instskip(SKIP_1) | instid1(TRANS32_DEP_1)
	v_rcp_iflag_f32_e32 v3, v3
	v_nop
	v_mul_f32_e32 v3, 0x4f7ffffe, v3
	s_delay_alu instid0(VALU_DEP_1) | instskip(NEXT) | instid1(VALU_DEP_1)
	v_cvt_u32_f32_e32 v3, v3
	v_mul_lo_u32 v9, s2, v3
	s_delay_alu instid0(VALU_DEP_1) | instskip(NEXT) | instid1(VALU_DEP_1)
	v_mul_hi_u32 v9, v3, v9
	v_add_nc_u32_e32 v3, v3, v9
	s_delay_alu instid0(VALU_DEP_1) | instskip(NEXT) | instid1(VALU_DEP_1)
	v_mul_hi_u32 v3, v8, v3
	v_mul_lo_u32 v3, v3, s20
	s_delay_alu instid0(VALU_DEP_1) | instskip(NEXT) | instid1(VALU_DEP_1)
	v_sub_nc_u32_e32 v3, v8, v3
	v_subrev_nc_u32_e32 v8, s20, v3
	v_cmp_le_u32_e32 vcc_lo, s20, v3
	s_delay_alu instid0(VALU_DEP_2) | instskip(NEXT) | instid1(VALU_DEP_1)
	v_cndmask_b32_e32 v3, v3, v8, vcc_lo
	v_subrev_nc_u32_e32 v8, s20, v3
	v_cmp_le_u32_e32 vcc_lo, s20, v3
	s_delay_alu instid0(VALU_DEP_2)
	v_cndmask_b32_e32 v10, v3, v8, vcc_lo
	s_branch .LBB52_2
.LBB52_13:
	s_endpgm
	.section	.rodata,"a",@progbits
	.p2align	6, 0x0
	.amdhsa_kernel _ZN2at6native12_GLOBAL__N_130reflection_pad1d_backward_flatIN3c107complexIfEEEEvPT_PKS6_llll
		.amdhsa_group_segment_fixed_size 0
		.amdhsa_private_segment_fixed_size 0
		.amdhsa_kernarg_size 304
		.amdhsa_user_sgpr_count 2
		.amdhsa_user_sgpr_dispatch_ptr 0
		.amdhsa_user_sgpr_queue_ptr 0
		.amdhsa_user_sgpr_kernarg_segment_ptr 1
		.amdhsa_user_sgpr_dispatch_id 0
		.amdhsa_user_sgpr_kernarg_preload_length 0
		.amdhsa_user_sgpr_kernarg_preload_offset 0
		.amdhsa_user_sgpr_private_segment_size 0
		.amdhsa_wavefront_size32 1
		.amdhsa_uses_dynamic_stack 0
		.amdhsa_enable_private_segment 0
		.amdhsa_system_sgpr_workgroup_id_x 1
		.amdhsa_system_sgpr_workgroup_id_y 0
		.amdhsa_system_sgpr_workgroup_id_z 0
		.amdhsa_system_sgpr_workgroup_info 0
		.amdhsa_system_vgpr_workitem_id 0
		.amdhsa_next_free_vgpr 24
		.amdhsa_next_free_sgpr 42
		.amdhsa_named_barrier_count 0
		.amdhsa_reserve_vcc 1
		.amdhsa_float_round_mode_32 0
		.amdhsa_float_round_mode_16_64 0
		.amdhsa_float_denorm_mode_32 3
		.amdhsa_float_denorm_mode_16_64 3
		.amdhsa_fp16_overflow 0
		.amdhsa_memory_ordered 1
		.amdhsa_forward_progress 1
		.amdhsa_inst_pref_size 15
		.amdhsa_round_robin_scheduling 0
		.amdhsa_exception_fp_ieee_invalid_op 0
		.amdhsa_exception_fp_denorm_src 0
		.amdhsa_exception_fp_ieee_div_zero 0
		.amdhsa_exception_fp_ieee_overflow 0
		.amdhsa_exception_fp_ieee_underflow 0
		.amdhsa_exception_fp_ieee_inexact 0
		.amdhsa_exception_int_div_zero 0
	.end_amdhsa_kernel
	.section	.text._ZN2at6native12_GLOBAL__N_130reflection_pad1d_backward_flatIN3c107complexIfEEEEvPT_PKS6_llll,"axG",@progbits,_ZN2at6native12_GLOBAL__N_130reflection_pad1d_backward_flatIN3c107complexIfEEEEvPT_PKS6_llll,comdat
.Lfunc_end52:
	.size	_ZN2at6native12_GLOBAL__N_130reflection_pad1d_backward_flatIN3c107complexIfEEEEvPT_PKS6_llll, .Lfunc_end52-_ZN2at6native12_GLOBAL__N_130reflection_pad1d_backward_flatIN3c107complexIfEEEEvPT_PKS6_llll
                                        ; -- End function
	.set _ZN2at6native12_GLOBAL__N_130reflection_pad1d_backward_flatIN3c107complexIfEEEEvPT_PKS6_llll.num_vgpr, 24
	.set _ZN2at6native12_GLOBAL__N_130reflection_pad1d_backward_flatIN3c107complexIfEEEEvPT_PKS6_llll.num_agpr, 0
	.set _ZN2at6native12_GLOBAL__N_130reflection_pad1d_backward_flatIN3c107complexIfEEEEvPT_PKS6_llll.numbered_sgpr, 42
	.set _ZN2at6native12_GLOBAL__N_130reflection_pad1d_backward_flatIN3c107complexIfEEEEvPT_PKS6_llll.num_named_barrier, 0
	.set _ZN2at6native12_GLOBAL__N_130reflection_pad1d_backward_flatIN3c107complexIfEEEEvPT_PKS6_llll.private_seg_size, 0
	.set _ZN2at6native12_GLOBAL__N_130reflection_pad1d_backward_flatIN3c107complexIfEEEEvPT_PKS6_llll.uses_vcc, 1
	.set _ZN2at6native12_GLOBAL__N_130reflection_pad1d_backward_flatIN3c107complexIfEEEEvPT_PKS6_llll.uses_flat_scratch, 0
	.set _ZN2at6native12_GLOBAL__N_130reflection_pad1d_backward_flatIN3c107complexIfEEEEvPT_PKS6_llll.has_dyn_sized_stack, 0
	.set _ZN2at6native12_GLOBAL__N_130reflection_pad1d_backward_flatIN3c107complexIfEEEEvPT_PKS6_llll.has_recursion, 0
	.set _ZN2at6native12_GLOBAL__N_130reflection_pad1d_backward_flatIN3c107complexIfEEEEvPT_PKS6_llll.has_indirect_call, 0
	.section	.AMDGPU.csdata,"",@progbits
; Kernel info:
; codeLenInByte = 1916
; TotalNumSgprs: 44
; NumVgprs: 24
; ScratchSize: 0
; MemoryBound: 0
; FloatMode: 240
; IeeeMode: 1
; LDSByteSize: 0 bytes/workgroup (compile time only)
; SGPRBlocks: 0
; VGPRBlocks: 1
; NumSGPRsForWavesPerEU: 44
; NumVGPRsForWavesPerEU: 24
; NamedBarCnt: 0
; Occupancy: 16
; WaveLimiterHint : 0
; COMPUTE_PGM_RSRC2:SCRATCH_EN: 0
; COMPUTE_PGM_RSRC2:USER_SGPR: 2
; COMPUTE_PGM_RSRC2:TRAP_HANDLER: 0
; COMPUTE_PGM_RSRC2:TGID_X_EN: 1
; COMPUTE_PGM_RSRC2:TGID_Y_EN: 0
; COMPUTE_PGM_RSRC2:TGID_Z_EN: 0
; COMPUTE_PGM_RSRC2:TIDIG_COMP_CNT: 0
	.section	.text._ZN2at6native12_GLOBAL__N_136reflection_pad1d_backward_out_kernelIN3c104HalfEEEvPT_PKS5_lll,"axG",@progbits,_ZN2at6native12_GLOBAL__N_136reflection_pad1d_backward_out_kernelIN3c104HalfEEEvPT_PKS5_lll,comdat
	.globl	_ZN2at6native12_GLOBAL__N_136reflection_pad1d_backward_out_kernelIN3c104HalfEEEvPT_PKS5_lll ; -- Begin function _ZN2at6native12_GLOBAL__N_136reflection_pad1d_backward_out_kernelIN3c104HalfEEEvPT_PKS5_lll
	.p2align	8
	.type	_ZN2at6native12_GLOBAL__N_136reflection_pad1d_backward_out_kernelIN3c104HalfEEEvPT_PKS5_lll,@function
_ZN2at6native12_GLOBAL__N_136reflection_pad1d_backward_out_kernelIN3c104HalfEEEvPT_PKS5_lll: ; @_ZN2at6native12_GLOBAL__N_136reflection_pad1d_backward_out_kernelIN3c104HalfEEEvPT_PKS5_lll
; %bb.0:
	s_clause 0x2
	s_load_b32 s3, s[0:1], 0x34
	s_load_b64 s[12:13], s[0:1], 0x20
	s_load_b256 s[4:11], s[0:1], 0x0
	s_bfe_u32 s2, ttmp6, 0x4000c
	s_and_b32 s14, ttmp6, 15
	s_add_co_i32 s15, s2, 1
	s_getreg_b32 s2, hwreg(HW_REG_IB_STS2, 6, 4)
	s_mul_i32 s15, ttmp9, s15
	v_mov_b32_e32 v1, 0
	s_add_co_i32 s14, s14, s15
	s_mov_b32 s16, exec_lo
	s_wait_kmcnt 0x0
	s_and_b32 s3, s3, 0xffff
	s_cmp_eq_u32 s2, 0
	s_cselect_b32 s14, ttmp9, s14
	s_delay_alu instid0(SALU_CYCLE_1)
	v_mad_nc_u64_u32 v[2:3], s3, s14, v[0:1]
	s_add_nc_u64 s[14:15], s[10:11], s[8:9]
	s_mov_b32 s3, 0
	s_add_nc_u64 s[12:13], s[14:15], s[12:13]
	s_delay_alu instid0(VALU_DEP_1) | instid1(SALU_CYCLE_1)
	v_cmpx_gt_i64_e64 s[12:13], v[2:3]
	s_cbranch_execz .LBB53_7
; %bb.1:
	v_sub_nc_u64_e64 v[4:5], v[2:3], s[14:15]
	v_max_i64 v[6:7], s[10:11], 0
	s_sub_nc_u64 s[16:17], 0, s[10:11]
	v_sub_nc_u64_e64 v[10:11], v[2:3], s[10:11]
	s_add_nc_u64 s[10:11], s[14:15], s[10:11]
	s_add_nc_u64 s[0:1], s[0:1], 40
	s_lshr_b32 s14, ttmp7, 16
	v_add_nc_u64_e32 v[8:9], 1, v[4:5]
	v_not_b32_e32 v5, v5
	v_not_b32_e32 v4, v4
	v_sub_nc_u64_e32 v[12:13], 0, v[10:11]
	s_load_b32 s0, s[0:1], 0x4
	s_wait_xcnt 0x0
	s_bfe_u32 s1, ttmp6, 0x40010
	s_bfe_u32 s15, ttmp6, 0x40004
	v_max_i64 v[4:5], v[8:9], v[4:5]
	v_max_i64 v[8:9], s[16:17], 0
	s_add_co_i32 s1, s1, 1
	v_max_i64 v[10:11], v[10:11], v[12:13]
	s_bfe_u32 s16, ttmp6, 0x40008
	v_not_b32_e32 v6, v6
	v_not_b32_e32 v7, v7
	s_delay_alu instid0(VALU_DEP_1)
	v_add_nc_u64_e32 v[6:7], s[10:11], v[6:7]
	s_bfe_u32 s11, ttmp6, 0x40014
	s_and_b32 s10, ttmp7, 0xffff
	s_add_co_i32 s11, s11, 1
	s_mul_i32 s1, s10, s1
	s_mul_i32 s11, s14, s11
	s_add_co_i32 s15, s15, s1
	v_add_nc_u64_e32 v[4:5], v[2:3], v[4:5]
	v_add_nc_u64_e32 v[6:7], v[6:7], v[8:9]
	s_add_co_i32 s16, s16, s11
	s_cmp_eq_u32 s2, 0
	s_cselect_b32 s1, s14, s16
	s_wait_kmcnt 0x0
	s_mul_i32 s0, s0, s1
	s_delay_alu instid0(VALU_DEP_1) | instskip(SKIP_1) | instid1(SALU_CYCLE_1)
	v_sub_nc_u64_e32 v[4:5], v[6:7], v[4:5]
	s_cselect_b32 s1, s10, s15
	s_add_co_i32 s2, s0, s1
	s_delay_alu instid0(SALU_CYCLE_1) | instskip(NEXT) | instid1(VALU_DEP_1)
	s_mul_u64 s[0:1], s[8:9], s[2:3]
	v_lshl_add_u64 v[4:5], v[4:5], 1, s[4:5]
	s_delay_alu instid0(VALU_DEP_1) | instskip(NEXT) | instid1(VALU_DEP_1)
	v_lshl_add_u64 v[4:5], v[10:11], 1, v[4:5]
	v_lshl_add_u64 v[4:5], s[0:1], 1, v[4:5]
	s_mul_u64 s[0:1], s[12:13], s[2:3]
	s_delay_alu instid0(SALU_CYCLE_1) | instskip(NEXT) | instid1(VALU_DEP_1)
	s_lshl_b64 s[0:1], s[0:1], 1
	v_and_b32_e32 v0, 2, v4
	s_add_nc_u64 s[0:1], s[6:7], s[0:1]
	s_delay_alu instid0(SALU_CYCLE_1) | instskip(NEXT) | instid1(VALU_DEP_2)
	v_lshl_add_u64 v[8:9], v[2:3], 1, s[0:1]
	v_sub_nc_u64_e32 v[6:7], 0, v[0:1]
	v_cmp_ne_u32_e64 s0, 0, v0
	v_cmp_eq_u64_e32 vcc_lo, 0, v[0:1]
	s_delay_alu instid0(VALU_DEP_3)
	v_add_nc_u64_e32 v[4:5], v[4:5], v[6:7]
	global_load_u16 v6, v[8:9], off
	global_load_b32 v3, v[4:5], off
	s_branch .LBB53_3
.LBB53_2:                               ;   in Loop: Header=BB53_3 Depth=1
	s_or_b32 exec_lo, exec_lo, s1
	global_atomic_cmpswap_b32 v0, v[4:5], v[2:3], off th:TH_ATOMIC_RETURN scope:SCOPE_DEV
	s_wait_loadcnt 0x0
	v_cmp_eq_u32_e64 s1, v3, v0
	v_mov_b32_e32 v3, v0
	s_or_b32 s3, s1, s3
	s_delay_alu instid0(SALU_CYCLE_1)
	s_and_not1_b32 exec_lo, exec_lo, s3
	s_cbranch_execz .LBB53_7
.LBB53_3:                               ; =>This Inner Loop Header: Depth=1
	s_wait_loadcnt 0x0
	v_lshrrev_b32_e32 v0, 16, v3
	s_delay_alu instid0(VALU_DEP_1) | instskip(NEXT) | instid1(VALU_DEP_1)
	v_cndmask_b32_e32 v0, v0, v3, vcc_lo
	v_add_f16_e32 v0, v6, v0
	s_delay_alu instid0(VALU_DEP_1) | instskip(SKIP_1) | instid1(SALU_CYCLE_1)
	v_and_b32_e32 v0, 0xffff, v0
	s_and_saveexec_b32 s1, s0
	s_xor_b32 s1, exec_lo, s1
; %bb.4:                                ;   in Loop: Header=BB53_3 Depth=1
	v_and_b32_e32 v1, 0xffff, v3
	s_delay_alu instid0(VALU_DEP_1)
	v_lshl_or_b32 v2, v0, 16, v1
                                        ; implicit-def: $vgpr0
; %bb.5:                                ;   in Loop: Header=BB53_3 Depth=1
	s_and_not1_saveexec_b32 s1, s1
	s_cbranch_execz .LBB53_2
; %bb.6:                                ;   in Loop: Header=BB53_3 Depth=1
	v_and_or_b32 v2, 0xffff0000, v3, v0
	s_branch .LBB53_2
.LBB53_7:
	s_endpgm
	.section	.rodata,"a",@progbits
	.p2align	6, 0x0
	.amdhsa_kernel _ZN2at6native12_GLOBAL__N_136reflection_pad1d_backward_out_kernelIN3c104HalfEEEvPT_PKS5_lll
		.amdhsa_group_segment_fixed_size 0
		.amdhsa_private_segment_fixed_size 0
		.amdhsa_kernarg_size 296
		.amdhsa_user_sgpr_count 2
		.amdhsa_user_sgpr_dispatch_ptr 0
		.amdhsa_user_sgpr_queue_ptr 0
		.amdhsa_user_sgpr_kernarg_segment_ptr 1
		.amdhsa_user_sgpr_dispatch_id 0
		.amdhsa_user_sgpr_kernarg_preload_length 0
		.amdhsa_user_sgpr_kernarg_preload_offset 0
		.amdhsa_user_sgpr_private_segment_size 0
		.amdhsa_wavefront_size32 1
		.amdhsa_uses_dynamic_stack 0
		.amdhsa_enable_private_segment 0
		.amdhsa_system_sgpr_workgroup_id_x 1
		.amdhsa_system_sgpr_workgroup_id_y 1
		.amdhsa_system_sgpr_workgroup_id_z 1
		.amdhsa_system_sgpr_workgroup_info 0
		.amdhsa_system_vgpr_workitem_id 0
		.amdhsa_next_free_vgpr 14
		.amdhsa_next_free_sgpr 18
		.amdhsa_named_barrier_count 0
		.amdhsa_reserve_vcc 1
		.amdhsa_float_round_mode_32 0
		.amdhsa_float_round_mode_16_64 0
		.amdhsa_float_denorm_mode_32 3
		.amdhsa_float_denorm_mode_16_64 3
		.amdhsa_fp16_overflow 0
		.amdhsa_memory_ordered 1
		.amdhsa_forward_progress 1
		.amdhsa_inst_pref_size 5
		.amdhsa_round_robin_scheduling 0
		.amdhsa_exception_fp_ieee_invalid_op 0
		.amdhsa_exception_fp_denorm_src 0
		.amdhsa_exception_fp_ieee_div_zero 0
		.amdhsa_exception_fp_ieee_overflow 0
		.amdhsa_exception_fp_ieee_underflow 0
		.amdhsa_exception_fp_ieee_inexact 0
		.amdhsa_exception_int_div_zero 0
	.end_amdhsa_kernel
	.section	.text._ZN2at6native12_GLOBAL__N_136reflection_pad1d_backward_out_kernelIN3c104HalfEEEvPT_PKS5_lll,"axG",@progbits,_ZN2at6native12_GLOBAL__N_136reflection_pad1d_backward_out_kernelIN3c104HalfEEEvPT_PKS5_lll,comdat
.Lfunc_end53:
	.size	_ZN2at6native12_GLOBAL__N_136reflection_pad1d_backward_out_kernelIN3c104HalfEEEvPT_PKS5_lll, .Lfunc_end53-_ZN2at6native12_GLOBAL__N_136reflection_pad1d_backward_out_kernelIN3c104HalfEEEvPT_PKS5_lll
                                        ; -- End function
	.set _ZN2at6native12_GLOBAL__N_136reflection_pad1d_backward_out_kernelIN3c104HalfEEEvPT_PKS5_lll.num_vgpr, 14
	.set _ZN2at6native12_GLOBAL__N_136reflection_pad1d_backward_out_kernelIN3c104HalfEEEvPT_PKS5_lll.num_agpr, 0
	.set _ZN2at6native12_GLOBAL__N_136reflection_pad1d_backward_out_kernelIN3c104HalfEEEvPT_PKS5_lll.numbered_sgpr, 18
	.set _ZN2at6native12_GLOBAL__N_136reflection_pad1d_backward_out_kernelIN3c104HalfEEEvPT_PKS5_lll.num_named_barrier, 0
	.set _ZN2at6native12_GLOBAL__N_136reflection_pad1d_backward_out_kernelIN3c104HalfEEEvPT_PKS5_lll.private_seg_size, 0
	.set _ZN2at6native12_GLOBAL__N_136reflection_pad1d_backward_out_kernelIN3c104HalfEEEvPT_PKS5_lll.uses_vcc, 1
	.set _ZN2at6native12_GLOBAL__N_136reflection_pad1d_backward_out_kernelIN3c104HalfEEEvPT_PKS5_lll.uses_flat_scratch, 0
	.set _ZN2at6native12_GLOBAL__N_136reflection_pad1d_backward_out_kernelIN3c104HalfEEEvPT_PKS5_lll.has_dyn_sized_stack, 0
	.set _ZN2at6native12_GLOBAL__N_136reflection_pad1d_backward_out_kernelIN3c104HalfEEEvPT_PKS5_lll.has_recursion, 0
	.set _ZN2at6native12_GLOBAL__N_136reflection_pad1d_backward_out_kernelIN3c104HalfEEEvPT_PKS5_lll.has_indirect_call, 0
	.section	.AMDGPU.csdata,"",@progbits
; Kernel info:
; codeLenInByte = 592
; TotalNumSgprs: 20
; NumVgprs: 14
; ScratchSize: 0
; MemoryBound: 0
; FloatMode: 240
; IeeeMode: 1
; LDSByteSize: 0 bytes/workgroup (compile time only)
; SGPRBlocks: 0
; VGPRBlocks: 0
; NumSGPRsForWavesPerEU: 20
; NumVGPRsForWavesPerEU: 14
; NamedBarCnt: 0
; Occupancy: 16
; WaveLimiterHint : 0
; COMPUTE_PGM_RSRC2:SCRATCH_EN: 0
; COMPUTE_PGM_RSRC2:USER_SGPR: 2
; COMPUTE_PGM_RSRC2:TRAP_HANDLER: 0
; COMPUTE_PGM_RSRC2:TGID_X_EN: 1
; COMPUTE_PGM_RSRC2:TGID_Y_EN: 1
; COMPUTE_PGM_RSRC2:TGID_Z_EN: 1
; COMPUTE_PGM_RSRC2:TIDIG_COMP_CNT: 0
	.section	.text._ZN2at6native12_GLOBAL__N_130reflection_pad1d_backward_flatIN3c104HalfEEEvPT_PKS5_llll,"axG",@progbits,_ZN2at6native12_GLOBAL__N_130reflection_pad1d_backward_flatIN3c104HalfEEEvPT_PKS5_llll,comdat
	.globl	_ZN2at6native12_GLOBAL__N_130reflection_pad1d_backward_flatIN3c104HalfEEEvPT_PKS5_llll ; -- Begin function _ZN2at6native12_GLOBAL__N_130reflection_pad1d_backward_flatIN3c104HalfEEEvPT_PKS5_llll
	.p2align	8
	.type	_ZN2at6native12_GLOBAL__N_130reflection_pad1d_backward_flatIN3c104HalfEEEvPT_PKS5_llll,@function
_ZN2at6native12_GLOBAL__N_130reflection_pad1d_backward_flatIN3c104HalfEEEvPT_PKS5_llll: ; @_ZN2at6native12_GLOBAL__N_130reflection_pad1d_backward_flatIN3c104HalfEEEvPT_PKS5_llll
; %bb.0:
	s_load_b32 s2, s[0:1], 0x3c
	s_bfe_u32 s12, ttmp6, 0x4000c
	s_load_b256 s[4:11], s[0:1], 0x10
	v_mov_b32_e32 v2, 0
	s_add_co_i32 s12, s12, 1
	s_and_b32 s3, ttmp6, 15
	s_mul_i32 s12, ttmp9, s12
	s_getreg_b32 s13, hwreg(HW_REG_IB_STS2, 6, 4)
	v_mov_b32_e32 v1, v2
	s_add_co_i32 s3, s3, s12
	s_mov_b32 s12, exec_lo
	s_wait_kmcnt 0x0
	s_and_b32 s2, s2, 0xffff
	s_cmp_eq_u32 s13, 0
	s_mul_u64 s[10:11], s[10:11], s[8:9]
	s_cselect_b32 s3, ttmp9, s3
	s_delay_alu instid0(SALU_CYCLE_1) | instskip(SKIP_1) | instid1(VALU_DEP_1)
	v_mad_nc_u64_u32 v[0:1], s2, s3, v[0:1]
	s_mov_b32 s3, 0
	v_cmpx_gt_i64_e64 s[10:11], v[0:1]
	s_cbranch_execz .LBB54_19
; %bb.1:
	v_cvt_f32_u32_e32 v3, s8
	s_sub_co_i32 s12, 0, s8
	s_add_nc_u64 s[16:17], s[0:1], 48
	s_mov_b32 s21, s3
	s_ashr_i32 s22, s9, 31
	v_rcp_iflag_f32_e32 v3, v3
	s_mov_b32 s29, 0
	v_nop
	s_delay_alu instid0(TRANS32_DEP_1) | instskip(NEXT) | instid1(VALU_DEP_1)
	v_mul_f32_e32 v3, 0x4f7ffffe, v3
	v_cvt_u32_f32_e32 v3, v3
	s_delay_alu instid0(VALU_DEP_1)
	v_mul_lo_u32 v4, s12, v3
	s_load_b32 s20, s[16:17], 0x0
	s_load_b128 s[12:15], s[0:1], 0x0
	s_wait_xcnt 0x0
	s_lshl_b64 s[0:1], s[4:5], 1
	s_mov_b64 s[16:17], 0xffffffff
	s_add_nc_u64 s[18:19], s[0:1], -2
	s_delay_alu instid0(SALU_CYCLE_1) | instskip(SKIP_4) | instid1(VALU_DEP_1)
	v_cmp_gt_i64_e64 s28, s[18:19], 0
	s_ashr_i32 s24, s19, 31
	v_mul_hi_u32 v4, v3, v4
	s_wait_kmcnt 0x0
	s_mul_u64 s[20:21], s[2:3], s[20:21]
	v_add_nc_u32_e32 v10, v3, v4
	s_branch .LBB54_3
.LBB54_2:                               ;   in Loop: Header=BB54_3 Depth=1
	s_or_b32 exec_lo, exec_lo, s2
	v_add_nc_u64_e32 v[0:1], s[20:21], v[0:1]
	s_delay_alu instid0(VALU_DEP_1) | instskip(SKIP_1) | instid1(SALU_CYCLE_1)
	v_cmp_le_i64_e32 vcc_lo, s[10:11], v[0:1]
	s_or_b32 s29, vcc_lo, s29
	s_and_not1_b32 exec_lo, exec_lo, s29
	s_cbranch_execz .LBB54_19
.LBB54_3:                               ; =>This Loop Header: Depth=1
                                        ;     Child Loop BB54_15 Depth 2
	v_or_b32_e32 v3, s9, v1
                                        ; implicit-def: $vgpr4_vgpr5
	s_mov_b32 s0, exec_lo
	s_delay_alu instid0(VALU_DEP_1)
	v_cmpx_ne_u64_e32 0, v[2:3]
	s_xor_b32 s1, exec_lo, s0
	s_cbranch_execnz .LBB54_6
; %bb.4:                                ;   in Loop: Header=BB54_3 Depth=1
	s_and_not1_saveexec_b32 s0, s1
	s_cbranch_execnz .LBB54_7
.LBB54_5:                               ;   in Loop: Header=BB54_3 Depth=1
	s_or_b32 exec_lo, exec_lo, s0
	v_mov_b64_e32 v[6:7], 0
	s_and_not1_b32 vcc_lo, exec_lo, s28
	s_cbranch_vccz .LBB54_8
	s_branch .LBB54_13
.LBB54_6:                               ;   in Loop: Header=BB54_3 Depth=1
	s_mov_b32 s23, s22
	v_dual_mov_b32 v9, v2 :: v_dual_ashrrev_i32 v4, 31, v1
	s_add_nc_u64 s[26:27], s[8:9], s[22:23]
	v_mov_b32_e32 v19, v2
	s_xor_b64 s[26:27], s[26:27], s[22:23]
	s_delay_alu instid0(VALU_DEP_2) | instskip(SKIP_3) | instid1(VALU_DEP_1)
	v_mov_b32_e32 v5, v4
	s_cvt_f32_u32 s0, s26
	s_cvt_f32_u32 s2, s27
	s_sub_nc_u64 s[34:35], 0, s[26:27]
	v_add_nc_u64_e32 v[6:7], v[0:1], v[4:5]
	s_delay_alu instid0(SALU_CYCLE_1) | instskip(SKIP_1) | instid1(SALU_CYCLE_2)
	s_fmamk_f32 s0, s2, 0x4f800000, s0
	v_mov_b32_e32 v15, v2
	v_s_rcp_f32 s0, s0
	s_delay_alu instid0(VALU_DEP_2) | instskip(NEXT) | instid1(VALU_DEP_3)
	v_xor_b32_e32 v8, v6, v4
	v_xor_b32_e32 v14, v7, v4
	;; [unrolled: 1-line block ×3, first 2 shown]
	s_delay_alu instid0(TRANS32_DEP_1) | instskip(NEXT) | instid1(SALU_CYCLE_3)
	s_mul_f32 s0, s0, 0x5f7ffffc
	s_mul_f32 s2, s0, 0x2f800000
	s_delay_alu instid0(SALU_CYCLE_3) | instskip(NEXT) | instid1(SALU_CYCLE_3)
	s_trunc_f32 s2, s2
	s_fmamk_f32 s0, s2, 0xcf800000, s0
	s_cvt_u32_f32 s31, s2
	s_delay_alu instid0(SALU_CYCLE_2) | instskip(NEXT) | instid1(SALU_CYCLE_3)
	s_cvt_u32_f32 s30, s0
	s_mul_u64 s[36:37], s[34:35], s[30:31]
	s_delay_alu instid0(SALU_CYCLE_1)
	s_mul_hi_u32 s39, s30, s37
	s_mul_i32 s38, s30, s37
	s_mul_hi_u32 s2, s30, s36
	s_mul_i32 s23, s31, s36
	s_add_nc_u64 s[38:39], s[2:3], s[38:39]
	s_mul_hi_u32 s0, s31, s36
	s_mul_hi_u32 s25, s31, s37
	s_add_co_u32 s2, s38, s23
	s_add_co_ci_u32 s2, s39, s0
	s_mul_i32 s36, s31, s37
	s_add_co_ci_u32 s37, s25, 0
	s_delay_alu instid0(SALU_CYCLE_1) | instskip(NEXT) | instid1(SALU_CYCLE_1)
	s_add_nc_u64 s[36:37], s[2:3], s[36:37]
	s_add_co_u32 s30, s30, s36
	s_cselect_b32 s0, -1, 0
	s_delay_alu instid0(SALU_CYCLE_1) | instskip(SKIP_1) | instid1(SALU_CYCLE_1)
	s_cmp_lg_u32 s0, 0
	s_add_co_ci_u32 s31, s31, s37
	s_mul_u64 s[34:35], s[34:35], s[30:31]
	s_delay_alu instid0(SALU_CYCLE_1)
	s_mul_hi_u32 s37, s30, s35
	s_mul_i32 s36, s30, s35
	s_mul_hi_u32 s2, s30, s34
	s_mul_i32 s23, s31, s34
	s_add_nc_u64 s[36:37], s[2:3], s[36:37]
	s_mul_hi_u32 s0, s31, s34
	s_mul_hi_u32 s25, s31, s35
	s_add_co_u32 s2, s36, s23
	s_add_co_ci_u32 s2, s37, s0
	s_mul_i32 s34, s31, s35
	s_add_co_ci_u32 s35, s25, 0
	s_delay_alu instid0(SALU_CYCLE_1) | instskip(NEXT) | instid1(SALU_CYCLE_1)
	s_add_nc_u64 s[34:35], s[2:3], s[34:35]
	s_add_co_u32 s0, s30, s34
	s_cselect_b32 s2, -1, 0
	v_mul_hi_u32 v18, v8, s0
	s_cmp_lg_u32 s2, 0
	s_add_co_ci_u32 s2, s31, s35
	s_and_b64 s[30:31], s[0:1], s[16:17]
	v_mul_u64_e32 v[12:13], s[2:3], v[8:9]
	v_mul_u64_e32 v[6:7], s[30:31], v[14:15]
	;; [unrolled: 1-line block ×3, first 2 shown]
	s_delay_alu instid0(VALU_DEP_3) | instskip(NEXT) | instid1(VALU_DEP_1)
	v_add_nc_u64_e32 v[12:13], v[18:19], v[12:13]
	v_add_co_u32 v3, vcc_lo, v12, v6
	s_delay_alu instid0(VALU_DEP_2) | instskip(NEXT) | instid1(VALU_DEP_4)
	v_add_co_ci_u32_e32 v18, vcc_lo, v13, v7, vcc_lo
	v_add_co_ci_u32_e32 v17, vcc_lo, 0, v17, vcc_lo
	s_delay_alu instid0(VALU_DEP_1) | instskip(NEXT) | instid1(VALU_DEP_1)
	v_add_nc_u64_e32 v[6:7], v[18:19], v[16:17]
	v_mul_u64_e32 v[12:13], s[26:27], v[6:7]
	s_delay_alu instid0(VALU_DEP_1) | instskip(NEXT) | instid1(VALU_DEP_2)
	v_sub_nc_u32_e32 v3, v14, v13
	v_sub_co_u32 v5, vcc_lo, v8, v12
	s_delay_alu instid0(VALU_DEP_1) | instskip(NEXT) | instid1(VALU_DEP_3)
	v_sub_co_ci_u32_e64 v11, null, v14, v13, vcc_lo
	v_subrev_co_ci_u32_e64 v3, null, s27, v3, vcc_lo
	s_delay_alu instid0(VALU_DEP_3) | instskip(SKIP_1) | instid1(VALU_DEP_3)
	v_sub_co_u32 v8, s0, v5, s26
	v_add_nc_u64_e32 v[12:13], 1, v[6:7]
	v_subrev_co_ci_u32_e64 v3, null, 0, v3, s0
	s_delay_alu instid0(VALU_DEP_3) | instskip(SKIP_1) | instid1(VALU_DEP_3)
	v_cmp_le_u32_e32 vcc_lo, s26, v8
	v_cndmask_b32_e64 v8, 0, -1, vcc_lo
	v_cmp_le_u32_e32 vcc_lo, s27, v3
	v_cndmask_b32_e64 v9, 0, -1, vcc_lo
	;; [unrolled: 2-line block ×4, first 2 shown]
	v_cmp_eq_u32_e32 vcc_lo, s27, v3
	v_cndmask_b32_e32 v3, v9, v8, vcc_lo
	v_cmp_eq_u32_e32 vcc_lo, s27, v11
	v_add_nc_u64_e32 v[8:9], 2, v[6:7]
	v_cndmask_b32_e32 v5, v14, v5, vcc_lo
	s_delay_alu instid0(VALU_DEP_4) | instskip(NEXT) | instid1(VALU_DEP_2)
	v_cmp_ne_u32_e32 vcc_lo, 0, v3
	v_cmp_ne_u32_e64 s0, 0, v5
	s_delay_alu instid0(VALU_DEP_4) | instskip(NEXT) | instid1(VALU_DEP_1)
	v_dual_cndmask_b32 v3, v13, v9, vcc_lo :: v_dual_cndmask_b32 v5, v12, v8, vcc_lo
	v_dual_cndmask_b32 v6, v6, v5, s0 :: v_dual_mov_b32 v5, v4
	s_delay_alu instid0(VALU_DEP_1) | instskip(NEXT) | instid1(VALU_DEP_1)
	v_dual_cndmask_b32 v3, v7, v3, s0 :: v_dual_bitop2_b32 v6, v6, v4 bitop3:0x14
	v_xor_b32_e32 v7, v3, v4
	s_delay_alu instid0(VALU_DEP_1)
	v_sub_nc_u64_e32 v[4:5], v[6:7], v[4:5]
	s_and_not1_saveexec_b32 s0, s1
	s_cbranch_execz .LBB54_5
.LBB54_7:                               ;   in Loop: Header=BB54_3 Depth=1
	v_mul_hi_u32 v3, v0, v10
	s_delay_alu instid0(VALU_DEP_1) | instskip(NEXT) | instid1(VALU_DEP_1)
	v_mul_lo_u32 v4, v3, s8
	v_dual_add_nc_u32 v5, 1, v3 :: v_dual_sub_nc_u32 v4, v0, v4
	s_delay_alu instid0(VALU_DEP_1) | instskip(SKIP_1) | instid1(VALU_DEP_2)
	v_subrev_nc_u32_e32 v6, s8, v4
	v_cmp_le_u32_e32 vcc_lo, s8, v4
	v_dual_cndmask_b32 v4, v4, v6 :: v_dual_cndmask_b32 v3, v3, v5
	s_delay_alu instid0(VALU_DEP_1) | instskip(NEXT) | instid1(VALU_DEP_2)
	v_cmp_le_u32_e32 vcc_lo, s8, v4
	v_add_nc_u32_e32 v5, 1, v3
	s_delay_alu instid0(VALU_DEP_1)
	v_dual_cndmask_b32 v4, v3, v5 :: v_dual_mov_b32 v5, v2
	s_or_b32 exec_lo, exec_lo, s0
	v_mov_b64_e32 v[6:7], 0
	s_and_not1_b32 vcc_lo, exec_lo, s28
	s_cbranch_vccnz .LBB54_13
.LBB54_8:                               ;   in Loop: Header=BB54_3 Depth=1
	v_mad_nc_u64_u32 v[6:7], s8, v4, s[6:7]
                                        ; implicit-def: $vgpr8_vgpr9
	s_mov_b32 s0, exec_lo
	s_delay_alu instid0(VALU_DEP_1) | instskip(NEXT) | instid1(VALU_DEP_1)
	v_mad_u32 v3, s9, v4, v7
	v_mad_u32 v7, s8, v5, v3
	s_delay_alu instid0(VALU_DEP_1) | instskip(NEXT) | instid1(VALU_DEP_1)
	v_sub_nc_u64_e32 v[6:7], v[0:1], v[6:7]
	v_or_b32_e32 v3, s19, v7
	s_delay_alu instid0(VALU_DEP_1)
	v_cmpx_ne_u64_e32 0, v[2:3]
	s_xor_b32 s1, exec_lo, s0
	s_cbranch_execz .LBB54_10
; %bb.9:                                ;   in Loop: Header=BB54_3 Depth=1
	s_mov_b32 s25, s24
	v_dual_mov_b32 v13, v2 :: v_dual_ashrrev_i32 v8, 31, v7
	s_add_nc_u64 s[26:27], s[18:19], s[24:25]
	s_delay_alu instid0(SALU_CYCLE_1) | instskip(NEXT) | instid1(VALU_DEP_1)
	s_xor_b64 s[26:27], s[26:27], s[24:25]
	v_mov_b32_e32 v9, v8
	s_cvt_f32_u32 s0, s26
	s_cvt_f32_u32 s2, s27
	s_sub_nc_u64 s[34:35], 0, s[26:27]
	s_delay_alu instid0(VALU_DEP_1) | instskip(NEXT) | instid1(SALU_CYCLE_1)
	v_add_nc_u64_e32 v[6:7], v[6:7], v[8:9]
	s_fmamk_f32 s0, s2, 0x4f800000, s0
	v_mov_b32_e32 v17, v2
	s_delay_alu instid0(SALU_CYCLE_2) | instskip(NEXT) | instid1(VALU_DEP_2)
	v_s_rcp_f32 s0, s0
	v_xor_b32_e32 v12, v6, v8
	s_delay_alu instid0(VALU_DEP_3) | instskip(NEXT) | instid1(TRANS32_DEP_1)
	v_dual_mov_b32 v21, v2 :: v_dual_bitop2_b32 v16, v7, v8 bitop3:0x14
	s_mul_f32 s0, s0, 0x5f7ffffc
	s_delay_alu instid0(SALU_CYCLE_3) | instskip(NEXT) | instid1(SALU_CYCLE_3)
	s_mul_f32 s2, s0, 0x2f800000
	s_trunc_f32 s2, s2
	s_delay_alu instid0(SALU_CYCLE_3) | instskip(SKIP_1) | instid1(SALU_CYCLE_2)
	s_fmamk_f32 s0, s2, 0xcf800000, s0
	s_cvt_u32_f32 s31, s2
	s_cvt_u32_f32 s30, s0
	s_delay_alu instid0(SALU_CYCLE_3) | instskip(NEXT) | instid1(SALU_CYCLE_1)
	s_mul_u64 s[36:37], s[34:35], s[30:31]
	s_mul_hi_u32 s39, s30, s37
	s_mul_i32 s38, s30, s37
	s_mul_hi_u32 s2, s30, s36
	s_mul_i32 s23, s31, s36
	s_add_nc_u64 s[38:39], s[2:3], s[38:39]
	s_mul_hi_u32 s0, s31, s36
	s_mul_hi_u32 s25, s31, s37
	s_add_co_u32 s2, s38, s23
	s_add_co_ci_u32 s2, s39, s0
	s_mul_i32 s36, s31, s37
	s_add_co_ci_u32 s37, s25, 0
	s_delay_alu instid0(SALU_CYCLE_1) | instskip(NEXT) | instid1(SALU_CYCLE_1)
	s_add_nc_u64 s[36:37], s[2:3], s[36:37]
	s_add_co_u32 s30, s30, s36
	s_cselect_b32 s0, -1, 0
	s_delay_alu instid0(SALU_CYCLE_1) | instskip(SKIP_1) | instid1(SALU_CYCLE_1)
	s_cmp_lg_u32 s0, 0
	s_add_co_ci_u32 s31, s31, s37
	s_mul_u64 s[34:35], s[34:35], s[30:31]
	s_delay_alu instid0(SALU_CYCLE_1)
	s_mul_hi_u32 s37, s30, s35
	s_mul_i32 s36, s30, s35
	s_mul_hi_u32 s2, s30, s34
	s_mul_i32 s23, s31, s34
	s_add_nc_u64 s[36:37], s[2:3], s[36:37]
	s_mul_hi_u32 s0, s31, s34
	s_mul_hi_u32 s25, s31, s35
	s_add_co_u32 s2, s36, s23
	s_add_co_ci_u32 s2, s37, s0
	s_mul_i32 s34, s31, s35
	s_add_co_ci_u32 s35, s25, 0
	s_delay_alu instid0(SALU_CYCLE_1) | instskip(NEXT) | instid1(SALU_CYCLE_1)
	s_add_nc_u64 s[34:35], s[2:3], s[34:35]
	s_add_co_u32 s0, s30, s34
	s_cselect_b32 s2, -1, 0
	v_mul_hi_u32 v20, v12, s0
	s_cmp_lg_u32 s2, 0
	s_add_co_ci_u32 s2, s31, s35
	s_and_b64 s[30:31], s[0:1], s[16:17]
	v_mul_u64_e32 v[14:15], s[2:3], v[12:13]
	v_mul_u64_e32 v[6:7], s[30:31], v[16:17]
	;; [unrolled: 1-line block ×3, first 2 shown]
	s_delay_alu instid0(VALU_DEP_3) | instskip(NEXT) | instid1(VALU_DEP_1)
	v_add_nc_u64_e32 v[14:15], v[20:21], v[14:15]
	v_add_co_u32 v3, vcc_lo, v14, v6
	s_delay_alu instid0(VALU_DEP_2) | instskip(NEXT) | instid1(VALU_DEP_4)
	v_add_co_ci_u32_e32 v20, vcc_lo, v15, v7, vcc_lo
	v_add_co_ci_u32_e32 v19, vcc_lo, 0, v19, vcc_lo
	s_delay_alu instid0(VALU_DEP_1) | instskip(NEXT) | instid1(VALU_DEP_1)
	v_add_nc_u64_e32 v[6:7], v[20:21], v[18:19]
	v_mul_u64_e32 v[6:7], s[26:27], v[6:7]
	s_delay_alu instid0(VALU_DEP_1) | instskip(NEXT) | instid1(VALU_DEP_2)
	v_sub_nc_u32_e32 v3, v16, v7
	v_sub_co_u32 v6, vcc_lo, v12, v6
	s_delay_alu instid0(VALU_DEP_1) | instskip(NEXT) | instid1(VALU_DEP_3)
	v_sub_co_ci_u32_e64 v7, null, v16, v7, vcc_lo
	v_subrev_co_ci_u32_e64 v3, null, s27, v3, vcc_lo
	s_delay_alu instid0(VALU_DEP_3) | instskip(SKIP_1) | instid1(VALU_DEP_3)
	v_sub_co_u32 v11, vcc_lo, v6, s26
	v_cmp_le_u32_e64 s0, s26, v6
	v_subrev_co_ci_u32_e64 v12, null, 0, v3, vcc_lo
	v_subrev_co_ci_u32_e64 v3, null, s27, v3, vcc_lo
	s_delay_alu instid0(VALU_DEP_3) | instskip(SKIP_2) | instid1(VALU_DEP_2)
	v_cndmask_b32_e64 v13, 0, -1, s0
	v_cmp_le_u32_e64 s0, s26, v11
	v_cmp_le_u32_e32 vcc_lo, s27, v7
	v_cndmask_b32_e64 v14, 0, -1, s0
	v_cmp_le_u32_e64 s0, s27, v12
	v_cndmask_b32_e64 v16, 0, -1, vcc_lo
	v_cmp_eq_u32_e32 vcc_lo, s27, v12
	s_delay_alu instid0(VALU_DEP_3) | instskip(SKIP_1) | instid1(VALU_DEP_1)
	v_cndmask_b32_e64 v15, 0, -1, s0
	v_cmp_eq_u32_e64 s0, s27, v7
	v_dual_cndmask_b32 v14, v15, v14, vcc_lo :: v_dual_cndmask_b32 v13, v16, v13, s0
	v_sub_co_u32 v15, vcc_lo, v11, s26
	s_delay_alu instid0(VALU_DEP_1) | instskip(NEXT) | instid1(VALU_DEP_3)
	v_subrev_co_ci_u32_e64 v3, null, 0, v3, vcc_lo
	v_cmp_ne_u32_e32 vcc_lo, 0, v14
	s_delay_alu instid0(VALU_DEP_2) | instskip(NEXT) | instid1(VALU_DEP_4)
	v_cndmask_b32_e32 v3, v12, v3, vcc_lo
	v_cndmask_b32_e32 v11, v11, v15, vcc_lo
	v_cmp_ne_u32_e32 vcc_lo, 0, v13
	s_delay_alu instid0(VALU_DEP_2) | instskip(NEXT) | instid1(VALU_DEP_1)
	v_cndmask_b32_e32 v6, v6, v11, vcc_lo
	v_dual_cndmask_b32 v3, v7, v3, vcc_lo :: v_dual_bitop2_b32 v6, v6, v8 bitop3:0x14
	s_delay_alu instid0(VALU_DEP_1) | instskip(NEXT) | instid1(VALU_DEP_1)
	v_xor_b32_e32 v7, v3, v8
	v_sub_nc_u64_e32 v[8:9], v[6:7], v[8:9]
                                        ; implicit-def: $vgpr6_vgpr7
.LBB54_10:                              ;   in Loop: Header=BB54_3 Depth=1
	s_and_not1_saveexec_b32 s0, s1
	s_cbranch_execz .LBB54_12
; %bb.11:                               ;   in Loop: Header=BB54_3 Depth=1
	v_cvt_f32_u32_e32 v3, s18
	s_sub_co_i32 s1, 0, s18
	v_mov_b32_e32 v9, v2
	s_delay_alu instid0(VALU_DEP_2) | instskip(SKIP_1) | instid1(TRANS32_DEP_1)
	v_rcp_iflag_f32_e32 v3, v3
	v_nop
	v_mul_f32_e32 v3, 0x4f7ffffe, v3
	s_delay_alu instid0(VALU_DEP_1) | instskip(NEXT) | instid1(VALU_DEP_1)
	v_cvt_u32_f32_e32 v3, v3
	v_mul_lo_u32 v7, s1, v3
	s_delay_alu instid0(VALU_DEP_1) | instskip(NEXT) | instid1(VALU_DEP_1)
	v_mul_hi_u32 v7, v3, v7
	v_add_nc_u32_e32 v3, v3, v7
	s_delay_alu instid0(VALU_DEP_1) | instskip(NEXT) | instid1(VALU_DEP_1)
	v_mul_hi_u32 v3, v6, v3
	v_mul_lo_u32 v3, v3, s18
	s_delay_alu instid0(VALU_DEP_1) | instskip(NEXT) | instid1(VALU_DEP_1)
	v_sub_nc_u32_e32 v3, v6, v3
	v_subrev_nc_u32_e32 v6, s18, v3
	v_cmp_le_u32_e32 vcc_lo, s18, v3
	s_delay_alu instid0(VALU_DEP_2) | instskip(NEXT) | instid1(VALU_DEP_1)
	v_cndmask_b32_e32 v3, v3, v6, vcc_lo
	v_subrev_nc_u32_e32 v6, s18, v3
	v_cmp_le_u32_e32 vcc_lo, s18, v3
	s_delay_alu instid0(VALU_DEP_2)
	v_cndmask_b32_e32 v8, v3, v6, vcc_lo
.LBB54_12:                              ;   in Loop: Header=BB54_3 Depth=1
	s_or_b32 exec_lo, exec_lo, s0
	s_delay_alu instid0(VALU_DEP_1) | instskip(NEXT) | instid1(VALU_DEP_1)
	v_ashrrev_i32_e32 v3, 31, v9
	v_and_b32_e32 v7, s19, v3
	v_and_b32_e32 v6, s18, v3
	s_delay_alu instid0(VALU_DEP_1) | instskip(NEXT) | instid1(VALU_DEP_1)
	v_add_nc_u64_e32 v[6:7], v[6:7], v[8:9]
	v_sub_nc_u64_e32 v[8:9], s[18:19], v[6:7]
	v_cmp_gt_i64_e32 vcc_lo, s[4:5], v[6:7]
	s_delay_alu instid0(VALU_DEP_2)
	v_dual_cndmask_b32 v7, v9, v7 :: v_dual_cndmask_b32 v6, v8, v6
.LBB54_13:                              ;   in Loop: Header=BB54_3 Depth=1
	v_mul_u64_e32 v[4:5], s[4:5], v[4:5]
	v_lshl_add_u64 v[12:13], v[0:1], 1, s[14:15]
	s_mov_b32 s2, 0
	v_mov_b32_e32 v9, v2
	s_delay_alu instid0(VALU_DEP_3) | instskip(NEXT) | instid1(VALU_DEP_1)
	v_lshl_add_u64 v[4:5], v[4:5], 1, s[12:13]
	v_lshl_add_u64 v[4:5], v[6:7], 1, v[4:5]
	s_delay_alu instid0(VALU_DEP_1) | instskip(NEXT) | instid1(VALU_DEP_1)
	v_and_b32_e32 v8, 2, v4
	v_sub_nc_u64_e32 v[6:7], 0, v[8:9]
	v_cmp_ne_u32_e64 s0, 0, v8
	v_cmp_eq_u64_e32 vcc_lo, 0, v[8:9]
	s_delay_alu instid0(VALU_DEP_3)
	v_add_nc_u64_e32 v[4:5], v[4:5], v[6:7]
	global_load_u16 v3, v[12:13], off
	global_load_b32 v7, v[4:5], off
	s_branch .LBB54_15
.LBB54_14:                              ;   in Loop: Header=BB54_15 Depth=2
	s_or_b32 exec_lo, exec_lo, s1
	global_atomic_cmpswap_b32 v6, v[4:5], v[6:7], off th:TH_ATOMIC_RETURN scope:SCOPE_DEV
	s_wait_loadcnt 0x0
	v_cmp_eq_u32_e64 s1, v7, v6
	v_mov_b32_e32 v7, v6
	s_or_b32 s2, s1, s2
	s_delay_alu instid0(SALU_CYCLE_1)
	s_and_not1_b32 exec_lo, exec_lo, s2
	s_cbranch_execz .LBB54_2
.LBB54_15:                              ;   Parent Loop BB54_3 Depth=1
                                        ; =>  This Inner Loop Header: Depth=2
	s_wait_loadcnt 0x0
	v_lshrrev_b32_e32 v6, 16, v7
	s_delay_alu instid0(VALU_DEP_1) | instskip(NEXT) | instid1(VALU_DEP_1)
	v_cndmask_b32_e32 v6, v6, v7, vcc_lo
	v_add_f16_e32 v6, v3, v6
	s_delay_alu instid0(VALU_DEP_1) | instskip(SKIP_1) | instid1(SALU_CYCLE_1)
	v_and_b32_e32 v8, 0xffff, v6
	s_and_saveexec_b32 s1, s0
	s_xor_b32 s1, exec_lo, s1
; %bb.16:                               ;   in Loop: Header=BB54_15 Depth=2
	v_and_b32_e32 v6, 0xffff, v7
	s_delay_alu instid0(VALU_DEP_1)
	v_lshl_or_b32 v6, v8, 16, v6
                                        ; implicit-def: $vgpr8
; %bb.17:                               ;   in Loop: Header=BB54_15 Depth=2
	s_and_not1_saveexec_b32 s1, s1
	s_cbranch_execz .LBB54_14
; %bb.18:                               ;   in Loop: Header=BB54_15 Depth=2
	v_and_or_b32 v6, 0xffff0000, v7, v8
	s_branch .LBB54_14
.LBB54_19:
	s_endpgm
	.section	.rodata,"a",@progbits
	.p2align	6, 0x0
	.amdhsa_kernel _ZN2at6native12_GLOBAL__N_130reflection_pad1d_backward_flatIN3c104HalfEEEvPT_PKS5_llll
		.amdhsa_group_segment_fixed_size 0
		.amdhsa_private_segment_fixed_size 0
		.amdhsa_kernarg_size 304
		.amdhsa_user_sgpr_count 2
		.amdhsa_user_sgpr_dispatch_ptr 0
		.amdhsa_user_sgpr_queue_ptr 0
		.amdhsa_user_sgpr_kernarg_segment_ptr 1
		.amdhsa_user_sgpr_dispatch_id 0
		.amdhsa_user_sgpr_kernarg_preload_length 0
		.amdhsa_user_sgpr_kernarg_preload_offset 0
		.amdhsa_user_sgpr_private_segment_size 0
		.amdhsa_wavefront_size32 1
		.amdhsa_uses_dynamic_stack 0
		.amdhsa_enable_private_segment 0
		.amdhsa_system_sgpr_workgroup_id_x 1
		.amdhsa_system_sgpr_workgroup_id_y 0
		.amdhsa_system_sgpr_workgroup_id_z 0
		.amdhsa_system_sgpr_workgroup_info 0
		.amdhsa_system_vgpr_workitem_id 0
		.amdhsa_next_free_vgpr 22
		.amdhsa_next_free_sgpr 40
		.amdhsa_named_barrier_count 0
		.amdhsa_reserve_vcc 1
		.amdhsa_float_round_mode_32 0
		.amdhsa_float_round_mode_16_64 0
		.amdhsa_float_denorm_mode_32 3
		.amdhsa_float_denorm_mode_16_64 3
		.amdhsa_fp16_overflow 0
		.amdhsa_memory_ordered 1
		.amdhsa_forward_progress 1
		.amdhsa_inst_pref_size 16
		.amdhsa_round_robin_scheduling 0
		.amdhsa_exception_fp_ieee_invalid_op 0
		.amdhsa_exception_fp_denorm_src 0
		.amdhsa_exception_fp_ieee_div_zero 0
		.amdhsa_exception_fp_ieee_overflow 0
		.amdhsa_exception_fp_ieee_underflow 0
		.amdhsa_exception_fp_ieee_inexact 0
		.amdhsa_exception_int_div_zero 0
	.end_amdhsa_kernel
	.section	.text._ZN2at6native12_GLOBAL__N_130reflection_pad1d_backward_flatIN3c104HalfEEEvPT_PKS5_llll,"axG",@progbits,_ZN2at6native12_GLOBAL__N_130reflection_pad1d_backward_flatIN3c104HalfEEEvPT_PKS5_llll,comdat
.Lfunc_end54:
	.size	_ZN2at6native12_GLOBAL__N_130reflection_pad1d_backward_flatIN3c104HalfEEEvPT_PKS5_llll, .Lfunc_end54-_ZN2at6native12_GLOBAL__N_130reflection_pad1d_backward_flatIN3c104HalfEEEvPT_PKS5_llll
                                        ; -- End function
	.set _ZN2at6native12_GLOBAL__N_130reflection_pad1d_backward_flatIN3c104HalfEEEvPT_PKS5_llll.num_vgpr, 22
	.set _ZN2at6native12_GLOBAL__N_130reflection_pad1d_backward_flatIN3c104HalfEEEvPT_PKS5_llll.num_agpr, 0
	.set _ZN2at6native12_GLOBAL__N_130reflection_pad1d_backward_flatIN3c104HalfEEEvPT_PKS5_llll.numbered_sgpr, 40
	.set _ZN2at6native12_GLOBAL__N_130reflection_pad1d_backward_flatIN3c104HalfEEEvPT_PKS5_llll.num_named_barrier, 0
	.set _ZN2at6native12_GLOBAL__N_130reflection_pad1d_backward_flatIN3c104HalfEEEvPT_PKS5_llll.private_seg_size, 0
	.set _ZN2at6native12_GLOBAL__N_130reflection_pad1d_backward_flatIN3c104HalfEEEvPT_PKS5_llll.uses_vcc, 1
	.set _ZN2at6native12_GLOBAL__N_130reflection_pad1d_backward_flatIN3c104HalfEEEvPT_PKS5_llll.uses_flat_scratch, 0
	.set _ZN2at6native12_GLOBAL__N_130reflection_pad1d_backward_flatIN3c104HalfEEEvPT_PKS5_llll.has_dyn_sized_stack, 0
	.set _ZN2at6native12_GLOBAL__N_130reflection_pad1d_backward_flatIN3c104HalfEEEvPT_PKS5_llll.has_recursion, 0
	.set _ZN2at6native12_GLOBAL__N_130reflection_pad1d_backward_flatIN3c104HalfEEEvPT_PKS5_llll.has_indirect_call, 0
	.section	.AMDGPU.csdata,"",@progbits
; Kernel info:
; codeLenInByte = 2044
; TotalNumSgprs: 42
; NumVgprs: 22
; ScratchSize: 0
; MemoryBound: 0
; FloatMode: 240
; IeeeMode: 1
; LDSByteSize: 0 bytes/workgroup (compile time only)
; SGPRBlocks: 0
; VGPRBlocks: 1
; NumSGPRsForWavesPerEU: 42
; NumVGPRsForWavesPerEU: 22
; NamedBarCnt: 0
; Occupancy: 16
; WaveLimiterHint : 0
; COMPUTE_PGM_RSRC2:SCRATCH_EN: 0
; COMPUTE_PGM_RSRC2:USER_SGPR: 2
; COMPUTE_PGM_RSRC2:TRAP_HANDLER: 0
; COMPUTE_PGM_RSRC2:TGID_X_EN: 1
; COMPUTE_PGM_RSRC2:TGID_Y_EN: 0
; COMPUTE_PGM_RSRC2:TGID_Z_EN: 0
; COMPUTE_PGM_RSRC2:TIDIG_COMP_CNT: 0
	.section	.text._ZN2at6native12_GLOBAL__N_136reflection_pad1d_backward_out_kernelIN3c108BFloat16EEEvPT_PKS5_lll,"axG",@progbits,_ZN2at6native12_GLOBAL__N_136reflection_pad1d_backward_out_kernelIN3c108BFloat16EEEvPT_PKS5_lll,comdat
	.globl	_ZN2at6native12_GLOBAL__N_136reflection_pad1d_backward_out_kernelIN3c108BFloat16EEEvPT_PKS5_lll ; -- Begin function _ZN2at6native12_GLOBAL__N_136reflection_pad1d_backward_out_kernelIN3c108BFloat16EEEvPT_PKS5_lll
	.p2align	8
	.type	_ZN2at6native12_GLOBAL__N_136reflection_pad1d_backward_out_kernelIN3c108BFloat16EEEvPT_PKS5_lll,@function
_ZN2at6native12_GLOBAL__N_136reflection_pad1d_backward_out_kernelIN3c108BFloat16EEEvPT_PKS5_lll: ; @_ZN2at6native12_GLOBAL__N_136reflection_pad1d_backward_out_kernelIN3c108BFloat16EEEvPT_PKS5_lll
; %bb.0:
	s_clause 0x2
	s_load_b32 s3, s[0:1], 0x34
	s_load_b64 s[12:13], s[0:1], 0x20
	s_load_b256 s[4:11], s[0:1], 0x0
	s_bfe_u32 s2, ttmp6, 0x4000c
	s_and_b32 s14, ttmp6, 15
	s_add_co_i32 s15, s2, 1
	s_getreg_b32 s2, hwreg(HW_REG_IB_STS2, 6, 4)
	s_mul_i32 s15, ttmp9, s15
	v_mov_b32_e32 v1, 0
	s_add_co_i32 s14, s14, s15
	s_mov_b32 s16, exec_lo
	s_wait_kmcnt 0x0
	s_and_b32 s3, s3, 0xffff
	s_cmp_eq_u32 s2, 0
	s_cselect_b32 s14, ttmp9, s14
	s_delay_alu instid0(SALU_CYCLE_1)
	v_mad_nc_u64_u32 v[2:3], s3, s14, v[0:1]
	s_add_nc_u64 s[14:15], s[10:11], s[8:9]
	s_mov_b32 s3, 0
	s_add_nc_u64 s[12:13], s[14:15], s[12:13]
	s_delay_alu instid0(VALU_DEP_1) | instid1(SALU_CYCLE_1)
	v_cmpx_gt_i64_e64 s[12:13], v[2:3]
	s_cbranch_execz .LBB55_3
; %bb.1:
	v_sub_nc_u64_e64 v[4:5], v[2:3], s[14:15]
	v_max_i64 v[6:7], s[10:11], 0
	s_sub_nc_u64 s[16:17], 0, s[10:11]
	v_sub_nc_u64_e64 v[10:11], v[2:3], s[10:11]
	s_add_nc_u64 s[10:11], s[14:15], s[10:11]
	s_add_nc_u64 s[0:1], s[0:1], 40
	s_lshr_b32 s14, ttmp7, 16
	v_add_nc_u64_e32 v[8:9], 1, v[4:5]
	v_not_b32_e32 v5, v5
	v_not_b32_e32 v4, v4
	v_sub_nc_u64_e32 v[12:13], 0, v[10:11]
	s_load_b32 s0, s[0:1], 0x4
	s_wait_xcnt 0x0
	s_bfe_u32 s1, ttmp6, 0x40010
	s_bfe_u32 s15, ttmp6, 0x40004
	v_max_i64 v[4:5], v[8:9], v[4:5]
	v_max_i64 v[8:9], s[16:17], 0
	s_add_co_i32 s1, s1, 1
	v_max_i64 v[10:11], v[10:11], v[12:13]
	s_bfe_u32 s16, ttmp6, 0x40008
	v_not_b32_e32 v6, v6
	v_not_b32_e32 v7, v7
	s_delay_alu instid0(VALU_DEP_1)
	v_add_nc_u64_e32 v[6:7], s[10:11], v[6:7]
	s_bfe_u32 s11, ttmp6, 0x40014
	s_and_b32 s10, ttmp7, 0xffff
	s_add_co_i32 s11, s11, 1
	s_mul_i32 s1, s10, s1
	s_mul_i32 s11, s14, s11
	s_add_co_i32 s15, s15, s1
	v_add_nc_u64_e32 v[4:5], v[2:3], v[4:5]
	v_add_nc_u64_e32 v[6:7], v[6:7], v[8:9]
	s_add_co_i32 s16, s16, s11
	s_cmp_eq_u32 s2, 0
	s_cselect_b32 s1, s14, s16
	s_wait_kmcnt 0x0
	s_mul_i32 s0, s0, s1
	s_delay_alu instid0(VALU_DEP_1) | instskip(SKIP_1) | instid1(SALU_CYCLE_1)
	v_sub_nc_u64_e32 v[4:5], v[6:7], v[4:5]
	s_cselect_b32 s1, s10, s15
	s_add_co_i32 s2, s0, s1
	s_delay_alu instid0(SALU_CYCLE_1) | instskip(NEXT) | instid1(VALU_DEP_1)
	s_mul_u64 s[0:1], s[8:9], s[2:3]
	v_lshl_add_u64 v[4:5], v[4:5], 1, s[4:5]
	s_delay_alu instid0(VALU_DEP_1) | instskip(NEXT) | instid1(VALU_DEP_1)
	v_lshl_add_u64 v[4:5], v[10:11], 1, v[4:5]
	v_lshl_add_u64 v[4:5], s[0:1], 1, v[4:5]
	s_mul_u64 s[0:1], s[12:13], s[2:3]
	s_delay_alu instid0(SALU_CYCLE_1) | instskip(NEXT) | instid1(VALU_DEP_1)
	s_lshl_b64 s[0:1], s[0:1], 1
	v_and_b32_e32 v0, 2, v4
	s_add_nc_u64 s[0:1], s[6:7], s[0:1]
	s_delay_alu instid0(SALU_CYCLE_1) | instskip(NEXT) | instid1(VALU_DEP_2)
	v_lshl_add_u64 v[8:9], v[2:3], 1, s[0:1]
	v_sub_nc_u64_e32 v[6:7], 0, v[0:1]
	v_cmp_eq_u64_e32 vcc_lo, 0, v[0:1]
	s_delay_alu instid0(VALU_DEP_2)
	v_add_nc_u64_e32 v[2:3], v[4:5], v[6:7]
	global_load_u16 v4, v[8:9], off
	global_load_b32 v5, v[2:3], off
	s_wait_loadcnt 0x1
	v_lshlrev_b32_e32 v0, 16, v4
.LBB55_2:                               ; =>This Inner Loop Header: Depth=1
	s_wait_loadcnt 0x0
	v_lshrrev_b32_e32 v1, 16, v5
	v_and_b32_e32 v4, 0xffff, v5
	s_delay_alu instid0(VALU_DEP_1) | instskip(NEXT) | instid1(VALU_DEP_1)
	v_cndmask_b32_e32 v1, v1, v4, vcc_lo
	v_lshlrev_b32_e32 v1, 16, v1
	s_delay_alu instid0(VALU_DEP_1) | instskip(NEXT) | instid1(VALU_DEP_1)
	v_add_f32_e32 v1, v0, v1
	v_bfe_u32 v6, v1, 16, 1
	v_cmp_o_f32_e64 s0, v1, v1
	s_delay_alu instid0(VALU_DEP_2) | instskip(NEXT) | instid1(VALU_DEP_1)
	v_add3_u32 v6, v1, v6, 0x7fff
	v_lshrrev_b32_e32 v6, 16, v6
	s_delay_alu instid0(VALU_DEP_1) | instskip(NEXT) | instid1(VALU_DEP_1)
	v_cndmask_b32_e64 v1, 0x7fc0, v6, s0
	v_lshl_or_b32 v4, v1, 16, v4
	v_and_or_b32 v1, 0xffff0000, v5, v1
	s_delay_alu instid0(VALU_DEP_1)
	v_cndmask_b32_e32 v4, v4, v1, vcc_lo
	global_atomic_cmpswap_b32 v1, v[2:3], v[4:5], off th:TH_ATOMIC_RETURN scope:SCOPE_DEV
	s_wait_loadcnt 0x0
	v_cmp_eq_u32_e64 s0, v5, v1
	v_mov_b32_e32 v5, v1
	s_or_b32 s3, s0, s3
	s_delay_alu instid0(SALU_CYCLE_1)
	s_and_not1_b32 exec_lo, exec_lo, s3
	s_cbranch_execnz .LBB55_2
.LBB55_3:
	s_endpgm
	.section	.rodata,"a",@progbits
	.p2align	6, 0x0
	.amdhsa_kernel _ZN2at6native12_GLOBAL__N_136reflection_pad1d_backward_out_kernelIN3c108BFloat16EEEvPT_PKS5_lll
		.amdhsa_group_segment_fixed_size 0
		.amdhsa_private_segment_fixed_size 0
		.amdhsa_kernarg_size 296
		.amdhsa_user_sgpr_count 2
		.amdhsa_user_sgpr_dispatch_ptr 0
		.amdhsa_user_sgpr_queue_ptr 0
		.amdhsa_user_sgpr_kernarg_segment_ptr 1
		.amdhsa_user_sgpr_dispatch_id 0
		.amdhsa_user_sgpr_kernarg_preload_length 0
		.amdhsa_user_sgpr_kernarg_preload_offset 0
		.amdhsa_user_sgpr_private_segment_size 0
		.amdhsa_wavefront_size32 1
		.amdhsa_uses_dynamic_stack 0
		.amdhsa_enable_private_segment 0
		.amdhsa_system_sgpr_workgroup_id_x 1
		.amdhsa_system_sgpr_workgroup_id_y 1
		.amdhsa_system_sgpr_workgroup_id_z 1
		.amdhsa_system_sgpr_workgroup_info 0
		.amdhsa_system_vgpr_workitem_id 0
		.amdhsa_next_free_vgpr 14
		.amdhsa_next_free_sgpr 18
		.amdhsa_named_barrier_count 0
		.amdhsa_reserve_vcc 1
		.amdhsa_float_round_mode_32 0
		.amdhsa_float_round_mode_16_64 0
		.amdhsa_float_denorm_mode_32 3
		.amdhsa_float_denorm_mode_16_64 3
		.amdhsa_fp16_overflow 0
		.amdhsa_memory_ordered 1
		.amdhsa_forward_progress 1
		.amdhsa_inst_pref_size 5
		.amdhsa_round_robin_scheduling 0
		.amdhsa_exception_fp_ieee_invalid_op 0
		.amdhsa_exception_fp_denorm_src 0
		.amdhsa_exception_fp_ieee_div_zero 0
		.amdhsa_exception_fp_ieee_overflow 0
		.amdhsa_exception_fp_ieee_underflow 0
		.amdhsa_exception_fp_ieee_inexact 0
		.amdhsa_exception_int_div_zero 0
	.end_amdhsa_kernel
	.section	.text._ZN2at6native12_GLOBAL__N_136reflection_pad1d_backward_out_kernelIN3c108BFloat16EEEvPT_PKS5_lll,"axG",@progbits,_ZN2at6native12_GLOBAL__N_136reflection_pad1d_backward_out_kernelIN3c108BFloat16EEEvPT_PKS5_lll,comdat
.Lfunc_end55:
	.size	_ZN2at6native12_GLOBAL__N_136reflection_pad1d_backward_out_kernelIN3c108BFloat16EEEvPT_PKS5_lll, .Lfunc_end55-_ZN2at6native12_GLOBAL__N_136reflection_pad1d_backward_out_kernelIN3c108BFloat16EEEvPT_PKS5_lll
                                        ; -- End function
	.set _ZN2at6native12_GLOBAL__N_136reflection_pad1d_backward_out_kernelIN3c108BFloat16EEEvPT_PKS5_lll.num_vgpr, 14
	.set _ZN2at6native12_GLOBAL__N_136reflection_pad1d_backward_out_kernelIN3c108BFloat16EEEvPT_PKS5_lll.num_agpr, 0
	.set _ZN2at6native12_GLOBAL__N_136reflection_pad1d_backward_out_kernelIN3c108BFloat16EEEvPT_PKS5_lll.numbered_sgpr, 18
	.set _ZN2at6native12_GLOBAL__N_136reflection_pad1d_backward_out_kernelIN3c108BFloat16EEEvPT_PKS5_lll.num_named_barrier, 0
	.set _ZN2at6native12_GLOBAL__N_136reflection_pad1d_backward_out_kernelIN3c108BFloat16EEEvPT_PKS5_lll.private_seg_size, 0
	.set _ZN2at6native12_GLOBAL__N_136reflection_pad1d_backward_out_kernelIN3c108BFloat16EEEvPT_PKS5_lll.uses_vcc, 1
	.set _ZN2at6native12_GLOBAL__N_136reflection_pad1d_backward_out_kernelIN3c108BFloat16EEEvPT_PKS5_lll.uses_flat_scratch, 0
	.set _ZN2at6native12_GLOBAL__N_136reflection_pad1d_backward_out_kernelIN3c108BFloat16EEEvPT_PKS5_lll.has_dyn_sized_stack, 0
	.set _ZN2at6native12_GLOBAL__N_136reflection_pad1d_backward_out_kernelIN3c108BFloat16EEEvPT_PKS5_lll.has_recursion, 0
	.set _ZN2at6native12_GLOBAL__N_136reflection_pad1d_backward_out_kernelIN3c108BFloat16EEEvPT_PKS5_lll.has_indirect_call, 0
	.section	.AMDGPU.csdata,"",@progbits
; Kernel info:
; codeLenInByte = 616
; TotalNumSgprs: 20
; NumVgprs: 14
; ScratchSize: 0
; MemoryBound: 0
; FloatMode: 240
; IeeeMode: 1
; LDSByteSize: 0 bytes/workgroup (compile time only)
; SGPRBlocks: 0
; VGPRBlocks: 0
; NumSGPRsForWavesPerEU: 20
; NumVGPRsForWavesPerEU: 14
; NamedBarCnt: 0
; Occupancy: 16
; WaveLimiterHint : 0
; COMPUTE_PGM_RSRC2:SCRATCH_EN: 0
; COMPUTE_PGM_RSRC2:USER_SGPR: 2
; COMPUTE_PGM_RSRC2:TRAP_HANDLER: 0
; COMPUTE_PGM_RSRC2:TGID_X_EN: 1
; COMPUTE_PGM_RSRC2:TGID_Y_EN: 1
; COMPUTE_PGM_RSRC2:TGID_Z_EN: 1
; COMPUTE_PGM_RSRC2:TIDIG_COMP_CNT: 0
	.section	.text._ZN2at6native12_GLOBAL__N_130reflection_pad1d_backward_flatIN3c108BFloat16EEEvPT_PKS5_llll,"axG",@progbits,_ZN2at6native12_GLOBAL__N_130reflection_pad1d_backward_flatIN3c108BFloat16EEEvPT_PKS5_llll,comdat
	.globl	_ZN2at6native12_GLOBAL__N_130reflection_pad1d_backward_flatIN3c108BFloat16EEEvPT_PKS5_llll ; -- Begin function _ZN2at6native12_GLOBAL__N_130reflection_pad1d_backward_flatIN3c108BFloat16EEEvPT_PKS5_llll
	.p2align	8
	.type	_ZN2at6native12_GLOBAL__N_130reflection_pad1d_backward_flatIN3c108BFloat16EEEvPT_PKS5_llll,@function
_ZN2at6native12_GLOBAL__N_130reflection_pad1d_backward_flatIN3c108BFloat16EEEvPT_PKS5_llll: ; @_ZN2at6native12_GLOBAL__N_130reflection_pad1d_backward_flatIN3c108BFloat16EEEvPT_PKS5_llll
; %bb.0:
	s_load_b32 s2, s[0:1], 0x3c
	s_bfe_u32 s12, ttmp6, 0x4000c
	s_load_b256 s[4:11], s[0:1], 0x10
	v_mov_b32_e32 v2, 0
	s_add_co_i32 s12, s12, 1
	s_and_b32 s3, ttmp6, 15
	s_mul_i32 s12, ttmp9, s12
	s_getreg_b32 s13, hwreg(HW_REG_IB_STS2, 6, 4)
	v_mov_b32_e32 v1, v2
	s_add_co_i32 s3, s3, s12
	s_mov_b32 s12, exec_lo
	s_wait_kmcnt 0x0
	s_and_b32 s2, s2, 0xffff
	s_cmp_eq_u32 s13, 0
	s_mul_u64 s[10:11], s[10:11], s[8:9]
	s_cselect_b32 s3, ttmp9, s3
	s_delay_alu instid0(SALU_CYCLE_1) | instskip(SKIP_1) | instid1(VALU_DEP_1)
	v_mad_nc_u64_u32 v[0:1], s2, s3, v[0:1]
	s_mov_b32 s3, 0
	v_cmpx_gt_i64_e64 s[10:11], v[0:1]
	s_cbranch_execz .LBB56_15
; %bb.1:
	v_cvt_f32_u32_e32 v3, s8
	s_sub_co_i32 s12, 0, s8
	s_add_nc_u64 s[16:17], s[0:1], 48
	s_mov_b32 s21, s3
	s_ashr_i32 s22, s9, 31
	v_rcp_iflag_f32_e32 v3, v3
	s_mov_b32 s28, 0
	v_nop
	s_delay_alu instid0(TRANS32_DEP_1) | instskip(NEXT) | instid1(VALU_DEP_1)
	v_mul_f32_e32 v3, 0x4f7ffffe, v3
	v_cvt_u32_f32_e32 v3, v3
	s_delay_alu instid0(VALU_DEP_1)
	v_mul_lo_u32 v4, s12, v3
	s_load_b32 s20, s[16:17], 0x0
	s_load_b128 s[12:15], s[0:1], 0x0
	s_wait_xcnt 0x0
	s_lshl_b64 s[0:1], s[4:5], 1
	s_mov_b64 s[16:17], 0xffffffff
	s_add_nc_u64 s[18:19], s[0:1], -2
	s_delay_alu instid0(SALU_CYCLE_1) | instskip(SKIP_4) | instid1(VALU_DEP_1)
	v_cmp_gt_i64_e64 s1, s[18:19], 0
	s_ashr_i32 s24, s19, 31
	v_mul_hi_u32 v4, v3, v4
	s_wait_kmcnt 0x0
	s_mul_u64 s[20:21], s[2:3], s[20:21]
	v_add_nc_u32_e32 v10, v3, v4
.LBB56_2:                               ; =>This Loop Header: Depth=1
                                        ;     Child Loop BB56_13 Depth 2
	v_or_b32_e32 v3, s9, v1
                                        ; implicit-def: $vgpr4_vgpr5
	s_mov_b32 s0, exec_lo
	s_delay_alu instid0(VALU_DEP_1)
	v_cmpx_ne_u64_e32 0, v[2:3]
	s_xor_b32 s25, exec_lo, s0
	s_cbranch_execnz .LBB56_5
; %bb.3:                                ;   in Loop: Header=BB56_2 Depth=1
	s_and_not1_saveexec_b32 s0, s25
	s_cbranch_execnz .LBB56_6
.LBB56_4:                               ;   in Loop: Header=BB56_2 Depth=1
	s_or_b32 exec_lo, exec_lo, s0
	v_mov_b64_e32 v[6:7], 0
	s_and_not1_b32 vcc_lo, exec_lo, s1
	s_cbranch_vccz .LBB56_7
	s_branch .LBB56_12
.LBB56_5:                               ;   in Loop: Header=BB56_2 Depth=1
	s_mov_b32 s23, s22
	v_dual_mov_b32 v9, v2 :: v_dual_ashrrev_i32 v4, 31, v1
	s_add_nc_u64 s[26:27], s[8:9], s[22:23]
	v_mov_b32_e32 v19, v2
	s_xor_b64 s[26:27], s[26:27], s[22:23]
	s_delay_alu instid0(VALU_DEP_2) | instskip(SKIP_3) | instid1(VALU_DEP_1)
	v_mov_b32_e32 v5, v4
	s_cvt_f32_u32 s0, s26
	s_cvt_f32_u32 s2, s27
	s_sub_nc_u64 s[34:35], 0, s[26:27]
	v_add_nc_u64_e32 v[6:7], v[0:1], v[4:5]
	s_delay_alu instid0(SALU_CYCLE_1) | instskip(SKIP_1) | instid1(SALU_CYCLE_2)
	s_fmamk_f32 s0, s2, 0x4f800000, s0
	v_mov_b32_e32 v15, v2
	v_s_rcp_f32 s0, s0
	s_delay_alu instid0(VALU_DEP_2) | instskip(NEXT) | instid1(VALU_DEP_3)
	v_xor_b32_e32 v8, v6, v4
	v_xor_b32_e32 v14, v7, v4
	;; [unrolled: 1-line block ×3, first 2 shown]
	s_delay_alu instid0(TRANS32_DEP_1) | instskip(NEXT) | instid1(SALU_CYCLE_3)
	s_mul_f32 s0, s0, 0x5f7ffffc
	s_mul_f32 s2, s0, 0x2f800000
	s_delay_alu instid0(SALU_CYCLE_3) | instskip(NEXT) | instid1(SALU_CYCLE_3)
	s_trunc_f32 s2, s2
	s_fmamk_f32 s0, s2, 0xcf800000, s0
	s_cvt_u32_f32 s31, s2
	s_delay_alu instid0(SALU_CYCLE_2) | instskip(NEXT) | instid1(SALU_CYCLE_3)
	s_cvt_u32_f32 s30, s0
	s_mul_u64 s[36:37], s[34:35], s[30:31]
	s_delay_alu instid0(SALU_CYCLE_1)
	s_mul_hi_u32 s39, s30, s37
	s_mul_i32 s38, s30, s37
	s_mul_hi_u32 s2, s30, s36
	s_mul_i32 s23, s31, s36
	s_add_nc_u64 s[38:39], s[2:3], s[38:39]
	s_mul_hi_u32 s0, s31, s36
	s_mul_hi_u32 s29, s31, s37
	s_add_co_u32 s2, s38, s23
	s_add_co_ci_u32 s2, s39, s0
	s_mul_i32 s36, s31, s37
	s_add_co_ci_u32 s37, s29, 0
	s_delay_alu instid0(SALU_CYCLE_1) | instskip(NEXT) | instid1(SALU_CYCLE_1)
	s_add_nc_u64 s[36:37], s[2:3], s[36:37]
	s_add_co_u32 s30, s30, s36
	s_cselect_b32 s0, -1, 0
	s_delay_alu instid0(SALU_CYCLE_1) | instskip(SKIP_1) | instid1(SALU_CYCLE_1)
	s_cmp_lg_u32 s0, 0
	s_add_co_ci_u32 s31, s31, s37
	s_mul_u64 s[34:35], s[34:35], s[30:31]
	s_delay_alu instid0(SALU_CYCLE_1)
	s_mul_hi_u32 s37, s30, s35
	s_mul_i32 s36, s30, s35
	s_mul_hi_u32 s2, s30, s34
	s_mul_i32 s23, s31, s34
	s_add_nc_u64 s[36:37], s[2:3], s[36:37]
	s_mul_hi_u32 s0, s31, s34
	s_mul_hi_u32 s29, s31, s35
	s_add_co_u32 s2, s36, s23
	s_add_co_ci_u32 s2, s37, s0
	s_mul_i32 s34, s31, s35
	s_add_co_ci_u32 s35, s29, 0
	s_delay_alu instid0(SALU_CYCLE_1) | instskip(NEXT) | instid1(SALU_CYCLE_1)
	s_add_nc_u64 s[34:35], s[2:3], s[34:35]
	s_add_co_u32 s0, s30, s34
	s_cselect_b32 s2, -1, 0
	v_mul_hi_u32 v18, v8, s0
	s_cmp_lg_u32 s2, 0
	s_add_co_ci_u32 s2, s31, s35
	s_and_b64 s[30:31], s[0:1], s[16:17]
	v_mul_u64_e32 v[12:13], s[2:3], v[8:9]
	v_mul_u64_e32 v[6:7], s[30:31], v[14:15]
	;; [unrolled: 1-line block ×3, first 2 shown]
	s_delay_alu instid0(VALU_DEP_3) | instskip(NEXT) | instid1(VALU_DEP_1)
	v_add_nc_u64_e32 v[12:13], v[18:19], v[12:13]
	v_add_co_u32 v3, vcc_lo, v12, v6
	s_delay_alu instid0(VALU_DEP_2) | instskip(NEXT) | instid1(VALU_DEP_4)
	v_add_co_ci_u32_e32 v18, vcc_lo, v13, v7, vcc_lo
	v_add_co_ci_u32_e32 v17, vcc_lo, 0, v17, vcc_lo
	s_delay_alu instid0(VALU_DEP_1) | instskip(NEXT) | instid1(VALU_DEP_1)
	v_add_nc_u64_e32 v[6:7], v[18:19], v[16:17]
	v_mul_u64_e32 v[12:13], s[26:27], v[6:7]
	s_delay_alu instid0(VALU_DEP_1) | instskip(NEXT) | instid1(VALU_DEP_2)
	v_sub_nc_u32_e32 v3, v14, v13
	v_sub_co_u32 v5, vcc_lo, v8, v12
	s_delay_alu instid0(VALU_DEP_1) | instskip(NEXT) | instid1(VALU_DEP_3)
	v_sub_co_ci_u32_e64 v11, null, v14, v13, vcc_lo
	v_subrev_co_ci_u32_e64 v3, null, s27, v3, vcc_lo
	s_delay_alu instid0(VALU_DEP_3) | instskip(SKIP_1) | instid1(VALU_DEP_3)
	v_sub_co_u32 v8, s0, v5, s26
	v_add_nc_u64_e32 v[12:13], 1, v[6:7]
	v_subrev_co_ci_u32_e64 v3, null, 0, v3, s0
	s_delay_alu instid0(VALU_DEP_3) | instskip(SKIP_1) | instid1(VALU_DEP_3)
	v_cmp_le_u32_e32 vcc_lo, s26, v8
	v_cndmask_b32_e64 v8, 0, -1, vcc_lo
	v_cmp_le_u32_e32 vcc_lo, s27, v3
	v_cndmask_b32_e64 v9, 0, -1, vcc_lo
	;; [unrolled: 2-line block ×4, first 2 shown]
	v_cmp_eq_u32_e32 vcc_lo, s27, v3
	v_cndmask_b32_e32 v3, v9, v8, vcc_lo
	v_cmp_eq_u32_e32 vcc_lo, s27, v11
	v_add_nc_u64_e32 v[8:9], 2, v[6:7]
	v_cndmask_b32_e32 v5, v14, v5, vcc_lo
	s_delay_alu instid0(VALU_DEP_4) | instskip(NEXT) | instid1(VALU_DEP_2)
	v_cmp_ne_u32_e32 vcc_lo, 0, v3
	v_cmp_ne_u32_e64 s0, 0, v5
	s_delay_alu instid0(VALU_DEP_4) | instskip(NEXT) | instid1(VALU_DEP_1)
	v_dual_cndmask_b32 v3, v13, v9, vcc_lo :: v_dual_cndmask_b32 v5, v12, v8, vcc_lo
	v_dual_cndmask_b32 v6, v6, v5, s0 :: v_dual_mov_b32 v5, v4
	s_delay_alu instid0(VALU_DEP_1) | instskip(NEXT) | instid1(VALU_DEP_1)
	v_dual_cndmask_b32 v3, v7, v3, s0 :: v_dual_bitop2_b32 v6, v6, v4 bitop3:0x14
	v_xor_b32_e32 v7, v3, v4
	s_delay_alu instid0(VALU_DEP_1)
	v_sub_nc_u64_e32 v[4:5], v[6:7], v[4:5]
	s_and_not1_saveexec_b32 s0, s25
	s_cbranch_execz .LBB56_4
.LBB56_6:                               ;   in Loop: Header=BB56_2 Depth=1
	v_mul_hi_u32 v3, v0, v10
	s_delay_alu instid0(VALU_DEP_1) | instskip(NEXT) | instid1(VALU_DEP_1)
	v_mul_lo_u32 v4, v3, s8
	v_dual_add_nc_u32 v5, 1, v3 :: v_dual_sub_nc_u32 v4, v0, v4
	s_delay_alu instid0(VALU_DEP_1) | instskip(SKIP_1) | instid1(VALU_DEP_2)
	v_subrev_nc_u32_e32 v6, s8, v4
	v_cmp_le_u32_e32 vcc_lo, s8, v4
	v_dual_cndmask_b32 v4, v4, v6 :: v_dual_cndmask_b32 v3, v3, v5
	s_delay_alu instid0(VALU_DEP_1) | instskip(NEXT) | instid1(VALU_DEP_2)
	v_cmp_le_u32_e32 vcc_lo, s8, v4
	v_add_nc_u32_e32 v5, 1, v3
	s_delay_alu instid0(VALU_DEP_1)
	v_dual_cndmask_b32 v4, v3, v5 :: v_dual_mov_b32 v5, v2
	s_or_b32 exec_lo, exec_lo, s0
	v_mov_b64_e32 v[6:7], 0
	s_and_not1_b32 vcc_lo, exec_lo, s1
	s_cbranch_vccnz .LBB56_12
.LBB56_7:                               ;   in Loop: Header=BB56_2 Depth=1
	v_mad_nc_u64_u32 v[6:7], s8, v4, s[6:7]
                                        ; implicit-def: $vgpr8_vgpr9
	s_mov_b32 s0, exec_lo
	s_delay_alu instid0(VALU_DEP_1) | instskip(NEXT) | instid1(VALU_DEP_1)
	v_mad_u32 v3, s9, v4, v7
	v_mad_u32 v7, s8, v5, v3
	s_delay_alu instid0(VALU_DEP_1) | instskip(NEXT) | instid1(VALU_DEP_1)
	v_sub_nc_u64_e32 v[6:7], v[0:1], v[6:7]
	v_or_b32_e32 v3, s19, v7
	s_delay_alu instid0(VALU_DEP_1)
	v_cmpx_ne_u64_e32 0, v[2:3]
	s_xor_b32 s23, exec_lo, s0
	s_cbranch_execz .LBB56_9
; %bb.8:                                ;   in Loop: Header=BB56_2 Depth=1
	s_mov_b32 s25, s24
	v_dual_mov_b32 v13, v2 :: v_dual_ashrrev_i32 v8, 31, v7
	s_add_nc_u64 s[26:27], s[18:19], s[24:25]
	s_delay_alu instid0(SALU_CYCLE_1) | instskip(NEXT) | instid1(VALU_DEP_1)
	s_xor_b64 s[26:27], s[26:27], s[24:25]
	v_mov_b32_e32 v9, v8
	s_cvt_f32_u32 s0, s26
	s_cvt_f32_u32 s2, s27
	s_sub_nc_u64 s[34:35], 0, s[26:27]
	s_delay_alu instid0(VALU_DEP_1) | instskip(NEXT) | instid1(SALU_CYCLE_1)
	v_add_nc_u64_e32 v[6:7], v[6:7], v[8:9]
	s_fmamk_f32 s0, s2, 0x4f800000, s0
	v_mov_b32_e32 v17, v2
	s_delay_alu instid0(SALU_CYCLE_2) | instskip(NEXT) | instid1(VALU_DEP_2)
	v_s_rcp_f32 s0, s0
	v_xor_b32_e32 v12, v6, v8
	s_delay_alu instid0(VALU_DEP_3) | instskip(NEXT) | instid1(TRANS32_DEP_1)
	v_dual_mov_b32 v21, v2 :: v_dual_bitop2_b32 v16, v7, v8 bitop3:0x14
	s_mul_f32 s0, s0, 0x5f7ffffc
	s_delay_alu instid0(SALU_CYCLE_3) | instskip(NEXT) | instid1(SALU_CYCLE_3)
	s_mul_f32 s2, s0, 0x2f800000
	s_trunc_f32 s2, s2
	s_delay_alu instid0(SALU_CYCLE_3) | instskip(SKIP_1) | instid1(SALU_CYCLE_2)
	s_fmamk_f32 s0, s2, 0xcf800000, s0
	s_cvt_u32_f32 s31, s2
	s_cvt_u32_f32 s30, s0
	s_delay_alu instid0(SALU_CYCLE_3) | instskip(NEXT) | instid1(SALU_CYCLE_1)
	s_mul_u64 s[36:37], s[34:35], s[30:31]
	s_mul_hi_u32 s39, s30, s37
	s_mul_i32 s38, s30, s37
	s_mul_hi_u32 s2, s30, s36
	s_mul_i32 s25, s31, s36
	s_add_nc_u64 s[38:39], s[2:3], s[38:39]
	s_mul_hi_u32 s0, s31, s36
	s_mul_hi_u32 s29, s31, s37
	s_add_co_u32 s2, s38, s25
	s_add_co_ci_u32 s2, s39, s0
	s_mul_i32 s36, s31, s37
	s_add_co_ci_u32 s37, s29, 0
	s_delay_alu instid0(SALU_CYCLE_1) | instskip(NEXT) | instid1(SALU_CYCLE_1)
	s_add_nc_u64 s[36:37], s[2:3], s[36:37]
	s_add_co_u32 s30, s30, s36
	s_cselect_b32 s0, -1, 0
	s_delay_alu instid0(SALU_CYCLE_1) | instskip(SKIP_1) | instid1(SALU_CYCLE_1)
	s_cmp_lg_u32 s0, 0
	s_add_co_ci_u32 s31, s31, s37
	s_mul_u64 s[34:35], s[34:35], s[30:31]
	s_delay_alu instid0(SALU_CYCLE_1)
	s_mul_hi_u32 s37, s30, s35
	s_mul_i32 s36, s30, s35
	s_mul_hi_u32 s2, s30, s34
	s_mul_i32 s25, s31, s34
	s_add_nc_u64 s[36:37], s[2:3], s[36:37]
	s_mul_hi_u32 s0, s31, s34
	s_mul_hi_u32 s29, s31, s35
	s_add_co_u32 s2, s36, s25
	s_add_co_ci_u32 s2, s37, s0
	s_mul_i32 s34, s31, s35
	s_add_co_ci_u32 s35, s29, 0
	s_delay_alu instid0(SALU_CYCLE_1) | instskip(NEXT) | instid1(SALU_CYCLE_1)
	s_add_nc_u64 s[34:35], s[2:3], s[34:35]
	s_add_co_u32 s0, s30, s34
	s_cselect_b32 s2, -1, 0
	v_mul_hi_u32 v20, v12, s0
	s_cmp_lg_u32 s2, 0
	s_add_co_ci_u32 s2, s31, s35
	s_and_b64 s[30:31], s[0:1], s[16:17]
	v_mul_u64_e32 v[14:15], s[2:3], v[12:13]
	v_mul_u64_e32 v[6:7], s[30:31], v[16:17]
	;; [unrolled: 1-line block ×3, first 2 shown]
	s_delay_alu instid0(VALU_DEP_3) | instskip(NEXT) | instid1(VALU_DEP_1)
	v_add_nc_u64_e32 v[14:15], v[20:21], v[14:15]
	v_add_co_u32 v3, vcc_lo, v14, v6
	s_delay_alu instid0(VALU_DEP_2) | instskip(NEXT) | instid1(VALU_DEP_4)
	v_add_co_ci_u32_e32 v20, vcc_lo, v15, v7, vcc_lo
	v_add_co_ci_u32_e32 v19, vcc_lo, 0, v19, vcc_lo
	s_delay_alu instid0(VALU_DEP_1) | instskip(NEXT) | instid1(VALU_DEP_1)
	v_add_nc_u64_e32 v[6:7], v[20:21], v[18:19]
	v_mul_u64_e32 v[6:7], s[26:27], v[6:7]
	s_delay_alu instid0(VALU_DEP_1) | instskip(NEXT) | instid1(VALU_DEP_2)
	v_sub_nc_u32_e32 v3, v16, v7
	v_sub_co_u32 v6, vcc_lo, v12, v6
	s_delay_alu instid0(VALU_DEP_1) | instskip(NEXT) | instid1(VALU_DEP_3)
	v_sub_co_ci_u32_e64 v7, null, v16, v7, vcc_lo
	v_subrev_co_ci_u32_e64 v3, null, s27, v3, vcc_lo
	s_delay_alu instid0(VALU_DEP_3) | instskip(SKIP_1) | instid1(VALU_DEP_3)
	v_sub_co_u32 v11, vcc_lo, v6, s26
	v_cmp_le_u32_e64 s0, s26, v6
	v_subrev_co_ci_u32_e64 v12, null, 0, v3, vcc_lo
	v_subrev_co_ci_u32_e64 v3, null, s27, v3, vcc_lo
	s_delay_alu instid0(VALU_DEP_3) | instskip(SKIP_2) | instid1(VALU_DEP_2)
	v_cndmask_b32_e64 v13, 0, -1, s0
	v_cmp_le_u32_e64 s0, s26, v11
	v_cmp_le_u32_e32 vcc_lo, s27, v7
	v_cndmask_b32_e64 v14, 0, -1, s0
	v_cmp_le_u32_e64 s0, s27, v12
	v_cndmask_b32_e64 v16, 0, -1, vcc_lo
	v_cmp_eq_u32_e32 vcc_lo, s27, v12
	s_delay_alu instid0(VALU_DEP_3) | instskip(SKIP_1) | instid1(VALU_DEP_1)
	v_cndmask_b32_e64 v15, 0, -1, s0
	v_cmp_eq_u32_e64 s0, s27, v7
	v_dual_cndmask_b32 v14, v15, v14, vcc_lo :: v_dual_cndmask_b32 v13, v16, v13, s0
	v_sub_co_u32 v15, vcc_lo, v11, s26
	s_delay_alu instid0(VALU_DEP_1) | instskip(NEXT) | instid1(VALU_DEP_3)
	v_subrev_co_ci_u32_e64 v3, null, 0, v3, vcc_lo
	v_cmp_ne_u32_e32 vcc_lo, 0, v14
	s_delay_alu instid0(VALU_DEP_2) | instskip(NEXT) | instid1(VALU_DEP_4)
	v_cndmask_b32_e32 v3, v12, v3, vcc_lo
	v_cndmask_b32_e32 v11, v11, v15, vcc_lo
	v_cmp_ne_u32_e32 vcc_lo, 0, v13
	s_delay_alu instid0(VALU_DEP_2) | instskip(NEXT) | instid1(VALU_DEP_1)
	v_cndmask_b32_e32 v6, v6, v11, vcc_lo
	v_dual_cndmask_b32 v3, v7, v3, vcc_lo :: v_dual_bitop2_b32 v6, v6, v8 bitop3:0x14
	s_delay_alu instid0(VALU_DEP_1) | instskip(NEXT) | instid1(VALU_DEP_1)
	v_xor_b32_e32 v7, v3, v8
	v_sub_nc_u64_e32 v[8:9], v[6:7], v[8:9]
                                        ; implicit-def: $vgpr6_vgpr7
.LBB56_9:                               ;   in Loop: Header=BB56_2 Depth=1
	s_and_not1_saveexec_b32 s0, s23
	s_cbranch_execz .LBB56_11
; %bb.10:                               ;   in Loop: Header=BB56_2 Depth=1
	v_cvt_f32_u32_e32 v3, s18
	s_sub_co_i32 s2, 0, s18
	v_mov_b32_e32 v9, v2
	s_delay_alu instid0(VALU_DEP_2) | instskip(SKIP_1) | instid1(TRANS32_DEP_1)
	v_rcp_iflag_f32_e32 v3, v3
	v_nop
	v_mul_f32_e32 v3, 0x4f7ffffe, v3
	s_delay_alu instid0(VALU_DEP_1) | instskip(NEXT) | instid1(VALU_DEP_1)
	v_cvt_u32_f32_e32 v3, v3
	v_mul_lo_u32 v7, s2, v3
	s_delay_alu instid0(VALU_DEP_1) | instskip(NEXT) | instid1(VALU_DEP_1)
	v_mul_hi_u32 v7, v3, v7
	v_add_nc_u32_e32 v3, v3, v7
	s_delay_alu instid0(VALU_DEP_1) | instskip(NEXT) | instid1(VALU_DEP_1)
	v_mul_hi_u32 v3, v6, v3
	v_mul_lo_u32 v3, v3, s18
	s_delay_alu instid0(VALU_DEP_1) | instskip(NEXT) | instid1(VALU_DEP_1)
	v_sub_nc_u32_e32 v3, v6, v3
	v_subrev_nc_u32_e32 v6, s18, v3
	v_cmp_le_u32_e32 vcc_lo, s18, v3
	s_delay_alu instid0(VALU_DEP_2) | instskip(NEXT) | instid1(VALU_DEP_1)
	v_cndmask_b32_e32 v3, v3, v6, vcc_lo
	v_subrev_nc_u32_e32 v6, s18, v3
	v_cmp_le_u32_e32 vcc_lo, s18, v3
	s_delay_alu instid0(VALU_DEP_2)
	v_cndmask_b32_e32 v8, v3, v6, vcc_lo
.LBB56_11:                              ;   in Loop: Header=BB56_2 Depth=1
	s_or_b32 exec_lo, exec_lo, s0
	s_delay_alu instid0(VALU_DEP_1) | instskip(NEXT) | instid1(VALU_DEP_1)
	v_ashrrev_i32_e32 v3, 31, v9
	v_and_b32_e32 v7, s19, v3
	v_and_b32_e32 v6, s18, v3
	s_delay_alu instid0(VALU_DEP_1) | instskip(NEXT) | instid1(VALU_DEP_1)
	v_add_nc_u64_e32 v[6:7], v[6:7], v[8:9]
	v_sub_nc_u64_e32 v[8:9], s[18:19], v[6:7]
	v_cmp_gt_i64_e32 vcc_lo, s[4:5], v[6:7]
	s_delay_alu instid0(VALU_DEP_2)
	v_dual_cndmask_b32 v7, v9, v7 :: v_dual_cndmask_b32 v6, v8, v6
.LBB56_12:                              ;   in Loop: Header=BB56_2 Depth=1
	v_mul_u64_e32 v[4:5], s[4:5], v[4:5]
	v_lshl_add_u64 v[12:13], v[0:1], 1, s[14:15]
	s_mov_b32 s2, 0
	v_mov_b32_e32 v9, v2
	s_delay_alu instid0(VALU_DEP_3) | instskip(NEXT) | instid1(VALU_DEP_1)
	v_lshl_add_u64 v[4:5], v[4:5], 1, s[12:13]
	v_lshl_add_u64 v[4:5], v[6:7], 1, v[4:5]
	s_delay_alu instid0(VALU_DEP_1) | instskip(NEXT) | instid1(VALU_DEP_1)
	v_and_b32_e32 v8, 2, v4
	v_sub_nc_u64_e32 v[6:7], 0, v[8:9]
	v_cmp_eq_u64_e32 vcc_lo, 0, v[8:9]
	s_delay_alu instid0(VALU_DEP_2)
	v_add_nc_u64_e32 v[4:5], v[4:5], v[6:7]
	global_load_u16 v3, v[12:13], off
	global_load_b32 v7, v[4:5], off
	s_wait_loadcnt 0x1
	v_lshlrev_b32_e32 v3, 16, v3
.LBB56_13:                              ;   Parent Loop BB56_2 Depth=1
                                        ; =>  This Inner Loop Header: Depth=2
	s_wait_loadcnt 0x0
	v_lshrrev_b32_e32 v6, 16, v7
	v_and_b32_e32 v8, 0xffff, v7
	s_delay_alu instid0(VALU_DEP_1) | instskip(NEXT) | instid1(VALU_DEP_1)
	v_cndmask_b32_e32 v6, v6, v8, vcc_lo
	v_lshlrev_b32_e32 v6, 16, v6
	s_delay_alu instid0(VALU_DEP_1) | instskip(NEXT) | instid1(VALU_DEP_1)
	v_add_f32_e32 v6, v3, v6
	v_bfe_u32 v9, v6, 16, 1
	v_cmp_o_f32_e64 s0, v6, v6
	s_delay_alu instid0(VALU_DEP_2) | instskip(NEXT) | instid1(VALU_DEP_1)
	v_add3_u32 v9, v6, v9, 0x7fff
	v_lshrrev_b32_e32 v9, 16, v9
	s_delay_alu instid0(VALU_DEP_1) | instskip(NEXT) | instid1(VALU_DEP_1)
	v_cndmask_b32_e64 v6, 0x7fc0, v9, s0
	v_lshl_or_b32 v8, v6, 16, v8
	v_and_or_b32 v6, 0xffff0000, v7, v6
	s_delay_alu instid0(VALU_DEP_1)
	v_cndmask_b32_e32 v6, v8, v6, vcc_lo
	global_atomic_cmpswap_b32 v6, v[4:5], v[6:7], off th:TH_ATOMIC_RETURN scope:SCOPE_DEV
	s_wait_loadcnt 0x0
	v_cmp_eq_u32_e64 s0, v7, v6
	v_mov_b32_e32 v7, v6
	s_or_b32 s2, s0, s2
	s_delay_alu instid0(SALU_CYCLE_1)
	s_and_not1_b32 exec_lo, exec_lo, s2
	s_cbranch_execnz .LBB56_13
; %bb.14:                               ;   in Loop: Header=BB56_2 Depth=1
	s_or_b32 exec_lo, exec_lo, s2
	v_add_nc_u64_e32 v[0:1], s[20:21], v[0:1]
	s_delay_alu instid0(VALU_DEP_1) | instskip(SKIP_1) | instid1(SALU_CYCLE_1)
	v_cmp_le_i64_e32 vcc_lo, s[10:11], v[0:1]
	s_or_b32 s28, vcc_lo, s28
	s_and_not1_b32 exec_lo, exec_lo, s28
	s_cbranch_execnz .LBB56_2
.LBB56_15:
	s_endpgm
	.section	.rodata,"a",@progbits
	.p2align	6, 0x0
	.amdhsa_kernel _ZN2at6native12_GLOBAL__N_130reflection_pad1d_backward_flatIN3c108BFloat16EEEvPT_PKS5_llll
		.amdhsa_group_segment_fixed_size 0
		.amdhsa_private_segment_fixed_size 0
		.amdhsa_kernarg_size 304
		.amdhsa_user_sgpr_count 2
		.amdhsa_user_sgpr_dispatch_ptr 0
		.amdhsa_user_sgpr_queue_ptr 0
		.amdhsa_user_sgpr_kernarg_segment_ptr 1
		.amdhsa_user_sgpr_dispatch_id 0
		.amdhsa_user_sgpr_kernarg_preload_length 0
		.amdhsa_user_sgpr_kernarg_preload_offset 0
		.amdhsa_user_sgpr_private_segment_size 0
		.amdhsa_wavefront_size32 1
		.amdhsa_uses_dynamic_stack 0
		.amdhsa_enable_private_segment 0
		.amdhsa_system_sgpr_workgroup_id_x 1
		.amdhsa_system_sgpr_workgroup_id_y 0
		.amdhsa_system_sgpr_workgroup_id_z 0
		.amdhsa_system_sgpr_workgroup_info 0
		.amdhsa_system_vgpr_workitem_id 0
		.amdhsa_next_free_vgpr 22
		.amdhsa_next_free_sgpr 40
		.amdhsa_named_barrier_count 0
		.amdhsa_reserve_vcc 1
		.amdhsa_float_round_mode_32 0
		.amdhsa_float_round_mode_16_64 0
		.amdhsa_float_denorm_mode_32 3
		.amdhsa_float_denorm_mode_16_64 3
		.amdhsa_fp16_overflow 0
		.amdhsa_memory_ordered 1
		.amdhsa_forward_progress 1
		.amdhsa_inst_pref_size 17
		.amdhsa_round_robin_scheduling 0
		.amdhsa_exception_fp_ieee_invalid_op 0
		.amdhsa_exception_fp_denorm_src 0
		.amdhsa_exception_fp_ieee_div_zero 0
		.amdhsa_exception_fp_ieee_overflow 0
		.amdhsa_exception_fp_ieee_underflow 0
		.amdhsa_exception_fp_ieee_inexact 0
		.amdhsa_exception_int_div_zero 0
	.end_amdhsa_kernel
	.section	.text._ZN2at6native12_GLOBAL__N_130reflection_pad1d_backward_flatIN3c108BFloat16EEEvPT_PKS5_llll,"axG",@progbits,_ZN2at6native12_GLOBAL__N_130reflection_pad1d_backward_flatIN3c108BFloat16EEEvPT_PKS5_llll,comdat
.Lfunc_end56:
	.size	_ZN2at6native12_GLOBAL__N_130reflection_pad1d_backward_flatIN3c108BFloat16EEEvPT_PKS5_llll, .Lfunc_end56-_ZN2at6native12_GLOBAL__N_130reflection_pad1d_backward_flatIN3c108BFloat16EEEvPT_PKS5_llll
                                        ; -- End function
	.set _ZN2at6native12_GLOBAL__N_130reflection_pad1d_backward_flatIN3c108BFloat16EEEvPT_PKS5_llll.num_vgpr, 22
	.set _ZN2at6native12_GLOBAL__N_130reflection_pad1d_backward_flatIN3c108BFloat16EEEvPT_PKS5_llll.num_agpr, 0
	.set _ZN2at6native12_GLOBAL__N_130reflection_pad1d_backward_flatIN3c108BFloat16EEEvPT_PKS5_llll.numbered_sgpr, 40
	.set _ZN2at6native12_GLOBAL__N_130reflection_pad1d_backward_flatIN3c108BFloat16EEEvPT_PKS5_llll.num_named_barrier, 0
	.set _ZN2at6native12_GLOBAL__N_130reflection_pad1d_backward_flatIN3c108BFloat16EEEvPT_PKS5_llll.private_seg_size, 0
	.set _ZN2at6native12_GLOBAL__N_130reflection_pad1d_backward_flatIN3c108BFloat16EEEvPT_PKS5_llll.uses_vcc, 1
	.set _ZN2at6native12_GLOBAL__N_130reflection_pad1d_backward_flatIN3c108BFloat16EEEvPT_PKS5_llll.uses_flat_scratch, 0
	.set _ZN2at6native12_GLOBAL__N_130reflection_pad1d_backward_flatIN3c108BFloat16EEEvPT_PKS5_llll.has_dyn_sized_stack, 0
	.set _ZN2at6native12_GLOBAL__N_130reflection_pad1d_backward_flatIN3c108BFloat16EEEvPT_PKS5_llll.has_recursion, 0
	.set _ZN2at6native12_GLOBAL__N_130reflection_pad1d_backward_flatIN3c108BFloat16EEEvPT_PKS5_llll.has_indirect_call, 0
	.section	.AMDGPU.csdata,"",@progbits
; Kernel info:
; codeLenInByte = 2064
; TotalNumSgprs: 42
; NumVgprs: 22
; ScratchSize: 0
; MemoryBound: 0
; FloatMode: 240
; IeeeMode: 1
; LDSByteSize: 0 bytes/workgroup (compile time only)
; SGPRBlocks: 0
; VGPRBlocks: 1
; NumSGPRsForWavesPerEU: 42
; NumVGPRsForWavesPerEU: 22
; NamedBarCnt: 0
; Occupancy: 16
; WaveLimiterHint : 0
; COMPUTE_PGM_RSRC2:SCRATCH_EN: 0
; COMPUTE_PGM_RSRC2:USER_SGPR: 2
; COMPUTE_PGM_RSRC2:TRAP_HANDLER: 0
; COMPUTE_PGM_RSRC2:TGID_X_EN: 1
; COMPUTE_PGM_RSRC2:TGID_Y_EN: 0
; COMPUTE_PGM_RSRC2:TGID_Z_EN: 0
; COMPUTE_PGM_RSRC2:TIDIG_COMP_CNT: 0
	.section	.text._ZN2at6native12_GLOBAL__N_127reflection_pad3d_out_kernelIhEEvN5torch10headeronly6detail27GenericPackedTensorAccessorINS5_14TensorAccessorIN3c108ArrayRefIlEEKT_Lm4ENS4_16DefaultPtrTraitsElEENS_6detail16IndexBoundsCheckILm5ElEESC_Lm5ESD_lEENS6_INS7_ISA_SB_Lm4ESD_lEESH_SB_Lm5ESD_lEElllll,"axG",@progbits,_ZN2at6native12_GLOBAL__N_127reflection_pad3d_out_kernelIhEEvN5torch10headeronly6detail27GenericPackedTensorAccessorINS5_14TensorAccessorIN3c108ArrayRefIlEEKT_Lm4ENS4_16DefaultPtrTraitsElEENS_6detail16IndexBoundsCheckILm5ElEESC_Lm5ESD_lEENS6_INS7_ISA_SB_Lm4ESD_lEESH_SB_Lm5ESD_lEElllll,comdat
	.globl	_ZN2at6native12_GLOBAL__N_127reflection_pad3d_out_kernelIhEEvN5torch10headeronly6detail27GenericPackedTensorAccessorINS5_14TensorAccessorIN3c108ArrayRefIlEEKT_Lm4ENS4_16DefaultPtrTraitsElEENS_6detail16IndexBoundsCheckILm5ElEESC_Lm5ESD_lEENS6_INS7_ISA_SB_Lm4ESD_lEESH_SB_Lm5ESD_lEElllll ; -- Begin function _ZN2at6native12_GLOBAL__N_127reflection_pad3d_out_kernelIhEEvN5torch10headeronly6detail27GenericPackedTensorAccessorINS5_14TensorAccessorIN3c108ArrayRefIlEEKT_Lm4ENS4_16DefaultPtrTraitsElEENS_6detail16IndexBoundsCheckILm5ElEESC_Lm5ESD_lEENS6_INS7_ISA_SB_Lm4ESD_lEESH_SB_Lm5ESD_lEElllll
	.p2align	8
	.type	_ZN2at6native12_GLOBAL__N_127reflection_pad3d_out_kernelIhEEvN5torch10headeronly6detail27GenericPackedTensorAccessorINS5_14TensorAccessorIN3c108ArrayRefIlEEKT_Lm4ENS4_16DefaultPtrTraitsElEENS_6detail16IndexBoundsCheckILm5ElEESC_Lm5ESD_lEENS6_INS7_ISA_SB_Lm4ESD_lEESH_SB_Lm5ESD_lEElllll,@function
_ZN2at6native12_GLOBAL__N_127reflection_pad3d_out_kernelIhEEvN5torch10headeronly6detail27GenericPackedTensorAccessorINS5_14TensorAccessorIN3c108ArrayRefIlEEKT_Lm4ENS4_16DefaultPtrTraitsElEENS_6detail16IndexBoundsCheckILm5ElEESC_Lm5ESD_lEENS6_INS7_ISA_SB_Lm4ESD_lEESH_SB_Lm5ESD_lEElllll: ; @_ZN2at6native12_GLOBAL__N_127reflection_pad3d_out_kernelIhEEvN5torch10headeronly6detail27GenericPackedTensorAccessorINS5_14TensorAccessorIN3c108ArrayRefIlEEKT_Lm4ENS4_16DefaultPtrTraitsElEENS_6detail16IndexBoundsCheckILm5ElEESC_Lm5ESD_lEENS6_INS7_ISA_SB_Lm4ESD_lEESH_SB_Lm5ESD_lEElllll
; %bb.0:
	s_clause 0x2
	s_load_b32 s2, s[0:1], 0xe4
	s_load_b128 s[4:7], s[0:1], 0x70
	s_load_b64 s[28:29], s[0:1], 0x80
	s_bfe_u32 s3, ttmp6, 0x4000c
	v_mov_b32_e32 v2, 0
	s_add_co_i32 s3, s3, 1
	s_and_b32 s8, ttmp6, 15
	s_mul_i32 s3, ttmp9, s3
	s_getreg_b32 s33, hwreg(HW_REG_IB_STS2, 6, 4)
	v_mov_b32_e32 v1, v2
	s_add_co_i32 s8, s8, s3
	s_wait_kmcnt 0x0
	s_and_b32 s2, s2, 0xffff
	s_cmp_eq_u32 s33, 0
	s_mul_u64 s[30:31], s[28:29], s[6:7]
	s_cselect_b32 s3, ttmp9, s8
	s_delay_alu instid0(SALU_CYCLE_1)
	v_mad_nc_u64_u32 v[0:1], s2, s3, v[0:1]
	s_mul_u64 s[2:3], s[30:31], s[4:5]
	s_delay_alu instid0(VALU_DEP_1) | instid1(SALU_CYCLE_1)
	v_cmp_gt_i64_e32 vcc_lo, s[2:3], v[0:1]
	s_and_saveexec_b32 s2, vcc_lo
	s_cbranch_execz .LBB57_14
; %bb.1:
	v_or_b32_e32 v3, s29, v1
                                        ; implicit-def: $vgpr4_vgpr5
	s_delay_alu instid0(VALU_DEP_1) | instskip(SKIP_2) | instid1(SALU_CYCLE_1)
	v_cmp_ne_u64_e32 vcc_lo, 0, v[2:3]
	v_ashrrev_i32_e32 v2, 31, v1
	s_and_saveexec_b32 s2, vcc_lo
	s_xor_b32 s3, exec_lo, s2
	s_cbranch_execz .LBB57_3
; %bb.2:
	s_ashr_i32 s4, s29, 31
	s_mov_b32 s17, 0
	s_mov_b32 s5, s4
	v_dual_mov_b32 v3, v2 :: v_dual_mov_b32 v7, 0
	s_add_nc_u64 s[8:9], s[28:29], s[4:5]
	s_delay_alu instid0(SALU_CYCLE_1) | instskip(NEXT) | instid1(VALU_DEP_1)
	s_xor_b64 s[8:9], s[8:9], s[4:5]
	v_add_nc_u64_e32 v[4:5], v[0:1], v[2:3]
	s_cvt_f32_u32 s2, s8
	s_cvt_f32_u32 s5, s9
	s_sub_nc_u64 s[12:13], 0, s[8:9]
	v_dual_mov_b32 v9, v7 :: v_dual_mov_b32 v15, v7
	s_delay_alu instid0(SALU_CYCLE_1) | instskip(NEXT) | instid1(VALU_DEP_2)
	s_fmamk_f32 s2, s5, 0x4f800000, s2
	v_xor_b32_e32 v6, v4, v2
	v_xor_b32_e32 v8, v5, v2
	s_delay_alu instid0(SALU_CYCLE_1) | instskip(NEXT) | instid1(TRANS32_DEP_1)
	v_s_rcp_f32 s2, s2
	s_mul_f32 s2, s2, 0x5f7ffffc
	s_delay_alu instid0(SALU_CYCLE_3) | instskip(NEXT) | instid1(SALU_CYCLE_3)
	s_mul_f32 s5, s2, 0x2f800000
	s_trunc_f32 s5, s5
	s_delay_alu instid0(SALU_CYCLE_3) | instskip(SKIP_1) | instid1(SALU_CYCLE_2)
	s_fmamk_f32 s2, s5, 0xcf800000, s2
	s_cvt_u32_f32 s11, s5
	s_cvt_u32_f32 s10, s2
	s_delay_alu instid0(SALU_CYCLE_3) | instskip(NEXT) | instid1(SALU_CYCLE_1)
	s_mul_u64 s[14:15], s[12:13], s[10:11]
	s_mul_hi_u32 s19, s10, s15
	s_mul_i32 s18, s10, s15
	s_mul_hi_u32 s16, s10, s14
	s_mul_i32 s5, s11, s14
	s_add_nc_u64 s[18:19], s[16:17], s[18:19]
	s_mul_hi_u32 s2, s11, s14
	s_mul_hi_u32 s20, s11, s15
	s_add_co_u32 s5, s18, s5
	s_add_co_ci_u32 s16, s19, s2
	s_mul_i32 s14, s11, s15
	s_add_co_ci_u32 s15, s20, 0
	s_delay_alu instid0(SALU_CYCLE_1) | instskip(NEXT) | instid1(SALU_CYCLE_1)
	s_add_nc_u64 s[14:15], s[16:17], s[14:15]
	s_add_co_u32 s10, s10, s14
	s_cselect_b32 s2, -1, 0
	s_delay_alu instid0(SALU_CYCLE_1) | instskip(SKIP_1) | instid1(SALU_CYCLE_1)
	s_cmp_lg_u32 s2, 0
	s_add_co_ci_u32 s11, s11, s15
	s_mul_u64 s[12:13], s[12:13], s[10:11]
	s_delay_alu instid0(SALU_CYCLE_1)
	s_mul_hi_u32 s15, s10, s13
	s_mul_i32 s14, s10, s13
	s_mul_hi_u32 s16, s10, s12
	s_mul_i32 s5, s11, s12
	s_add_nc_u64 s[14:15], s[16:17], s[14:15]
	s_mul_hi_u32 s2, s11, s12
	s_mul_hi_u32 s18, s11, s13
	s_add_co_u32 s5, s14, s5
	s_add_co_ci_u32 s16, s15, s2
	s_mul_i32 s12, s11, s13
	s_add_co_ci_u32 s13, s18, 0
	s_delay_alu instid0(SALU_CYCLE_1) | instskip(NEXT) | instid1(SALU_CYCLE_1)
	s_add_nc_u64 s[12:13], s[16:17], s[12:13]
	s_add_co_u32 s2, s10, s12
	s_cselect_b32 s5, -1, 0
	v_nop
	v_mul_hi_u32 v14, v6, s2
	s_cmp_lg_u32 s5, 0
	s_add_co_ci_u32 s16, s11, s13
	s_mov_b64 s[10:11], 0xffffffff
	v_mul_u64_e32 v[10:11], s[16:17], v[6:7]
	s_and_b64 s[10:11], s[2:3], s[10:11]
	v_mul_u64_e32 v[12:13], s[16:17], v[8:9]
	v_mul_u64_e32 v[4:5], s[10:11], v[8:9]
	s_delay_alu instid0(VALU_DEP_3) | instskip(NEXT) | instid1(VALU_DEP_1)
	v_add_nc_u64_e32 v[10:11], v[14:15], v[10:11]
	v_add_co_u32 v3, vcc_lo, v10, v4
	s_delay_alu instid0(VALU_DEP_2) | instskip(SKIP_1) | instid1(VALU_DEP_1)
	v_add_co_ci_u32_e32 v14, vcc_lo, v11, v5, vcc_lo
	v_add_co_ci_u32_e32 v13, vcc_lo, 0, v13, vcc_lo
	v_add_nc_u64_e32 v[4:5], v[14:15], v[12:13]
	s_delay_alu instid0(VALU_DEP_1) | instskip(NEXT) | instid1(VALU_DEP_1)
	v_mul_u64_e32 v[10:11], s[8:9], v[4:5]
	v_sub_nc_u32_e32 v3, v8, v11
	s_delay_alu instid0(VALU_DEP_2) | instskip(NEXT) | instid1(VALU_DEP_1)
	v_sub_co_u32 v6, vcc_lo, v6, v10
	v_sub_co_ci_u32_e64 v10, null, v8, v11, vcc_lo
	s_delay_alu instid0(VALU_DEP_3) | instskip(NEXT) | instid1(VALU_DEP_3)
	v_subrev_co_ci_u32_e64 v3, null, s9, v3, vcc_lo
	v_sub_co_u32 v7, s2, v6, s8
	s_delay_alu instid0(VALU_DEP_1) | instskip(NEXT) | instid1(VALU_DEP_2)
	v_subrev_co_ci_u32_e64 v3, null, 0, v3, s2
	v_cmp_le_u32_e32 vcc_lo, s8, v7
	v_cndmask_b32_e64 v7, 0, -1, vcc_lo
	s_delay_alu instid0(VALU_DEP_3)
	v_cmp_le_u32_e32 vcc_lo, s9, v3
	v_cndmask_b32_e64 v8, 0, -1, vcc_lo
	v_cmp_le_u32_e32 vcc_lo, s8, v6
	v_cndmask_b32_e64 v11, 0, -1, vcc_lo
	;; [unrolled: 2-line block ×3, first 2 shown]
	v_cmp_eq_u32_e32 vcc_lo, s9, v3
	v_cndmask_b32_e32 v3, v8, v7, vcc_lo
	v_cmp_eq_u32_e32 vcc_lo, s9, v10
	v_add_nc_u64_e32 v[6:7], 2, v[4:5]
	v_add_nc_u64_e32 v[8:9], 1, v[4:5]
	v_cndmask_b32_e32 v10, v12, v11, vcc_lo
	v_cmp_ne_u32_e32 vcc_lo, 0, v3
	s_delay_alu instid0(VALU_DEP_2) | instskip(NEXT) | instid1(VALU_DEP_4)
	v_cmp_ne_u32_e64 s2, 0, v10
	v_dual_cndmask_b32 v3, v9, v7, vcc_lo :: v_dual_cndmask_b32 v7, v8, v6, vcc_lo
	s_delay_alu instid0(VALU_DEP_1) | instskip(NEXT) | instid1(VALU_DEP_1)
	v_dual_cndmask_b32 v4, v4, v7, s2 :: v_dual_bitop2_b32 v6, s4, v2 bitop3:0x14
	v_dual_cndmask_b32 v3, v5, v3, s2 :: v_dual_mov_b32 v7, v6
	s_delay_alu instid0(VALU_DEP_2) | instskip(NEXT) | instid1(VALU_DEP_2)
	v_xor_b32_e32 v4, v4, v6
	v_xor_b32_e32 v5, v3, v6
	s_delay_alu instid0(VALU_DEP_1)
	v_sub_nc_u64_e32 v[4:5], v[4:5], v[6:7]
.LBB57_3:
	s_and_not1_saveexec_b32 s2, s3
	s_cbranch_execz .LBB57_5
; %bb.4:
	v_cvt_f32_u32_e32 v3, s28
	s_sub_co_i32 s3, 0, s28
	s_delay_alu instid0(VALU_DEP_1) | instskip(SKIP_1) | instid1(TRANS32_DEP_1)
	v_rcp_iflag_f32_e32 v3, v3
	v_nop
	v_mul_f32_e32 v3, 0x4f7ffffe, v3
	s_delay_alu instid0(VALU_DEP_1) | instskip(NEXT) | instid1(VALU_DEP_1)
	v_cvt_u32_f32_e32 v3, v3
	v_mul_lo_u32 v4, s3, v3
	s_delay_alu instid0(VALU_DEP_1) | instskip(NEXT) | instid1(VALU_DEP_1)
	v_mul_hi_u32 v4, v3, v4
	v_add_nc_u32_e32 v3, v3, v4
	s_delay_alu instid0(VALU_DEP_1) | instskip(NEXT) | instid1(VALU_DEP_1)
	v_mul_hi_u32 v3, v0, v3
	v_mul_lo_u32 v4, v3, s28
	s_delay_alu instid0(VALU_DEP_1) | instskip(NEXT) | instid1(VALU_DEP_1)
	v_dual_add_nc_u32 v5, 1, v3 :: v_dual_sub_nc_u32 v4, v0, v4
	v_subrev_nc_u32_e32 v6, s28, v4
	v_cmp_le_u32_e32 vcc_lo, s28, v4
	s_delay_alu instid0(VALU_DEP_2) | instskip(NEXT) | instid1(VALU_DEP_1)
	v_dual_cndmask_b32 v4, v4, v6 :: v_dual_cndmask_b32 v3, v3, v5
	v_cmp_le_u32_e32 vcc_lo, s28, v4
	s_delay_alu instid0(VALU_DEP_2) | instskip(NEXT) | instid1(VALU_DEP_1)
	v_add_nc_u32_e32 v5, 1, v3
	v_dual_cndmask_b32 v4, v3, v5 :: v_dual_mov_b32 v5, 0
.LBB57_5:
	s_or_b32 exec_lo, exec_lo, s2
	s_delay_alu instid0(VALU_DEP_1) | instskip(SKIP_1) | instid1(VALU_DEP_1)
	v_dual_mov_b32 v8, 0 :: v_dual_bitop2_b32 v9, s7, v5 bitop3:0x54
                                        ; implicit-def: $vgpr6_vgpr7
	s_mov_b32 s2, exec_lo
	v_cmpx_ne_u64_e32 0, v[8:9]
	s_xor_b32 s3, exec_lo, s2
	s_cbranch_execz .LBB57_7
; %bb.6:
	s_ashr_i32 s4, s7, 31
	s_mov_b32 s15, 0
	s_mov_b32 s5, s4
	v_dual_mov_b32 v13, v8 :: v_dual_ashrrev_i32 v6, 31, v5
	s_add_nc_u64 s[8:9], s[6:7], s[4:5]
	v_mov_b32_e32 v15, v8
	s_xor_b64 s[4:5], s[8:9], s[4:5]
	s_delay_alu instid0(VALU_DEP_2)
	v_mov_b32_e32 v7, v6
	s_cvt_f32_u32 s2, s4
	s_cvt_f32_u32 s7, s5
	s_sub_nc_u64 s[10:11], 0, s[4:5]
	v_mov_b32_e32 v21, v8
	v_add_nc_u64_e32 v[10:11], v[4:5], v[6:7]
	s_fmamk_f32 s2, s7, 0x4f800000, s2
	v_mov_b32_e32 v9, v8
	s_delay_alu instid0(SALU_CYCLE_2) | instskip(NEXT) | instid1(VALU_DEP_2)
	v_s_rcp_f32 s2, s2
	v_xor_b32_e32 v12, v10, v6
	s_delay_alu instid0(VALU_DEP_3) | instskip(NEXT) | instid1(TRANS32_DEP_1)
	v_xor_b32_e32 v14, v11, v6
	s_mul_f32 s2, s2, 0x5f7ffffc
	s_delay_alu instid0(SALU_CYCLE_3) | instskip(NEXT) | instid1(SALU_CYCLE_3)
	s_mul_f32 s7, s2, 0x2f800000
	s_trunc_f32 s7, s7
	s_delay_alu instid0(SALU_CYCLE_3) | instskip(SKIP_1) | instid1(SALU_CYCLE_2)
	s_fmamk_f32 s2, s7, 0xcf800000, s2
	s_cvt_u32_f32 s9, s7
	s_cvt_u32_f32 s8, s2
	s_delay_alu instid0(SALU_CYCLE_3) | instskip(NEXT) | instid1(SALU_CYCLE_1)
	s_mul_u64 s[12:13], s[10:11], s[8:9]
	s_mul_hi_u32 s17, s8, s13
	s_mul_i32 s16, s8, s13
	s_mul_hi_u32 s14, s8, s12
	s_mul_i32 s7, s9, s12
	s_add_nc_u64 s[16:17], s[14:15], s[16:17]
	s_mul_hi_u32 s2, s9, s12
	s_mul_hi_u32 s18, s9, s13
	s_add_co_u32 s7, s16, s7
	s_add_co_ci_u32 s14, s17, s2
	s_mul_i32 s12, s9, s13
	s_add_co_ci_u32 s13, s18, 0
	s_delay_alu instid0(SALU_CYCLE_1) | instskip(NEXT) | instid1(SALU_CYCLE_1)
	s_add_nc_u64 s[12:13], s[14:15], s[12:13]
	s_add_co_u32 s8, s8, s12
	s_cselect_b32 s2, -1, 0
	s_delay_alu instid0(SALU_CYCLE_1) | instskip(SKIP_1) | instid1(SALU_CYCLE_1)
	s_cmp_lg_u32 s2, 0
	s_add_co_ci_u32 s9, s9, s13
	s_mul_u64 s[10:11], s[10:11], s[8:9]
	s_delay_alu instid0(SALU_CYCLE_1)
	s_mul_hi_u32 s13, s8, s11
	s_mul_i32 s12, s8, s11
	s_mul_hi_u32 s14, s8, s10
	s_mul_i32 s7, s9, s10
	s_add_nc_u64 s[12:13], s[14:15], s[12:13]
	s_mul_hi_u32 s2, s9, s10
	s_mul_hi_u32 s16, s9, s11
	s_add_co_u32 s7, s12, s7
	s_add_co_ci_u32 s14, s13, s2
	s_mul_i32 s10, s9, s11
	s_add_co_ci_u32 s11, s16, 0
	s_delay_alu instid0(SALU_CYCLE_1) | instskip(NEXT) | instid1(SALU_CYCLE_1)
	s_add_nc_u64 s[10:11], s[14:15], s[10:11]
	s_add_co_u32 s2, s8, s10
	s_cselect_b32 s7, -1, 0
	v_mul_hi_u32 v20, v12, s2
	s_cmp_lg_u32 s7, 0
	s_add_co_ci_u32 s14, s9, s11
	s_mov_b64 s[8:9], 0xffffffff
	v_mul_u64_e32 v[16:17], s[14:15], v[12:13]
	s_and_b64 s[8:9], s[2:3], s[8:9]
	v_mul_u64_e32 v[18:19], s[14:15], v[14:15]
	v_mul_u64_e32 v[10:11], s[8:9], v[14:15]
	s_delay_alu instid0(VALU_DEP_3) | instskip(NEXT) | instid1(VALU_DEP_1)
	v_add_nc_u64_e32 v[16:17], v[20:21], v[16:17]
	v_add_co_u32 v3, vcc_lo, v16, v10
	s_delay_alu instid0(VALU_DEP_2) | instskip(SKIP_1) | instid1(VALU_DEP_1)
	v_add_co_ci_u32_e32 v8, vcc_lo, v17, v11, vcc_lo
	v_add_co_ci_u32_e32 v19, vcc_lo, 0, v19, vcc_lo
	v_add_nc_u64_e32 v[8:9], v[8:9], v[18:19]
	s_delay_alu instid0(VALU_DEP_1) | instskip(NEXT) | instid1(VALU_DEP_1)
	v_mul_u64_e32 v[8:9], s[4:5], v[8:9]
	v_sub_co_u32 v8, vcc_lo, v12, v8
	s_delay_alu instid0(VALU_DEP_1) | instskip(NEXT) | instid1(VALU_DEP_1)
	v_cmp_le_u32_e64 s2, s4, v8
	v_cndmask_b32_e64 v12, 0, -1, s2
	s_delay_alu instid0(VALU_DEP_4) | instskip(SKIP_1) | instid1(VALU_DEP_2)
	v_sub_nc_u32_e32 v3, v14, v9
	v_sub_co_ci_u32_e64 v9, null, v14, v9, vcc_lo
	v_subrev_co_ci_u32_e64 v3, null, s5, v3, vcc_lo
	v_sub_co_u32 v10, vcc_lo, v8, s4
	s_delay_alu instid0(VALU_DEP_1) | instskip(NEXT) | instid1(VALU_DEP_2)
	v_subrev_co_ci_u32_e64 v11, null, 0, v3, vcc_lo
	v_cmp_le_u32_e64 s2, s4, v10
	v_subrev_co_ci_u32_e64 v3, null, s5, v3, vcc_lo
	v_cmp_le_u32_e32 vcc_lo, s5, v9
	s_delay_alu instid0(VALU_DEP_3) | instskip(SKIP_3) | instid1(VALU_DEP_3)
	v_cndmask_b32_e64 v13, 0, -1, s2
	v_cmp_le_u32_e64 s2, s5, v11
	v_cndmask_b32_e64 v15, 0, -1, vcc_lo
	v_cmp_eq_u32_e32 vcc_lo, s5, v11
	v_cndmask_b32_e64 v14, 0, -1, s2
	v_cmp_eq_u32_e64 s2, s5, v9
	s_delay_alu instid0(VALU_DEP_2) | instskip(SKIP_1) | instid1(VALU_DEP_1)
	v_cndmask_b32_e32 v13, v14, v13, vcc_lo
	v_sub_co_u32 v14, vcc_lo, v10, s4
	v_subrev_co_ci_u32_e64 v3, null, 0, v3, vcc_lo
	s_delay_alu instid0(VALU_DEP_3) | instskip(SKIP_1) | instid1(VALU_DEP_3)
	v_cmp_ne_u32_e32 vcc_lo, 0, v13
	v_cndmask_b32_e64 v12, v15, v12, s2
	v_dual_cndmask_b32 v3, v11, v3 :: v_dual_cndmask_b32 v10, v10, v14
	s_delay_alu instid0(VALU_DEP_2) | instskip(NEXT) | instid1(VALU_DEP_2)
	v_cmp_ne_u32_e32 vcc_lo, 0, v12
	v_dual_cndmask_b32 v3, v9, v3 :: v_dual_cndmask_b32 v8, v8, v10
	s_delay_alu instid0(VALU_DEP_1) | instskip(NEXT) | instid1(VALU_DEP_2)
	v_xor_b32_e32 v9, v3, v6
	v_xor_b32_e32 v8, v8, v6
	s_delay_alu instid0(VALU_DEP_1)
	v_sub_nc_u64_e32 v[6:7], v[8:9], v[6:7]
.LBB57_7:
	s_or_saveexec_b32 s2, s3
	s_clause 0x1
	s_load_b64 s[34:35], s[0:1], 0xa8
	s_load_b256 s[20:27], s[0:1], 0x88
	s_xor_b32 exec_lo, exec_lo, s2
	s_cbranch_execz .LBB57_9
; %bb.8:
	v_cvt_f32_u32_e32 v3, s6
	s_sub_co_i32 s3, 0, s6
	v_mov_b32_e32 v7, 0
	s_delay_alu instid0(VALU_DEP_2) | instskip(SKIP_1) | instid1(TRANS32_DEP_1)
	v_rcp_iflag_f32_e32 v3, v3
	v_nop
	v_mul_f32_e32 v3, 0x4f7ffffe, v3
	s_delay_alu instid0(VALU_DEP_1) | instskip(NEXT) | instid1(VALU_DEP_1)
	v_cvt_u32_f32_e32 v3, v3
	v_mul_lo_u32 v6, s3, v3
	s_delay_alu instid0(VALU_DEP_1) | instskip(NEXT) | instid1(VALU_DEP_1)
	v_mul_hi_u32 v6, v3, v6
	v_add_nc_u32_e32 v3, v3, v6
	s_delay_alu instid0(VALU_DEP_1) | instskip(NEXT) | instid1(VALU_DEP_1)
	v_mul_hi_u32 v3, v4, v3
	v_mul_lo_u32 v3, v3, s6
	s_delay_alu instid0(VALU_DEP_1) | instskip(NEXT) | instid1(VALU_DEP_1)
	v_sub_nc_u32_e32 v3, v4, v3
	v_subrev_nc_u32_e32 v6, s6, v3
	v_cmp_le_u32_e32 vcc_lo, s6, v3
	s_delay_alu instid0(VALU_DEP_2) | instskip(NEXT) | instid1(VALU_DEP_1)
	v_cndmask_b32_e32 v3, v3, v6, vcc_lo
	v_subrev_nc_u32_e32 v6, s6, v3
	v_cmp_le_u32_e32 vcc_lo, s6, v3
	s_delay_alu instid0(VALU_DEP_2)
	v_cndmask_b32_e32 v6, v3, v6, vcc_lo
.LBB57_9:
	s_or_b32 exec_lo, exec_lo, s2
	v_dual_mov_b32 v10, 0 :: v_dual_bitop2_b32 v11, s31, v1 bitop3:0x54
                                        ; implicit-def: $vgpr8_vgpr9
	s_mov_b32 s2, exec_lo
	s_delay_alu instid0(VALU_DEP_1)
	v_cmpx_ne_u64_e32 0, v[10:11]
	s_xor_b32 s3, exec_lo, s2
	s_cbranch_execz .LBB57_11
; %bb.10:
	s_ashr_i32 s4, s31, 31
	s_mov_b32 s15, 0
	s_mov_b32 s5, s4
	v_dual_mov_b32 v3, v2 :: v_dual_mov_b32 v13, v10
	s_add_nc_u64 s[6:7], s[30:31], s[4:5]
	v_mov_b32_e32 v11, v10
	s_xor_b64 s[6:7], s[6:7], s[4:5]
	s_delay_alu instid0(VALU_DEP_2) | instskip(SKIP_4) | instid1(SALU_CYCLE_1)
	v_add_nc_u64_e32 v[8:9], v[0:1], v[2:3]
	s_cvt_f32_u32 s2, s6
	s_cvt_f32_u32 s5, s7
	s_sub_nc_u64 s[10:11], 0, s[6:7]
	v_dual_mov_b32 v15, v10 :: v_dual_mov_b32 v21, v10
	s_fmamk_f32 s2, s5, 0x4f800000, s2
	s_delay_alu instid0(VALU_DEP_2) | instskip(SKIP_3) | instid1(TRANS32_DEP_1)
	v_xor_b32_e32 v12, v8, v2
	v_xor_b32_e32 v14, v9, v2
	;; [unrolled: 1-line block ×3, first 2 shown]
	v_s_rcp_f32 s2, s2
	s_mul_f32 s2, s2, 0x5f7ffffc
	s_delay_alu instid0(SALU_CYCLE_3) | instskip(NEXT) | instid1(SALU_CYCLE_3)
	s_mul_f32 s5, s2, 0x2f800000
	s_trunc_f32 s5, s5
	s_delay_alu instid0(SALU_CYCLE_3) | instskip(SKIP_1) | instid1(SALU_CYCLE_2)
	s_fmamk_f32 s2, s5, 0xcf800000, s2
	s_cvt_u32_f32 s9, s5
	s_cvt_u32_f32 s8, s2
	s_delay_alu instid0(SALU_CYCLE_3) | instskip(NEXT) | instid1(SALU_CYCLE_1)
	s_mul_u64 s[12:13], s[10:11], s[8:9]
	s_mul_hi_u32 s17, s8, s13
	s_mul_i32 s16, s8, s13
	s_mul_hi_u32 s14, s8, s12
	s_mul_i32 s5, s9, s12
	s_add_nc_u64 s[16:17], s[14:15], s[16:17]
	s_mul_hi_u32 s2, s9, s12
	s_mul_hi_u32 s18, s9, s13
	s_add_co_u32 s5, s16, s5
	s_add_co_ci_u32 s14, s17, s2
	s_mul_i32 s12, s9, s13
	s_add_co_ci_u32 s13, s18, 0
	s_delay_alu instid0(SALU_CYCLE_1) | instskip(NEXT) | instid1(SALU_CYCLE_1)
	s_add_nc_u64 s[12:13], s[14:15], s[12:13]
	s_add_co_u32 s8, s8, s12
	s_cselect_b32 s2, -1, 0
	s_delay_alu instid0(SALU_CYCLE_1) | instskip(SKIP_1) | instid1(SALU_CYCLE_1)
	s_cmp_lg_u32 s2, 0
	s_add_co_ci_u32 s9, s9, s13
	s_mul_u64 s[10:11], s[10:11], s[8:9]
	s_delay_alu instid0(SALU_CYCLE_1)
	s_mul_hi_u32 s13, s8, s11
	s_mul_i32 s12, s8, s11
	s_mul_hi_u32 s14, s8, s10
	s_mul_i32 s5, s9, s10
	s_add_nc_u64 s[12:13], s[14:15], s[12:13]
	s_mul_hi_u32 s2, s9, s10
	s_mul_hi_u32 s16, s9, s11
	s_add_co_u32 s5, s12, s5
	s_add_co_ci_u32 s14, s13, s2
	s_mul_i32 s10, s9, s11
	s_add_co_ci_u32 s11, s16, 0
	s_delay_alu instid0(SALU_CYCLE_1) | instskip(NEXT) | instid1(SALU_CYCLE_1)
	s_add_nc_u64 s[10:11], s[14:15], s[10:11]
	s_add_co_u32 s2, s8, s10
	s_cselect_b32 s5, -1, 0
	v_nop
	v_mul_hi_u32 v20, v12, s2
	s_cmp_lg_u32 s5, 0
	s_add_co_ci_u32 s14, s9, s11
	s_mov_b64 s[8:9], 0xffffffff
	v_mul_u64_e32 v[16:17], s[14:15], v[12:13]
	s_and_b64 s[8:9], s[2:3], s[8:9]
	v_mul_u64_e32 v[18:19], s[14:15], v[14:15]
	v_mul_u64_e32 v[8:9], s[8:9], v[14:15]
	s_delay_alu instid0(VALU_DEP_3) | instskip(NEXT) | instid1(VALU_DEP_1)
	v_add_nc_u64_e32 v[16:17], v[20:21], v[16:17]
	v_add_co_u32 v3, vcc_lo, v16, v8
	s_delay_alu instid0(VALU_DEP_2) | instskip(SKIP_1) | instid1(VALU_DEP_1)
	v_add_co_ci_u32_e32 v10, vcc_lo, v17, v9, vcc_lo
	v_add_co_ci_u32_e32 v19, vcc_lo, 0, v19, vcc_lo
	v_add_nc_u64_e32 v[8:9], v[10:11], v[18:19]
	s_delay_alu instid0(VALU_DEP_1) | instskip(NEXT) | instid1(VALU_DEP_1)
	v_mul_u64_e32 v[10:11], s[6:7], v[8:9]
	v_sub_nc_u32_e32 v3, v14, v11
	s_delay_alu instid0(VALU_DEP_2) | instskip(NEXT) | instid1(VALU_DEP_1)
	v_sub_co_u32 v10, vcc_lo, v12, v10
	v_sub_co_ci_u32_e64 v14, null, v14, v11, vcc_lo
	s_delay_alu instid0(VALU_DEP_3) | instskip(NEXT) | instid1(VALU_DEP_3)
	v_subrev_co_ci_u32_e64 v3, null, s7, v3, vcc_lo
	v_sub_co_u32 v12, s2, v10, s6
	s_delay_alu instid0(VALU_DEP_1) | instskip(NEXT) | instid1(VALU_DEP_2)
	v_subrev_co_ci_u32_e64 v3, null, 0, v3, s2
	v_cmp_le_u32_e32 vcc_lo, s6, v12
	v_cndmask_b32_e64 v11, 0, -1, vcc_lo
	s_delay_alu instid0(VALU_DEP_3)
	v_cmp_le_u32_e32 vcc_lo, s7, v3
	v_cndmask_b32_e64 v12, 0, -1, vcc_lo
	v_cmp_le_u32_e32 vcc_lo, s6, v10
	v_cndmask_b32_e64 v15, 0, -1, vcc_lo
	;; [unrolled: 2-line block ×3, first 2 shown]
	v_cmp_eq_u32_e32 vcc_lo, s7, v3
	v_cndmask_b32_e32 v3, v12, v11, vcc_lo
	v_cmp_eq_u32_e32 vcc_lo, s7, v14
	v_add_nc_u64_e32 v[10:11], 2, v[8:9]
	v_add_nc_u64_e32 v[12:13], 1, v[8:9]
	v_cndmask_b32_e32 v14, v16, v15, vcc_lo
	v_cmp_ne_u32_e32 vcc_lo, 0, v3
	s_delay_alu instid0(VALU_DEP_2) | instskip(NEXT) | instid1(VALU_DEP_4)
	v_cmp_ne_u32_e64 s2, 0, v14
	v_dual_cndmask_b32 v10, v12, v10 :: v_dual_cndmask_b32 v3, v13, v11
	s_delay_alu instid0(VALU_DEP_1) | instskip(NEXT) | instid1(VALU_DEP_1)
	v_dual_cndmask_b32 v8, v8, v10, s2 :: v_dual_cndmask_b32 v9, v9, v3, s2
	v_dual_mov_b32 v3, v2 :: v_dual_bitop2_b32 v8, v8, v2 bitop3:0x14
	s_delay_alu instid0(VALU_DEP_2) | instskip(NEXT) | instid1(VALU_DEP_1)
	v_xor_b32_e32 v9, v9, v2
	v_sub_nc_u64_e32 v[8:9], v[8:9], v[2:3]
.LBB57_11:
	s_or_saveexec_b32 s31, s3
	s_clause 0x2
	s_load_b64 s[2:3], s[0:1], 0x58
	s_load_b64 s[44:45], s[0:1], 0x0
	s_load_b512 s[4:19], s[0:1], 0x18
	s_xor_b32 exec_lo, exec_lo, s31
	s_cbranch_execz .LBB57_13
; %bb.12:
	v_cvt_f32_u32_e32 v2, s30
	s_sub_co_i32 s36, 0, s30
	s_delay_alu instid0(VALU_DEP_1) | instskip(SKIP_1) | instid1(TRANS32_DEP_1)
	v_rcp_iflag_f32_e32 v2, v2
	v_nop
	v_mul_f32_e32 v2, 0x4f7ffffe, v2
	s_delay_alu instid0(VALU_DEP_1) | instskip(NEXT) | instid1(VALU_DEP_1)
	v_cvt_u32_f32_e32 v2, v2
	v_mul_lo_u32 v3, s36, v2
	s_delay_alu instid0(VALU_DEP_1) | instskip(NEXT) | instid1(VALU_DEP_1)
	v_mul_hi_u32 v3, v2, v3
	v_add_nc_u32_e32 v2, v2, v3
	s_delay_alu instid0(VALU_DEP_1) | instskip(NEXT) | instid1(VALU_DEP_1)
	v_mul_hi_u32 v2, v0, v2
	v_mul_lo_u32 v3, v2, s30
	s_delay_alu instid0(VALU_DEP_1) | instskip(NEXT) | instid1(VALU_DEP_1)
	v_dual_add_nc_u32 v8, 1, v2 :: v_dual_sub_nc_u32 v3, v0, v3
	v_subrev_nc_u32_e32 v9, s30, v3
	v_cmp_le_u32_e32 vcc_lo, s30, v3
	s_delay_alu instid0(VALU_DEP_2) | instskip(NEXT) | instid1(VALU_DEP_4)
	v_dual_cndmask_b32 v3, v3, v9, vcc_lo :: v_dual_mov_b32 v9, 0
	v_cndmask_b32_e32 v2, v2, v8, vcc_lo
	s_delay_alu instid0(VALU_DEP_2) | instskip(NEXT) | instid1(VALU_DEP_2)
	v_cmp_le_u32_e32 vcc_lo, s30, v3
	v_add_nc_u32_e32 v8, 1, v2
	s_delay_alu instid0(VALU_DEP_1)
	v_cndmask_b32_e32 v8, v2, v8, vcc_lo
.LBB57_13:
	s_or_b32 exec_lo, exec_lo, s31
	s_load_b256 s[36:43], s[0:1], 0xb0
	v_mul_u64_e32 v[4:5], s[28:29], v[4:5]
	s_and_b32 s49, ttmp7, 0xffff
	s_wait_xcnt 0x0
	s_load_b64 s[0:1], s[0:1], 0xd0
	s_lshr_b32 s28, ttmp7, 16
	s_bfe_u32 s48, ttmp6, 0x40008
	s_bfe_u32 s50, ttmp6, 0x40004
	s_mov_b32 s29, 0
	s_wait_kmcnt 0x0
	v_max_i64 v[2:3], s[40:41], 0
	s_add_nc_u64 s[30:31], s[40:41], s[4:5]
	v_max_i64 v[16:17], s[38:39], 0
	v_sub_nc_u64_e64 v[10:11], v[8:9], s[30:31]
	s_sub_nc_u64 s[30:31], 0, s[40:41]
	s_delay_alu instid0(SALU_CYCLE_1) | instskip(SKIP_3) | instid1(VALU_DEP_2)
	v_max_i64 v[12:13], s[30:31], 0
	s_bfe_u32 s31, ttmp6, 0x40010
	s_bfe_u32 s30, ttmp6, 0x40014
	s_add_co_i32 s46, s31, 1
	v_add_nc_u64_e32 v[14:15], 1, v[10:11]
	v_not_b32_e32 v11, v11
	v_not_b32_e32 v10, v10
	s_mul_i32 s51, s49, s46
	s_add_nc_u64 s[46:47], s[38:39], s[6:7]
	s_add_co_i32 s30, s30, 1
	s_add_co_i32 s50, s50, s51
	v_max_i64 v[10:11], v[14:15], v[10:11]
	v_sub_nc_u64_e64 v[14:15], v[8:9], s[40:41]
	s_lshl_b64 s[40:41], s[40:41], 1
	s_mul_i32 s30, s28, s30
	s_mov_b32 s31, s29
	s_add_co_i32 s48, s48, s30
	v_sub_nc_u64_e32 v[0:1], v[0:1], v[4:5]
	s_delay_alu instid0(VALU_DEP_2) | instskip(NEXT) | instid1(VALU_DEP_1)
	v_sub_nc_u64_e32 v[18:19], 0, v[14:15]
	v_max_i64 v[14:15], v[14:15], v[18:19]
	v_not_b32_e32 v2, v2
	v_not_b32_e32 v3, v3
	v_sub_nc_u64_e64 v[18:19], v[6:7], s[46:47]
	s_lshl_b64 s[46:47], s[36:37], 1
	v_not_b32_e32 v16, v16
	v_not_b32_e32 v17, v17
	v_add_nc_u64_e32 v[2:3], s[40:41], v[2:3]
	s_sub_nc_u64 s[40:41], 0, s[38:39]
	s_delay_alu instid0(SALU_CYCLE_1)
	v_max_i64 v[20:21], s[40:41], 0
	v_add_nc_u64_e32 v[22:23], 1, v[18:19]
	v_not_b32_e32 v19, v19
	v_not_b32_e32 v18, v18
	v_add_nc_u64_e32 v[2:3], v[2:3], v[12:13]
	v_sub_nc_u64_e64 v[12:13], v[6:7], s[38:39]
	s_lshl_b64 s[38:39], s[38:39], 1
	v_add_nc_u64_e32 v[10:11], v[8:9], v[10:11]
	v_max_i64 v[18:19], v[22:23], v[18:19]
	s_cmp_eq_u32 s33, 0
	v_max_i64 v[22:23], s[36:37], 0
	v_add_nc_u64_e32 v[2:3], s[4:5], v[2:3]
	v_sub_nc_u64_e32 v[24:25], 0, v[12:13]
	s_cselect_b32 s30, s28, s48
	s_cselect_b32 s28, s49, s50
	s_add_nc_u64 s[0:1], s[0:1], s[30:31]
	s_delay_alu instid0(SALU_CYCLE_1) | instskip(NEXT) | instid1(VALU_DEP_2)
	s_mul_u64 s[4:5], s[10:11], s[0:1]
	v_sub_nc_u64_e32 v[2:3], v[2:3], v[10:11]
	s_delay_alu instid0(VALU_DEP_2)
	v_max_i64 v[4:5], v[12:13], v[24:25]
	s_add_nc_u64 s[10:11], s[42:43], s[28:29]
	s_add_nc_u64 s[4:5], s[44:45], s[4:5]
	s_mul_u64 s[12:13], s[12:13], s[10:11]
	s_add_nc_u64 s[28:29], s[36:37], s[8:9]
	v_add_nc_u64_e32 v[10:11], s[38:39], v[16:17]
	v_add_nc_u64_e32 v[2:3], v[2:3], v[14:15]
	s_add_nc_u64 s[4:5], s[4:5], s[12:13]
	v_sub_nc_u64_e64 v[12:13], v[0:1], s[28:29]
	v_sub_nc_u64_e64 v[24:25], v[0:1], s[36:37]
	s_mul_u64 s[0:1], s[20:21], s[0:1]
	s_delay_alu instid0(SALU_CYCLE_1) | instskip(NEXT) | instid1(VALU_DEP_3)
	s_add_nc_u64 s[0:1], s[2:3], s[0:1]
	v_mad_nc_u64_u32 v[14:15], v2, s14, s[4:5]
	s_sub_nc_u64 s[4:5], 0, s[36:37]
	v_add_nc_u64_e32 v[10:11], v[10:11], v[20:21]
	v_max_i64 v[16:17], s[4:5], 0
	v_add_nc_u64_e32 v[20:21], 1, v[12:13]
	v_not_b32_e32 v13, v13
	v_not_b32_e32 v12, v12
	s_mul_u64 s[2:3], s[22:23], s[10:11]
	v_add_nc_u64_e32 v[18:19], v[6:7], v[18:19]
	v_add_nc_u64_e32 v[10:11], s[6:7], v[10:11]
	s_add_nc_u64 s[0:1], s[0:1], s[2:3]
	v_mad_u32 v3, v3, s14, v15
	v_max_i64 v[12:13], v[20:21], v[12:13]
	s_delay_alu instid0(VALU_DEP_3) | instskip(SKIP_1) | instid1(VALU_DEP_4)
	v_sub_nc_u64_e32 v[10:11], v[10:11], v[18:19]
	v_sub_nc_u64_e32 v[18:19], 0, v[24:25]
	v_mad_u32 v15, v2, s15, v3
	v_not_b32_e32 v2, v22
	v_not_b32_e32 v3, v23
	v_add_nc_u64_e32 v[4:5], v[10:11], v[4:5]
	v_max_i64 v[10:11], v[24:25], v[18:19]
	s_delay_alu instid0(VALU_DEP_3) | instskip(NEXT) | instid1(VALU_DEP_3)
	v_add_nc_u64_e32 v[2:3], s[46:47], v[2:3]
	v_mad_nc_u64_u32 v[14:15], v4, s16, v[14:15]
	s_delay_alu instid0(VALU_DEP_2) | instskip(NEXT) | instid1(VALU_DEP_1)
	v_add_nc_u64_e32 v[2:3], v[2:3], v[16:17]
	v_add_nc_u64_e32 v[2:3], s[8:9], v[2:3]
	s_delay_alu instid0(VALU_DEP_3) | instskip(SKIP_1) | instid1(VALU_DEP_1)
	v_mad_u32 v5, v5, s16, v15
	v_add_nc_u64_e32 v[12:13], v[0:1], v[12:13]
	v_sub_nc_u64_e32 v[2:3], v[2:3], v[12:13]
	s_delay_alu instid0(VALU_DEP_3) | instskip(NEXT) | instid1(VALU_DEP_2)
	v_mad_u32 v15, v4, s17, v5
	v_add_nc_u64_e32 v[2:3], v[2:3], v[10:11]
	s_delay_alu instid0(VALU_DEP_1) | instskip(NEXT) | instid1(VALU_DEP_1)
	v_mad_nc_u64_u32 v[4:5], v2, s18, v[14:15]
	v_mad_u32 v3, v3, s18, v5
	s_delay_alu instid0(VALU_DEP_1) | instskip(SKIP_3) | instid1(VALU_DEP_1)
	v_mad_u32 v5, v2, s19, v3
	v_mad_nc_u64_u32 v[2:3], v8, s24, s[0:1]
	global_load_u8 v4, v[4:5], off
	v_mad_u32 v3, v9, s24, v3
	v_mad_u32 v3, v8, s25, v3
	s_delay_alu instid0(VALU_DEP_1) | instskip(NEXT) | instid1(VALU_DEP_1)
	v_mad_nc_u64_u32 v[2:3], v6, s26, v[2:3]
	v_mad_u32 v3, v7, s26, v3
	s_delay_alu instid0(VALU_DEP_1) | instskip(NEXT) | instid1(VALU_DEP_1)
	v_mad_u32 v3, v6, s27, v3
	v_mad_nc_u64_u32 v[2:3], v0, s34, v[2:3]
	s_delay_alu instid0(VALU_DEP_1) | instskip(NEXT) | instid1(VALU_DEP_1)
	v_mad_u32 v1, v1, s34, v3
	v_mad_u32 v3, v0, s35, v1
	s_wait_loadcnt 0x0
	global_store_b8 v[2:3], v4, off
.LBB57_14:
	s_endpgm
	.section	.rodata,"a",@progbits
	.p2align	6, 0x0
	.amdhsa_kernel _ZN2at6native12_GLOBAL__N_127reflection_pad3d_out_kernelIhEEvN5torch10headeronly6detail27GenericPackedTensorAccessorINS5_14TensorAccessorIN3c108ArrayRefIlEEKT_Lm4ENS4_16DefaultPtrTraitsElEENS_6detail16IndexBoundsCheckILm5ElEESC_Lm5ESD_lEENS6_INS7_ISA_SB_Lm4ESD_lEESH_SB_Lm5ESD_lEElllll
		.amdhsa_group_segment_fixed_size 0
		.amdhsa_private_segment_fixed_size 0
		.amdhsa_kernarg_size 472
		.amdhsa_user_sgpr_count 2
		.amdhsa_user_sgpr_dispatch_ptr 0
		.amdhsa_user_sgpr_queue_ptr 0
		.amdhsa_user_sgpr_kernarg_segment_ptr 1
		.amdhsa_user_sgpr_dispatch_id 0
		.amdhsa_user_sgpr_kernarg_preload_length 0
		.amdhsa_user_sgpr_kernarg_preload_offset 0
		.amdhsa_user_sgpr_private_segment_size 0
		.amdhsa_wavefront_size32 1
		.amdhsa_uses_dynamic_stack 0
		.amdhsa_enable_private_segment 0
		.amdhsa_system_sgpr_workgroup_id_x 1
		.amdhsa_system_sgpr_workgroup_id_y 1
		.amdhsa_system_sgpr_workgroup_id_z 1
		.amdhsa_system_sgpr_workgroup_info 0
		.amdhsa_system_vgpr_workitem_id 0
		.amdhsa_next_free_vgpr 26
		.amdhsa_next_free_sgpr 52
		.amdhsa_named_barrier_count 0
		.amdhsa_reserve_vcc 1
		.amdhsa_float_round_mode_32 0
		.amdhsa_float_round_mode_16_64 0
		.amdhsa_float_denorm_mode_32 3
		.amdhsa_float_denorm_mode_16_64 3
		.amdhsa_fp16_overflow 0
		.amdhsa_memory_ordered 1
		.amdhsa_forward_progress 1
		.amdhsa_inst_pref_size 25
		.amdhsa_round_robin_scheduling 0
		.amdhsa_exception_fp_ieee_invalid_op 0
		.amdhsa_exception_fp_denorm_src 0
		.amdhsa_exception_fp_ieee_div_zero 0
		.amdhsa_exception_fp_ieee_overflow 0
		.amdhsa_exception_fp_ieee_underflow 0
		.amdhsa_exception_fp_ieee_inexact 0
		.amdhsa_exception_int_div_zero 0
	.end_amdhsa_kernel
	.section	.text._ZN2at6native12_GLOBAL__N_127reflection_pad3d_out_kernelIhEEvN5torch10headeronly6detail27GenericPackedTensorAccessorINS5_14TensorAccessorIN3c108ArrayRefIlEEKT_Lm4ENS4_16DefaultPtrTraitsElEENS_6detail16IndexBoundsCheckILm5ElEESC_Lm5ESD_lEENS6_INS7_ISA_SB_Lm4ESD_lEESH_SB_Lm5ESD_lEElllll,"axG",@progbits,_ZN2at6native12_GLOBAL__N_127reflection_pad3d_out_kernelIhEEvN5torch10headeronly6detail27GenericPackedTensorAccessorINS5_14TensorAccessorIN3c108ArrayRefIlEEKT_Lm4ENS4_16DefaultPtrTraitsElEENS_6detail16IndexBoundsCheckILm5ElEESC_Lm5ESD_lEENS6_INS7_ISA_SB_Lm4ESD_lEESH_SB_Lm5ESD_lEElllll,comdat
.Lfunc_end57:
	.size	_ZN2at6native12_GLOBAL__N_127reflection_pad3d_out_kernelIhEEvN5torch10headeronly6detail27GenericPackedTensorAccessorINS5_14TensorAccessorIN3c108ArrayRefIlEEKT_Lm4ENS4_16DefaultPtrTraitsElEENS_6detail16IndexBoundsCheckILm5ElEESC_Lm5ESD_lEENS6_INS7_ISA_SB_Lm4ESD_lEESH_SB_Lm5ESD_lEElllll, .Lfunc_end57-_ZN2at6native12_GLOBAL__N_127reflection_pad3d_out_kernelIhEEvN5torch10headeronly6detail27GenericPackedTensorAccessorINS5_14TensorAccessorIN3c108ArrayRefIlEEKT_Lm4ENS4_16DefaultPtrTraitsElEENS_6detail16IndexBoundsCheckILm5ElEESC_Lm5ESD_lEENS6_INS7_ISA_SB_Lm4ESD_lEESH_SB_Lm5ESD_lEElllll
                                        ; -- End function
	.set _ZN2at6native12_GLOBAL__N_127reflection_pad3d_out_kernelIhEEvN5torch10headeronly6detail27GenericPackedTensorAccessorINS5_14TensorAccessorIN3c108ArrayRefIlEEKT_Lm4ENS4_16DefaultPtrTraitsElEENS_6detail16IndexBoundsCheckILm5ElEESC_Lm5ESD_lEENS6_INS7_ISA_SB_Lm4ESD_lEESH_SB_Lm5ESD_lEElllll.num_vgpr, 26
	.set _ZN2at6native12_GLOBAL__N_127reflection_pad3d_out_kernelIhEEvN5torch10headeronly6detail27GenericPackedTensorAccessorINS5_14TensorAccessorIN3c108ArrayRefIlEEKT_Lm4ENS4_16DefaultPtrTraitsElEENS_6detail16IndexBoundsCheckILm5ElEESC_Lm5ESD_lEENS6_INS7_ISA_SB_Lm4ESD_lEESH_SB_Lm5ESD_lEElllll.num_agpr, 0
	.set _ZN2at6native12_GLOBAL__N_127reflection_pad3d_out_kernelIhEEvN5torch10headeronly6detail27GenericPackedTensorAccessorINS5_14TensorAccessorIN3c108ArrayRefIlEEKT_Lm4ENS4_16DefaultPtrTraitsElEENS_6detail16IndexBoundsCheckILm5ElEESC_Lm5ESD_lEENS6_INS7_ISA_SB_Lm4ESD_lEESH_SB_Lm5ESD_lEElllll.numbered_sgpr, 52
	.set _ZN2at6native12_GLOBAL__N_127reflection_pad3d_out_kernelIhEEvN5torch10headeronly6detail27GenericPackedTensorAccessorINS5_14TensorAccessorIN3c108ArrayRefIlEEKT_Lm4ENS4_16DefaultPtrTraitsElEENS_6detail16IndexBoundsCheckILm5ElEESC_Lm5ESD_lEENS6_INS7_ISA_SB_Lm4ESD_lEESH_SB_Lm5ESD_lEElllll.num_named_barrier, 0
	.set _ZN2at6native12_GLOBAL__N_127reflection_pad3d_out_kernelIhEEvN5torch10headeronly6detail27GenericPackedTensorAccessorINS5_14TensorAccessorIN3c108ArrayRefIlEEKT_Lm4ENS4_16DefaultPtrTraitsElEENS_6detail16IndexBoundsCheckILm5ElEESC_Lm5ESD_lEENS6_INS7_ISA_SB_Lm4ESD_lEESH_SB_Lm5ESD_lEElllll.private_seg_size, 0
	.set _ZN2at6native12_GLOBAL__N_127reflection_pad3d_out_kernelIhEEvN5torch10headeronly6detail27GenericPackedTensorAccessorINS5_14TensorAccessorIN3c108ArrayRefIlEEKT_Lm4ENS4_16DefaultPtrTraitsElEENS_6detail16IndexBoundsCheckILm5ElEESC_Lm5ESD_lEENS6_INS7_ISA_SB_Lm4ESD_lEESH_SB_Lm5ESD_lEElllll.uses_vcc, 1
	.set _ZN2at6native12_GLOBAL__N_127reflection_pad3d_out_kernelIhEEvN5torch10headeronly6detail27GenericPackedTensorAccessorINS5_14TensorAccessorIN3c108ArrayRefIlEEKT_Lm4ENS4_16DefaultPtrTraitsElEENS_6detail16IndexBoundsCheckILm5ElEESC_Lm5ESD_lEENS6_INS7_ISA_SB_Lm4ESD_lEESH_SB_Lm5ESD_lEElllll.uses_flat_scratch, 0
	.set _ZN2at6native12_GLOBAL__N_127reflection_pad3d_out_kernelIhEEvN5torch10headeronly6detail27GenericPackedTensorAccessorINS5_14TensorAccessorIN3c108ArrayRefIlEEKT_Lm4ENS4_16DefaultPtrTraitsElEENS_6detail16IndexBoundsCheckILm5ElEESC_Lm5ESD_lEENS6_INS7_ISA_SB_Lm4ESD_lEESH_SB_Lm5ESD_lEElllll.has_dyn_sized_stack, 0
	.set _ZN2at6native12_GLOBAL__N_127reflection_pad3d_out_kernelIhEEvN5torch10headeronly6detail27GenericPackedTensorAccessorINS5_14TensorAccessorIN3c108ArrayRefIlEEKT_Lm4ENS4_16DefaultPtrTraitsElEENS_6detail16IndexBoundsCheckILm5ElEESC_Lm5ESD_lEENS6_INS7_ISA_SB_Lm4ESD_lEESH_SB_Lm5ESD_lEElllll.has_recursion, 0
	.set _ZN2at6native12_GLOBAL__N_127reflection_pad3d_out_kernelIhEEvN5torch10headeronly6detail27GenericPackedTensorAccessorINS5_14TensorAccessorIN3c108ArrayRefIlEEKT_Lm4ENS4_16DefaultPtrTraitsElEENS_6detail16IndexBoundsCheckILm5ElEESC_Lm5ESD_lEENS6_INS7_ISA_SB_Lm4ESD_lEESH_SB_Lm5ESD_lEElllll.has_indirect_call, 0
	.section	.AMDGPU.csdata,"",@progbits
; Kernel info:
; codeLenInByte = 3176
; TotalNumSgprs: 54
; NumVgprs: 26
; ScratchSize: 0
; MemoryBound: 0
; FloatMode: 240
; IeeeMode: 1
; LDSByteSize: 0 bytes/workgroup (compile time only)
; SGPRBlocks: 0
; VGPRBlocks: 1
; NumSGPRsForWavesPerEU: 54
; NumVGPRsForWavesPerEU: 26
; NamedBarCnt: 0
; Occupancy: 16
; WaveLimiterHint : 0
; COMPUTE_PGM_RSRC2:SCRATCH_EN: 0
; COMPUTE_PGM_RSRC2:USER_SGPR: 2
; COMPUTE_PGM_RSRC2:TRAP_HANDLER: 0
; COMPUTE_PGM_RSRC2:TGID_X_EN: 1
; COMPUTE_PGM_RSRC2:TGID_Y_EN: 1
; COMPUTE_PGM_RSRC2:TGID_Z_EN: 1
; COMPUTE_PGM_RSRC2:TIDIG_COMP_CNT: 0
	.section	.text._ZN2at6native12_GLOBAL__N_127reflection_pad3d_out_kernelIaEEvN5torch10headeronly6detail27GenericPackedTensorAccessorINS5_14TensorAccessorIN3c108ArrayRefIlEEKT_Lm4ENS4_16DefaultPtrTraitsElEENS_6detail16IndexBoundsCheckILm5ElEESC_Lm5ESD_lEENS6_INS7_ISA_SB_Lm4ESD_lEESH_SB_Lm5ESD_lEElllll,"axG",@progbits,_ZN2at6native12_GLOBAL__N_127reflection_pad3d_out_kernelIaEEvN5torch10headeronly6detail27GenericPackedTensorAccessorINS5_14TensorAccessorIN3c108ArrayRefIlEEKT_Lm4ENS4_16DefaultPtrTraitsElEENS_6detail16IndexBoundsCheckILm5ElEESC_Lm5ESD_lEENS6_INS7_ISA_SB_Lm4ESD_lEESH_SB_Lm5ESD_lEElllll,comdat
	.globl	_ZN2at6native12_GLOBAL__N_127reflection_pad3d_out_kernelIaEEvN5torch10headeronly6detail27GenericPackedTensorAccessorINS5_14TensorAccessorIN3c108ArrayRefIlEEKT_Lm4ENS4_16DefaultPtrTraitsElEENS_6detail16IndexBoundsCheckILm5ElEESC_Lm5ESD_lEENS6_INS7_ISA_SB_Lm4ESD_lEESH_SB_Lm5ESD_lEElllll ; -- Begin function _ZN2at6native12_GLOBAL__N_127reflection_pad3d_out_kernelIaEEvN5torch10headeronly6detail27GenericPackedTensorAccessorINS5_14TensorAccessorIN3c108ArrayRefIlEEKT_Lm4ENS4_16DefaultPtrTraitsElEENS_6detail16IndexBoundsCheckILm5ElEESC_Lm5ESD_lEENS6_INS7_ISA_SB_Lm4ESD_lEESH_SB_Lm5ESD_lEElllll
	.p2align	8
	.type	_ZN2at6native12_GLOBAL__N_127reflection_pad3d_out_kernelIaEEvN5torch10headeronly6detail27GenericPackedTensorAccessorINS5_14TensorAccessorIN3c108ArrayRefIlEEKT_Lm4ENS4_16DefaultPtrTraitsElEENS_6detail16IndexBoundsCheckILm5ElEESC_Lm5ESD_lEENS6_INS7_ISA_SB_Lm4ESD_lEESH_SB_Lm5ESD_lEElllll,@function
_ZN2at6native12_GLOBAL__N_127reflection_pad3d_out_kernelIaEEvN5torch10headeronly6detail27GenericPackedTensorAccessorINS5_14TensorAccessorIN3c108ArrayRefIlEEKT_Lm4ENS4_16DefaultPtrTraitsElEENS_6detail16IndexBoundsCheckILm5ElEESC_Lm5ESD_lEENS6_INS7_ISA_SB_Lm4ESD_lEESH_SB_Lm5ESD_lEElllll: ; @_ZN2at6native12_GLOBAL__N_127reflection_pad3d_out_kernelIaEEvN5torch10headeronly6detail27GenericPackedTensorAccessorINS5_14TensorAccessorIN3c108ArrayRefIlEEKT_Lm4ENS4_16DefaultPtrTraitsElEENS_6detail16IndexBoundsCheckILm5ElEESC_Lm5ESD_lEENS6_INS7_ISA_SB_Lm4ESD_lEESH_SB_Lm5ESD_lEElllll
; %bb.0:
	s_clause 0x2
	s_load_b32 s2, s[0:1], 0xe4
	s_load_b128 s[4:7], s[0:1], 0x70
	s_load_b64 s[28:29], s[0:1], 0x80
	s_bfe_u32 s3, ttmp6, 0x4000c
	v_mov_b32_e32 v2, 0
	s_add_co_i32 s3, s3, 1
	s_and_b32 s8, ttmp6, 15
	s_mul_i32 s3, ttmp9, s3
	s_getreg_b32 s33, hwreg(HW_REG_IB_STS2, 6, 4)
	v_mov_b32_e32 v1, v2
	s_add_co_i32 s8, s8, s3
	s_wait_kmcnt 0x0
	s_and_b32 s2, s2, 0xffff
	s_cmp_eq_u32 s33, 0
	s_mul_u64 s[30:31], s[28:29], s[6:7]
	s_cselect_b32 s3, ttmp9, s8
	s_delay_alu instid0(SALU_CYCLE_1)
	v_mad_nc_u64_u32 v[0:1], s2, s3, v[0:1]
	s_mul_u64 s[2:3], s[30:31], s[4:5]
	s_delay_alu instid0(VALU_DEP_1) | instid1(SALU_CYCLE_1)
	v_cmp_gt_i64_e32 vcc_lo, s[2:3], v[0:1]
	s_and_saveexec_b32 s2, vcc_lo
	s_cbranch_execz .LBB58_14
; %bb.1:
	v_or_b32_e32 v3, s29, v1
                                        ; implicit-def: $vgpr4_vgpr5
	s_delay_alu instid0(VALU_DEP_1) | instskip(SKIP_2) | instid1(SALU_CYCLE_1)
	v_cmp_ne_u64_e32 vcc_lo, 0, v[2:3]
	v_ashrrev_i32_e32 v2, 31, v1
	s_and_saveexec_b32 s2, vcc_lo
	s_xor_b32 s3, exec_lo, s2
	s_cbranch_execz .LBB58_3
; %bb.2:
	s_ashr_i32 s4, s29, 31
	s_mov_b32 s17, 0
	s_mov_b32 s5, s4
	v_dual_mov_b32 v3, v2 :: v_dual_mov_b32 v7, 0
	s_add_nc_u64 s[8:9], s[28:29], s[4:5]
	s_delay_alu instid0(SALU_CYCLE_1) | instskip(NEXT) | instid1(VALU_DEP_1)
	s_xor_b64 s[8:9], s[8:9], s[4:5]
	v_add_nc_u64_e32 v[4:5], v[0:1], v[2:3]
	s_cvt_f32_u32 s2, s8
	s_cvt_f32_u32 s5, s9
	s_sub_nc_u64 s[12:13], 0, s[8:9]
	v_dual_mov_b32 v9, v7 :: v_dual_mov_b32 v15, v7
	s_delay_alu instid0(SALU_CYCLE_1) | instskip(NEXT) | instid1(VALU_DEP_2)
	s_fmamk_f32 s2, s5, 0x4f800000, s2
	v_xor_b32_e32 v6, v4, v2
	v_xor_b32_e32 v8, v5, v2
	s_delay_alu instid0(SALU_CYCLE_1) | instskip(NEXT) | instid1(TRANS32_DEP_1)
	v_s_rcp_f32 s2, s2
	s_mul_f32 s2, s2, 0x5f7ffffc
	s_delay_alu instid0(SALU_CYCLE_3) | instskip(NEXT) | instid1(SALU_CYCLE_3)
	s_mul_f32 s5, s2, 0x2f800000
	s_trunc_f32 s5, s5
	s_delay_alu instid0(SALU_CYCLE_3) | instskip(SKIP_1) | instid1(SALU_CYCLE_2)
	s_fmamk_f32 s2, s5, 0xcf800000, s2
	s_cvt_u32_f32 s11, s5
	s_cvt_u32_f32 s10, s2
	s_delay_alu instid0(SALU_CYCLE_3) | instskip(NEXT) | instid1(SALU_CYCLE_1)
	s_mul_u64 s[14:15], s[12:13], s[10:11]
	s_mul_hi_u32 s19, s10, s15
	s_mul_i32 s18, s10, s15
	s_mul_hi_u32 s16, s10, s14
	s_mul_i32 s5, s11, s14
	s_add_nc_u64 s[18:19], s[16:17], s[18:19]
	s_mul_hi_u32 s2, s11, s14
	s_mul_hi_u32 s20, s11, s15
	s_add_co_u32 s5, s18, s5
	s_add_co_ci_u32 s16, s19, s2
	s_mul_i32 s14, s11, s15
	s_add_co_ci_u32 s15, s20, 0
	s_delay_alu instid0(SALU_CYCLE_1) | instskip(NEXT) | instid1(SALU_CYCLE_1)
	s_add_nc_u64 s[14:15], s[16:17], s[14:15]
	s_add_co_u32 s10, s10, s14
	s_cselect_b32 s2, -1, 0
	s_delay_alu instid0(SALU_CYCLE_1) | instskip(SKIP_1) | instid1(SALU_CYCLE_1)
	s_cmp_lg_u32 s2, 0
	s_add_co_ci_u32 s11, s11, s15
	s_mul_u64 s[12:13], s[12:13], s[10:11]
	s_delay_alu instid0(SALU_CYCLE_1)
	s_mul_hi_u32 s15, s10, s13
	s_mul_i32 s14, s10, s13
	s_mul_hi_u32 s16, s10, s12
	s_mul_i32 s5, s11, s12
	s_add_nc_u64 s[14:15], s[16:17], s[14:15]
	s_mul_hi_u32 s2, s11, s12
	s_mul_hi_u32 s18, s11, s13
	s_add_co_u32 s5, s14, s5
	s_add_co_ci_u32 s16, s15, s2
	s_mul_i32 s12, s11, s13
	s_add_co_ci_u32 s13, s18, 0
	s_delay_alu instid0(SALU_CYCLE_1) | instskip(NEXT) | instid1(SALU_CYCLE_1)
	s_add_nc_u64 s[12:13], s[16:17], s[12:13]
	s_add_co_u32 s2, s10, s12
	s_cselect_b32 s5, -1, 0
	v_nop
	v_mul_hi_u32 v14, v6, s2
	s_cmp_lg_u32 s5, 0
	s_add_co_ci_u32 s16, s11, s13
	s_mov_b64 s[10:11], 0xffffffff
	v_mul_u64_e32 v[10:11], s[16:17], v[6:7]
	s_and_b64 s[10:11], s[2:3], s[10:11]
	v_mul_u64_e32 v[12:13], s[16:17], v[8:9]
	v_mul_u64_e32 v[4:5], s[10:11], v[8:9]
	s_delay_alu instid0(VALU_DEP_3) | instskip(NEXT) | instid1(VALU_DEP_1)
	v_add_nc_u64_e32 v[10:11], v[14:15], v[10:11]
	v_add_co_u32 v3, vcc_lo, v10, v4
	s_delay_alu instid0(VALU_DEP_2) | instskip(SKIP_1) | instid1(VALU_DEP_1)
	v_add_co_ci_u32_e32 v14, vcc_lo, v11, v5, vcc_lo
	v_add_co_ci_u32_e32 v13, vcc_lo, 0, v13, vcc_lo
	v_add_nc_u64_e32 v[4:5], v[14:15], v[12:13]
	s_delay_alu instid0(VALU_DEP_1) | instskip(NEXT) | instid1(VALU_DEP_1)
	v_mul_u64_e32 v[10:11], s[8:9], v[4:5]
	v_sub_nc_u32_e32 v3, v8, v11
	s_delay_alu instid0(VALU_DEP_2) | instskip(NEXT) | instid1(VALU_DEP_1)
	v_sub_co_u32 v6, vcc_lo, v6, v10
	v_sub_co_ci_u32_e64 v10, null, v8, v11, vcc_lo
	s_delay_alu instid0(VALU_DEP_3) | instskip(NEXT) | instid1(VALU_DEP_3)
	v_subrev_co_ci_u32_e64 v3, null, s9, v3, vcc_lo
	v_sub_co_u32 v7, s2, v6, s8
	s_delay_alu instid0(VALU_DEP_1) | instskip(NEXT) | instid1(VALU_DEP_2)
	v_subrev_co_ci_u32_e64 v3, null, 0, v3, s2
	v_cmp_le_u32_e32 vcc_lo, s8, v7
	v_cndmask_b32_e64 v7, 0, -1, vcc_lo
	s_delay_alu instid0(VALU_DEP_3)
	v_cmp_le_u32_e32 vcc_lo, s9, v3
	v_cndmask_b32_e64 v8, 0, -1, vcc_lo
	v_cmp_le_u32_e32 vcc_lo, s8, v6
	v_cndmask_b32_e64 v11, 0, -1, vcc_lo
	;; [unrolled: 2-line block ×3, first 2 shown]
	v_cmp_eq_u32_e32 vcc_lo, s9, v3
	v_cndmask_b32_e32 v3, v8, v7, vcc_lo
	v_cmp_eq_u32_e32 vcc_lo, s9, v10
	v_add_nc_u64_e32 v[6:7], 2, v[4:5]
	v_add_nc_u64_e32 v[8:9], 1, v[4:5]
	v_cndmask_b32_e32 v10, v12, v11, vcc_lo
	v_cmp_ne_u32_e32 vcc_lo, 0, v3
	s_delay_alu instid0(VALU_DEP_2) | instskip(NEXT) | instid1(VALU_DEP_4)
	v_cmp_ne_u32_e64 s2, 0, v10
	v_dual_cndmask_b32 v3, v9, v7, vcc_lo :: v_dual_cndmask_b32 v7, v8, v6, vcc_lo
	s_delay_alu instid0(VALU_DEP_1) | instskip(NEXT) | instid1(VALU_DEP_1)
	v_dual_cndmask_b32 v4, v4, v7, s2 :: v_dual_bitop2_b32 v6, s4, v2 bitop3:0x14
	v_dual_cndmask_b32 v3, v5, v3, s2 :: v_dual_mov_b32 v7, v6
	s_delay_alu instid0(VALU_DEP_2) | instskip(NEXT) | instid1(VALU_DEP_2)
	v_xor_b32_e32 v4, v4, v6
	v_xor_b32_e32 v5, v3, v6
	s_delay_alu instid0(VALU_DEP_1)
	v_sub_nc_u64_e32 v[4:5], v[4:5], v[6:7]
.LBB58_3:
	s_and_not1_saveexec_b32 s2, s3
	s_cbranch_execz .LBB58_5
; %bb.4:
	v_cvt_f32_u32_e32 v3, s28
	s_sub_co_i32 s3, 0, s28
	s_delay_alu instid0(VALU_DEP_1) | instskip(SKIP_1) | instid1(TRANS32_DEP_1)
	v_rcp_iflag_f32_e32 v3, v3
	v_nop
	v_mul_f32_e32 v3, 0x4f7ffffe, v3
	s_delay_alu instid0(VALU_DEP_1) | instskip(NEXT) | instid1(VALU_DEP_1)
	v_cvt_u32_f32_e32 v3, v3
	v_mul_lo_u32 v4, s3, v3
	s_delay_alu instid0(VALU_DEP_1) | instskip(NEXT) | instid1(VALU_DEP_1)
	v_mul_hi_u32 v4, v3, v4
	v_add_nc_u32_e32 v3, v3, v4
	s_delay_alu instid0(VALU_DEP_1) | instskip(NEXT) | instid1(VALU_DEP_1)
	v_mul_hi_u32 v3, v0, v3
	v_mul_lo_u32 v4, v3, s28
	s_delay_alu instid0(VALU_DEP_1) | instskip(NEXT) | instid1(VALU_DEP_1)
	v_dual_add_nc_u32 v5, 1, v3 :: v_dual_sub_nc_u32 v4, v0, v4
	v_subrev_nc_u32_e32 v6, s28, v4
	v_cmp_le_u32_e32 vcc_lo, s28, v4
	s_delay_alu instid0(VALU_DEP_2) | instskip(NEXT) | instid1(VALU_DEP_1)
	v_dual_cndmask_b32 v4, v4, v6 :: v_dual_cndmask_b32 v3, v3, v5
	v_cmp_le_u32_e32 vcc_lo, s28, v4
	s_delay_alu instid0(VALU_DEP_2) | instskip(NEXT) | instid1(VALU_DEP_1)
	v_add_nc_u32_e32 v5, 1, v3
	v_dual_cndmask_b32 v4, v3, v5 :: v_dual_mov_b32 v5, 0
.LBB58_5:
	s_or_b32 exec_lo, exec_lo, s2
	s_delay_alu instid0(VALU_DEP_1) | instskip(SKIP_1) | instid1(VALU_DEP_1)
	v_dual_mov_b32 v8, 0 :: v_dual_bitop2_b32 v9, s7, v5 bitop3:0x54
                                        ; implicit-def: $vgpr6_vgpr7
	s_mov_b32 s2, exec_lo
	v_cmpx_ne_u64_e32 0, v[8:9]
	s_xor_b32 s3, exec_lo, s2
	s_cbranch_execz .LBB58_7
; %bb.6:
	s_ashr_i32 s4, s7, 31
	s_mov_b32 s15, 0
	s_mov_b32 s5, s4
	v_dual_mov_b32 v13, v8 :: v_dual_ashrrev_i32 v6, 31, v5
	s_add_nc_u64 s[8:9], s[6:7], s[4:5]
	v_mov_b32_e32 v15, v8
	s_xor_b64 s[4:5], s[8:9], s[4:5]
	s_delay_alu instid0(VALU_DEP_2)
	v_mov_b32_e32 v7, v6
	s_cvt_f32_u32 s2, s4
	s_cvt_f32_u32 s7, s5
	s_sub_nc_u64 s[10:11], 0, s[4:5]
	v_mov_b32_e32 v21, v8
	v_add_nc_u64_e32 v[10:11], v[4:5], v[6:7]
	s_fmamk_f32 s2, s7, 0x4f800000, s2
	v_mov_b32_e32 v9, v8
	s_delay_alu instid0(SALU_CYCLE_2) | instskip(NEXT) | instid1(VALU_DEP_2)
	v_s_rcp_f32 s2, s2
	v_xor_b32_e32 v12, v10, v6
	s_delay_alu instid0(VALU_DEP_3) | instskip(NEXT) | instid1(TRANS32_DEP_1)
	v_xor_b32_e32 v14, v11, v6
	s_mul_f32 s2, s2, 0x5f7ffffc
	s_delay_alu instid0(SALU_CYCLE_3) | instskip(NEXT) | instid1(SALU_CYCLE_3)
	s_mul_f32 s7, s2, 0x2f800000
	s_trunc_f32 s7, s7
	s_delay_alu instid0(SALU_CYCLE_3) | instskip(SKIP_1) | instid1(SALU_CYCLE_2)
	s_fmamk_f32 s2, s7, 0xcf800000, s2
	s_cvt_u32_f32 s9, s7
	s_cvt_u32_f32 s8, s2
	s_delay_alu instid0(SALU_CYCLE_3) | instskip(NEXT) | instid1(SALU_CYCLE_1)
	s_mul_u64 s[12:13], s[10:11], s[8:9]
	s_mul_hi_u32 s17, s8, s13
	s_mul_i32 s16, s8, s13
	s_mul_hi_u32 s14, s8, s12
	s_mul_i32 s7, s9, s12
	s_add_nc_u64 s[16:17], s[14:15], s[16:17]
	s_mul_hi_u32 s2, s9, s12
	s_mul_hi_u32 s18, s9, s13
	s_add_co_u32 s7, s16, s7
	s_add_co_ci_u32 s14, s17, s2
	s_mul_i32 s12, s9, s13
	s_add_co_ci_u32 s13, s18, 0
	s_delay_alu instid0(SALU_CYCLE_1) | instskip(NEXT) | instid1(SALU_CYCLE_1)
	s_add_nc_u64 s[12:13], s[14:15], s[12:13]
	s_add_co_u32 s8, s8, s12
	s_cselect_b32 s2, -1, 0
	s_delay_alu instid0(SALU_CYCLE_1) | instskip(SKIP_1) | instid1(SALU_CYCLE_1)
	s_cmp_lg_u32 s2, 0
	s_add_co_ci_u32 s9, s9, s13
	s_mul_u64 s[10:11], s[10:11], s[8:9]
	s_delay_alu instid0(SALU_CYCLE_1)
	s_mul_hi_u32 s13, s8, s11
	s_mul_i32 s12, s8, s11
	s_mul_hi_u32 s14, s8, s10
	s_mul_i32 s7, s9, s10
	s_add_nc_u64 s[12:13], s[14:15], s[12:13]
	s_mul_hi_u32 s2, s9, s10
	s_mul_hi_u32 s16, s9, s11
	s_add_co_u32 s7, s12, s7
	s_add_co_ci_u32 s14, s13, s2
	s_mul_i32 s10, s9, s11
	s_add_co_ci_u32 s11, s16, 0
	s_delay_alu instid0(SALU_CYCLE_1) | instskip(NEXT) | instid1(SALU_CYCLE_1)
	s_add_nc_u64 s[10:11], s[14:15], s[10:11]
	s_add_co_u32 s2, s8, s10
	s_cselect_b32 s7, -1, 0
	v_mul_hi_u32 v20, v12, s2
	s_cmp_lg_u32 s7, 0
	s_add_co_ci_u32 s14, s9, s11
	s_mov_b64 s[8:9], 0xffffffff
	v_mul_u64_e32 v[16:17], s[14:15], v[12:13]
	s_and_b64 s[8:9], s[2:3], s[8:9]
	v_mul_u64_e32 v[18:19], s[14:15], v[14:15]
	v_mul_u64_e32 v[10:11], s[8:9], v[14:15]
	s_delay_alu instid0(VALU_DEP_3) | instskip(NEXT) | instid1(VALU_DEP_1)
	v_add_nc_u64_e32 v[16:17], v[20:21], v[16:17]
	v_add_co_u32 v3, vcc_lo, v16, v10
	s_delay_alu instid0(VALU_DEP_2) | instskip(SKIP_1) | instid1(VALU_DEP_1)
	v_add_co_ci_u32_e32 v8, vcc_lo, v17, v11, vcc_lo
	v_add_co_ci_u32_e32 v19, vcc_lo, 0, v19, vcc_lo
	v_add_nc_u64_e32 v[8:9], v[8:9], v[18:19]
	s_delay_alu instid0(VALU_DEP_1) | instskip(NEXT) | instid1(VALU_DEP_1)
	v_mul_u64_e32 v[8:9], s[4:5], v[8:9]
	v_sub_co_u32 v8, vcc_lo, v12, v8
	s_delay_alu instid0(VALU_DEP_1) | instskip(NEXT) | instid1(VALU_DEP_1)
	v_cmp_le_u32_e64 s2, s4, v8
	v_cndmask_b32_e64 v12, 0, -1, s2
	s_delay_alu instid0(VALU_DEP_4) | instskip(SKIP_1) | instid1(VALU_DEP_2)
	v_sub_nc_u32_e32 v3, v14, v9
	v_sub_co_ci_u32_e64 v9, null, v14, v9, vcc_lo
	v_subrev_co_ci_u32_e64 v3, null, s5, v3, vcc_lo
	v_sub_co_u32 v10, vcc_lo, v8, s4
	s_delay_alu instid0(VALU_DEP_1) | instskip(NEXT) | instid1(VALU_DEP_2)
	v_subrev_co_ci_u32_e64 v11, null, 0, v3, vcc_lo
	v_cmp_le_u32_e64 s2, s4, v10
	v_subrev_co_ci_u32_e64 v3, null, s5, v3, vcc_lo
	v_cmp_le_u32_e32 vcc_lo, s5, v9
	s_delay_alu instid0(VALU_DEP_3) | instskip(SKIP_3) | instid1(VALU_DEP_3)
	v_cndmask_b32_e64 v13, 0, -1, s2
	v_cmp_le_u32_e64 s2, s5, v11
	v_cndmask_b32_e64 v15, 0, -1, vcc_lo
	v_cmp_eq_u32_e32 vcc_lo, s5, v11
	v_cndmask_b32_e64 v14, 0, -1, s2
	v_cmp_eq_u32_e64 s2, s5, v9
	s_delay_alu instid0(VALU_DEP_2) | instskip(SKIP_1) | instid1(VALU_DEP_1)
	v_cndmask_b32_e32 v13, v14, v13, vcc_lo
	v_sub_co_u32 v14, vcc_lo, v10, s4
	v_subrev_co_ci_u32_e64 v3, null, 0, v3, vcc_lo
	s_delay_alu instid0(VALU_DEP_3) | instskip(SKIP_1) | instid1(VALU_DEP_3)
	v_cmp_ne_u32_e32 vcc_lo, 0, v13
	v_cndmask_b32_e64 v12, v15, v12, s2
	v_dual_cndmask_b32 v3, v11, v3 :: v_dual_cndmask_b32 v10, v10, v14
	s_delay_alu instid0(VALU_DEP_2) | instskip(NEXT) | instid1(VALU_DEP_2)
	v_cmp_ne_u32_e32 vcc_lo, 0, v12
	v_dual_cndmask_b32 v3, v9, v3 :: v_dual_cndmask_b32 v8, v8, v10
	s_delay_alu instid0(VALU_DEP_1) | instskip(NEXT) | instid1(VALU_DEP_2)
	v_xor_b32_e32 v9, v3, v6
	v_xor_b32_e32 v8, v8, v6
	s_delay_alu instid0(VALU_DEP_1)
	v_sub_nc_u64_e32 v[6:7], v[8:9], v[6:7]
.LBB58_7:
	s_or_saveexec_b32 s2, s3
	s_clause 0x1
	s_load_b64 s[34:35], s[0:1], 0xa8
	s_load_b256 s[20:27], s[0:1], 0x88
	s_xor_b32 exec_lo, exec_lo, s2
	s_cbranch_execz .LBB58_9
; %bb.8:
	v_cvt_f32_u32_e32 v3, s6
	s_sub_co_i32 s3, 0, s6
	v_mov_b32_e32 v7, 0
	s_delay_alu instid0(VALU_DEP_2) | instskip(SKIP_1) | instid1(TRANS32_DEP_1)
	v_rcp_iflag_f32_e32 v3, v3
	v_nop
	v_mul_f32_e32 v3, 0x4f7ffffe, v3
	s_delay_alu instid0(VALU_DEP_1) | instskip(NEXT) | instid1(VALU_DEP_1)
	v_cvt_u32_f32_e32 v3, v3
	v_mul_lo_u32 v6, s3, v3
	s_delay_alu instid0(VALU_DEP_1) | instskip(NEXT) | instid1(VALU_DEP_1)
	v_mul_hi_u32 v6, v3, v6
	v_add_nc_u32_e32 v3, v3, v6
	s_delay_alu instid0(VALU_DEP_1) | instskip(NEXT) | instid1(VALU_DEP_1)
	v_mul_hi_u32 v3, v4, v3
	v_mul_lo_u32 v3, v3, s6
	s_delay_alu instid0(VALU_DEP_1) | instskip(NEXT) | instid1(VALU_DEP_1)
	v_sub_nc_u32_e32 v3, v4, v3
	v_subrev_nc_u32_e32 v6, s6, v3
	v_cmp_le_u32_e32 vcc_lo, s6, v3
	s_delay_alu instid0(VALU_DEP_2) | instskip(NEXT) | instid1(VALU_DEP_1)
	v_cndmask_b32_e32 v3, v3, v6, vcc_lo
	v_subrev_nc_u32_e32 v6, s6, v3
	v_cmp_le_u32_e32 vcc_lo, s6, v3
	s_delay_alu instid0(VALU_DEP_2)
	v_cndmask_b32_e32 v6, v3, v6, vcc_lo
.LBB58_9:
	s_or_b32 exec_lo, exec_lo, s2
	v_dual_mov_b32 v10, 0 :: v_dual_bitop2_b32 v11, s31, v1 bitop3:0x54
                                        ; implicit-def: $vgpr8_vgpr9
	s_mov_b32 s2, exec_lo
	s_delay_alu instid0(VALU_DEP_1)
	v_cmpx_ne_u64_e32 0, v[10:11]
	s_xor_b32 s3, exec_lo, s2
	s_cbranch_execz .LBB58_11
; %bb.10:
	s_ashr_i32 s4, s31, 31
	s_mov_b32 s15, 0
	s_mov_b32 s5, s4
	v_dual_mov_b32 v3, v2 :: v_dual_mov_b32 v13, v10
	s_add_nc_u64 s[6:7], s[30:31], s[4:5]
	v_mov_b32_e32 v11, v10
	s_xor_b64 s[6:7], s[6:7], s[4:5]
	s_delay_alu instid0(VALU_DEP_2) | instskip(SKIP_4) | instid1(SALU_CYCLE_1)
	v_add_nc_u64_e32 v[8:9], v[0:1], v[2:3]
	s_cvt_f32_u32 s2, s6
	s_cvt_f32_u32 s5, s7
	s_sub_nc_u64 s[10:11], 0, s[6:7]
	v_dual_mov_b32 v15, v10 :: v_dual_mov_b32 v21, v10
	s_fmamk_f32 s2, s5, 0x4f800000, s2
	s_delay_alu instid0(VALU_DEP_2) | instskip(SKIP_3) | instid1(TRANS32_DEP_1)
	v_xor_b32_e32 v12, v8, v2
	v_xor_b32_e32 v14, v9, v2
	;; [unrolled: 1-line block ×3, first 2 shown]
	v_s_rcp_f32 s2, s2
	s_mul_f32 s2, s2, 0x5f7ffffc
	s_delay_alu instid0(SALU_CYCLE_3) | instskip(NEXT) | instid1(SALU_CYCLE_3)
	s_mul_f32 s5, s2, 0x2f800000
	s_trunc_f32 s5, s5
	s_delay_alu instid0(SALU_CYCLE_3) | instskip(SKIP_1) | instid1(SALU_CYCLE_2)
	s_fmamk_f32 s2, s5, 0xcf800000, s2
	s_cvt_u32_f32 s9, s5
	s_cvt_u32_f32 s8, s2
	s_delay_alu instid0(SALU_CYCLE_3) | instskip(NEXT) | instid1(SALU_CYCLE_1)
	s_mul_u64 s[12:13], s[10:11], s[8:9]
	s_mul_hi_u32 s17, s8, s13
	s_mul_i32 s16, s8, s13
	s_mul_hi_u32 s14, s8, s12
	s_mul_i32 s5, s9, s12
	s_add_nc_u64 s[16:17], s[14:15], s[16:17]
	s_mul_hi_u32 s2, s9, s12
	s_mul_hi_u32 s18, s9, s13
	s_add_co_u32 s5, s16, s5
	s_add_co_ci_u32 s14, s17, s2
	s_mul_i32 s12, s9, s13
	s_add_co_ci_u32 s13, s18, 0
	s_delay_alu instid0(SALU_CYCLE_1) | instskip(NEXT) | instid1(SALU_CYCLE_1)
	s_add_nc_u64 s[12:13], s[14:15], s[12:13]
	s_add_co_u32 s8, s8, s12
	s_cselect_b32 s2, -1, 0
	s_delay_alu instid0(SALU_CYCLE_1) | instskip(SKIP_1) | instid1(SALU_CYCLE_1)
	s_cmp_lg_u32 s2, 0
	s_add_co_ci_u32 s9, s9, s13
	s_mul_u64 s[10:11], s[10:11], s[8:9]
	s_delay_alu instid0(SALU_CYCLE_1)
	s_mul_hi_u32 s13, s8, s11
	s_mul_i32 s12, s8, s11
	s_mul_hi_u32 s14, s8, s10
	s_mul_i32 s5, s9, s10
	s_add_nc_u64 s[12:13], s[14:15], s[12:13]
	s_mul_hi_u32 s2, s9, s10
	s_mul_hi_u32 s16, s9, s11
	s_add_co_u32 s5, s12, s5
	s_add_co_ci_u32 s14, s13, s2
	s_mul_i32 s10, s9, s11
	s_add_co_ci_u32 s11, s16, 0
	s_delay_alu instid0(SALU_CYCLE_1) | instskip(NEXT) | instid1(SALU_CYCLE_1)
	s_add_nc_u64 s[10:11], s[14:15], s[10:11]
	s_add_co_u32 s2, s8, s10
	s_cselect_b32 s5, -1, 0
	v_nop
	v_mul_hi_u32 v20, v12, s2
	s_cmp_lg_u32 s5, 0
	s_add_co_ci_u32 s14, s9, s11
	s_mov_b64 s[8:9], 0xffffffff
	v_mul_u64_e32 v[16:17], s[14:15], v[12:13]
	s_and_b64 s[8:9], s[2:3], s[8:9]
	v_mul_u64_e32 v[18:19], s[14:15], v[14:15]
	v_mul_u64_e32 v[8:9], s[8:9], v[14:15]
	s_delay_alu instid0(VALU_DEP_3) | instskip(NEXT) | instid1(VALU_DEP_1)
	v_add_nc_u64_e32 v[16:17], v[20:21], v[16:17]
	v_add_co_u32 v3, vcc_lo, v16, v8
	s_delay_alu instid0(VALU_DEP_2) | instskip(SKIP_1) | instid1(VALU_DEP_1)
	v_add_co_ci_u32_e32 v10, vcc_lo, v17, v9, vcc_lo
	v_add_co_ci_u32_e32 v19, vcc_lo, 0, v19, vcc_lo
	v_add_nc_u64_e32 v[8:9], v[10:11], v[18:19]
	s_delay_alu instid0(VALU_DEP_1) | instskip(NEXT) | instid1(VALU_DEP_1)
	v_mul_u64_e32 v[10:11], s[6:7], v[8:9]
	v_sub_nc_u32_e32 v3, v14, v11
	s_delay_alu instid0(VALU_DEP_2) | instskip(NEXT) | instid1(VALU_DEP_1)
	v_sub_co_u32 v10, vcc_lo, v12, v10
	v_sub_co_ci_u32_e64 v14, null, v14, v11, vcc_lo
	s_delay_alu instid0(VALU_DEP_3) | instskip(NEXT) | instid1(VALU_DEP_3)
	v_subrev_co_ci_u32_e64 v3, null, s7, v3, vcc_lo
	v_sub_co_u32 v12, s2, v10, s6
	s_delay_alu instid0(VALU_DEP_1) | instskip(NEXT) | instid1(VALU_DEP_2)
	v_subrev_co_ci_u32_e64 v3, null, 0, v3, s2
	v_cmp_le_u32_e32 vcc_lo, s6, v12
	v_cndmask_b32_e64 v11, 0, -1, vcc_lo
	s_delay_alu instid0(VALU_DEP_3)
	v_cmp_le_u32_e32 vcc_lo, s7, v3
	v_cndmask_b32_e64 v12, 0, -1, vcc_lo
	v_cmp_le_u32_e32 vcc_lo, s6, v10
	v_cndmask_b32_e64 v15, 0, -1, vcc_lo
	;; [unrolled: 2-line block ×3, first 2 shown]
	v_cmp_eq_u32_e32 vcc_lo, s7, v3
	v_cndmask_b32_e32 v3, v12, v11, vcc_lo
	v_cmp_eq_u32_e32 vcc_lo, s7, v14
	v_add_nc_u64_e32 v[10:11], 2, v[8:9]
	v_add_nc_u64_e32 v[12:13], 1, v[8:9]
	v_cndmask_b32_e32 v14, v16, v15, vcc_lo
	v_cmp_ne_u32_e32 vcc_lo, 0, v3
	s_delay_alu instid0(VALU_DEP_2) | instskip(NEXT) | instid1(VALU_DEP_4)
	v_cmp_ne_u32_e64 s2, 0, v14
	v_dual_cndmask_b32 v10, v12, v10 :: v_dual_cndmask_b32 v3, v13, v11
	s_delay_alu instid0(VALU_DEP_1) | instskip(NEXT) | instid1(VALU_DEP_1)
	v_dual_cndmask_b32 v8, v8, v10, s2 :: v_dual_cndmask_b32 v9, v9, v3, s2
	v_dual_mov_b32 v3, v2 :: v_dual_bitop2_b32 v8, v8, v2 bitop3:0x14
	s_delay_alu instid0(VALU_DEP_2) | instskip(NEXT) | instid1(VALU_DEP_1)
	v_xor_b32_e32 v9, v9, v2
	v_sub_nc_u64_e32 v[8:9], v[8:9], v[2:3]
.LBB58_11:
	s_or_saveexec_b32 s31, s3
	s_clause 0x2
	s_load_b64 s[2:3], s[0:1], 0x58
	s_load_b64 s[44:45], s[0:1], 0x0
	s_load_b512 s[4:19], s[0:1], 0x18
	s_xor_b32 exec_lo, exec_lo, s31
	s_cbranch_execz .LBB58_13
; %bb.12:
	v_cvt_f32_u32_e32 v2, s30
	s_sub_co_i32 s36, 0, s30
	s_delay_alu instid0(VALU_DEP_1) | instskip(SKIP_1) | instid1(TRANS32_DEP_1)
	v_rcp_iflag_f32_e32 v2, v2
	v_nop
	v_mul_f32_e32 v2, 0x4f7ffffe, v2
	s_delay_alu instid0(VALU_DEP_1) | instskip(NEXT) | instid1(VALU_DEP_1)
	v_cvt_u32_f32_e32 v2, v2
	v_mul_lo_u32 v3, s36, v2
	s_delay_alu instid0(VALU_DEP_1) | instskip(NEXT) | instid1(VALU_DEP_1)
	v_mul_hi_u32 v3, v2, v3
	v_add_nc_u32_e32 v2, v2, v3
	s_delay_alu instid0(VALU_DEP_1) | instskip(NEXT) | instid1(VALU_DEP_1)
	v_mul_hi_u32 v2, v0, v2
	v_mul_lo_u32 v3, v2, s30
	s_delay_alu instid0(VALU_DEP_1) | instskip(NEXT) | instid1(VALU_DEP_1)
	v_dual_add_nc_u32 v8, 1, v2 :: v_dual_sub_nc_u32 v3, v0, v3
	v_subrev_nc_u32_e32 v9, s30, v3
	v_cmp_le_u32_e32 vcc_lo, s30, v3
	s_delay_alu instid0(VALU_DEP_2) | instskip(NEXT) | instid1(VALU_DEP_4)
	v_dual_cndmask_b32 v3, v3, v9, vcc_lo :: v_dual_mov_b32 v9, 0
	v_cndmask_b32_e32 v2, v2, v8, vcc_lo
	s_delay_alu instid0(VALU_DEP_2) | instskip(NEXT) | instid1(VALU_DEP_2)
	v_cmp_le_u32_e32 vcc_lo, s30, v3
	v_add_nc_u32_e32 v8, 1, v2
	s_delay_alu instid0(VALU_DEP_1)
	v_cndmask_b32_e32 v8, v2, v8, vcc_lo
.LBB58_13:
	s_or_b32 exec_lo, exec_lo, s31
	s_load_b256 s[36:43], s[0:1], 0xb0
	v_mul_u64_e32 v[4:5], s[28:29], v[4:5]
	s_and_b32 s49, ttmp7, 0xffff
	s_wait_xcnt 0x0
	s_load_b64 s[0:1], s[0:1], 0xd0
	s_lshr_b32 s28, ttmp7, 16
	s_bfe_u32 s48, ttmp6, 0x40008
	s_bfe_u32 s50, ttmp6, 0x40004
	s_mov_b32 s29, 0
	s_wait_kmcnt 0x0
	v_max_i64 v[2:3], s[40:41], 0
	s_add_nc_u64 s[30:31], s[40:41], s[4:5]
	v_max_i64 v[16:17], s[38:39], 0
	v_sub_nc_u64_e64 v[10:11], v[8:9], s[30:31]
	s_sub_nc_u64 s[30:31], 0, s[40:41]
	s_delay_alu instid0(SALU_CYCLE_1) | instskip(SKIP_3) | instid1(VALU_DEP_2)
	v_max_i64 v[12:13], s[30:31], 0
	s_bfe_u32 s31, ttmp6, 0x40010
	s_bfe_u32 s30, ttmp6, 0x40014
	s_add_co_i32 s46, s31, 1
	v_add_nc_u64_e32 v[14:15], 1, v[10:11]
	v_not_b32_e32 v11, v11
	v_not_b32_e32 v10, v10
	s_mul_i32 s51, s49, s46
	s_add_nc_u64 s[46:47], s[38:39], s[6:7]
	s_add_co_i32 s30, s30, 1
	s_add_co_i32 s50, s50, s51
	v_max_i64 v[10:11], v[14:15], v[10:11]
	v_sub_nc_u64_e64 v[14:15], v[8:9], s[40:41]
	s_lshl_b64 s[40:41], s[40:41], 1
	s_mul_i32 s30, s28, s30
	s_mov_b32 s31, s29
	s_add_co_i32 s48, s48, s30
	v_sub_nc_u64_e32 v[0:1], v[0:1], v[4:5]
	s_delay_alu instid0(VALU_DEP_2) | instskip(NEXT) | instid1(VALU_DEP_1)
	v_sub_nc_u64_e32 v[18:19], 0, v[14:15]
	v_max_i64 v[14:15], v[14:15], v[18:19]
	v_not_b32_e32 v2, v2
	v_not_b32_e32 v3, v3
	v_sub_nc_u64_e64 v[18:19], v[6:7], s[46:47]
	s_lshl_b64 s[46:47], s[36:37], 1
	v_not_b32_e32 v16, v16
	v_not_b32_e32 v17, v17
	v_add_nc_u64_e32 v[2:3], s[40:41], v[2:3]
	s_sub_nc_u64 s[40:41], 0, s[38:39]
	s_delay_alu instid0(SALU_CYCLE_1)
	v_max_i64 v[20:21], s[40:41], 0
	v_add_nc_u64_e32 v[22:23], 1, v[18:19]
	v_not_b32_e32 v19, v19
	v_not_b32_e32 v18, v18
	v_add_nc_u64_e32 v[2:3], v[2:3], v[12:13]
	v_sub_nc_u64_e64 v[12:13], v[6:7], s[38:39]
	s_lshl_b64 s[38:39], s[38:39], 1
	v_add_nc_u64_e32 v[10:11], v[8:9], v[10:11]
	v_max_i64 v[18:19], v[22:23], v[18:19]
	s_cmp_eq_u32 s33, 0
	v_max_i64 v[22:23], s[36:37], 0
	v_add_nc_u64_e32 v[2:3], s[4:5], v[2:3]
	v_sub_nc_u64_e32 v[24:25], 0, v[12:13]
	s_cselect_b32 s30, s28, s48
	s_cselect_b32 s28, s49, s50
	s_add_nc_u64 s[0:1], s[0:1], s[30:31]
	s_delay_alu instid0(SALU_CYCLE_1) | instskip(NEXT) | instid1(VALU_DEP_2)
	s_mul_u64 s[4:5], s[10:11], s[0:1]
	v_sub_nc_u64_e32 v[2:3], v[2:3], v[10:11]
	s_delay_alu instid0(VALU_DEP_2)
	v_max_i64 v[4:5], v[12:13], v[24:25]
	s_add_nc_u64 s[10:11], s[42:43], s[28:29]
	s_add_nc_u64 s[4:5], s[44:45], s[4:5]
	s_mul_u64 s[12:13], s[12:13], s[10:11]
	s_add_nc_u64 s[28:29], s[36:37], s[8:9]
	v_add_nc_u64_e32 v[10:11], s[38:39], v[16:17]
	v_add_nc_u64_e32 v[2:3], v[2:3], v[14:15]
	s_add_nc_u64 s[4:5], s[4:5], s[12:13]
	v_sub_nc_u64_e64 v[12:13], v[0:1], s[28:29]
	v_sub_nc_u64_e64 v[24:25], v[0:1], s[36:37]
	s_mul_u64 s[0:1], s[20:21], s[0:1]
	s_delay_alu instid0(SALU_CYCLE_1) | instskip(NEXT) | instid1(VALU_DEP_3)
	s_add_nc_u64 s[0:1], s[2:3], s[0:1]
	v_mad_nc_u64_u32 v[14:15], v2, s14, s[4:5]
	s_sub_nc_u64 s[4:5], 0, s[36:37]
	v_add_nc_u64_e32 v[10:11], v[10:11], v[20:21]
	v_max_i64 v[16:17], s[4:5], 0
	v_add_nc_u64_e32 v[20:21], 1, v[12:13]
	v_not_b32_e32 v13, v13
	v_not_b32_e32 v12, v12
	s_mul_u64 s[2:3], s[22:23], s[10:11]
	v_add_nc_u64_e32 v[18:19], v[6:7], v[18:19]
	v_add_nc_u64_e32 v[10:11], s[6:7], v[10:11]
	s_add_nc_u64 s[0:1], s[0:1], s[2:3]
	v_mad_u32 v3, v3, s14, v15
	v_max_i64 v[12:13], v[20:21], v[12:13]
	s_delay_alu instid0(VALU_DEP_3) | instskip(SKIP_1) | instid1(VALU_DEP_4)
	v_sub_nc_u64_e32 v[10:11], v[10:11], v[18:19]
	v_sub_nc_u64_e32 v[18:19], 0, v[24:25]
	v_mad_u32 v15, v2, s15, v3
	v_not_b32_e32 v2, v22
	v_not_b32_e32 v3, v23
	v_add_nc_u64_e32 v[4:5], v[10:11], v[4:5]
	v_max_i64 v[10:11], v[24:25], v[18:19]
	s_delay_alu instid0(VALU_DEP_3) | instskip(NEXT) | instid1(VALU_DEP_3)
	v_add_nc_u64_e32 v[2:3], s[46:47], v[2:3]
	v_mad_nc_u64_u32 v[14:15], v4, s16, v[14:15]
	s_delay_alu instid0(VALU_DEP_2) | instskip(NEXT) | instid1(VALU_DEP_1)
	v_add_nc_u64_e32 v[2:3], v[2:3], v[16:17]
	v_add_nc_u64_e32 v[2:3], s[8:9], v[2:3]
	s_delay_alu instid0(VALU_DEP_3) | instskip(SKIP_1) | instid1(VALU_DEP_1)
	v_mad_u32 v5, v5, s16, v15
	v_add_nc_u64_e32 v[12:13], v[0:1], v[12:13]
	v_sub_nc_u64_e32 v[2:3], v[2:3], v[12:13]
	s_delay_alu instid0(VALU_DEP_3) | instskip(NEXT) | instid1(VALU_DEP_2)
	v_mad_u32 v15, v4, s17, v5
	v_add_nc_u64_e32 v[2:3], v[2:3], v[10:11]
	s_delay_alu instid0(VALU_DEP_1) | instskip(NEXT) | instid1(VALU_DEP_1)
	v_mad_nc_u64_u32 v[4:5], v2, s18, v[14:15]
	v_mad_u32 v3, v3, s18, v5
	s_delay_alu instid0(VALU_DEP_1) | instskip(SKIP_3) | instid1(VALU_DEP_1)
	v_mad_u32 v5, v2, s19, v3
	v_mad_nc_u64_u32 v[2:3], v8, s24, s[0:1]
	global_load_u8 v4, v[4:5], off
	v_mad_u32 v3, v9, s24, v3
	v_mad_u32 v3, v8, s25, v3
	s_delay_alu instid0(VALU_DEP_1) | instskip(NEXT) | instid1(VALU_DEP_1)
	v_mad_nc_u64_u32 v[2:3], v6, s26, v[2:3]
	v_mad_u32 v3, v7, s26, v3
	s_delay_alu instid0(VALU_DEP_1) | instskip(NEXT) | instid1(VALU_DEP_1)
	v_mad_u32 v3, v6, s27, v3
	v_mad_nc_u64_u32 v[2:3], v0, s34, v[2:3]
	s_delay_alu instid0(VALU_DEP_1) | instskip(NEXT) | instid1(VALU_DEP_1)
	v_mad_u32 v1, v1, s34, v3
	v_mad_u32 v3, v0, s35, v1
	s_wait_loadcnt 0x0
	global_store_b8 v[2:3], v4, off
.LBB58_14:
	s_endpgm
	.section	.rodata,"a",@progbits
	.p2align	6, 0x0
	.amdhsa_kernel _ZN2at6native12_GLOBAL__N_127reflection_pad3d_out_kernelIaEEvN5torch10headeronly6detail27GenericPackedTensorAccessorINS5_14TensorAccessorIN3c108ArrayRefIlEEKT_Lm4ENS4_16DefaultPtrTraitsElEENS_6detail16IndexBoundsCheckILm5ElEESC_Lm5ESD_lEENS6_INS7_ISA_SB_Lm4ESD_lEESH_SB_Lm5ESD_lEElllll
		.amdhsa_group_segment_fixed_size 0
		.amdhsa_private_segment_fixed_size 0
		.amdhsa_kernarg_size 472
		.amdhsa_user_sgpr_count 2
		.amdhsa_user_sgpr_dispatch_ptr 0
		.amdhsa_user_sgpr_queue_ptr 0
		.amdhsa_user_sgpr_kernarg_segment_ptr 1
		.amdhsa_user_sgpr_dispatch_id 0
		.amdhsa_user_sgpr_kernarg_preload_length 0
		.amdhsa_user_sgpr_kernarg_preload_offset 0
		.amdhsa_user_sgpr_private_segment_size 0
		.amdhsa_wavefront_size32 1
		.amdhsa_uses_dynamic_stack 0
		.amdhsa_enable_private_segment 0
		.amdhsa_system_sgpr_workgroup_id_x 1
		.amdhsa_system_sgpr_workgroup_id_y 1
		.amdhsa_system_sgpr_workgroup_id_z 1
		.amdhsa_system_sgpr_workgroup_info 0
		.amdhsa_system_vgpr_workitem_id 0
		.amdhsa_next_free_vgpr 26
		.amdhsa_next_free_sgpr 52
		.amdhsa_named_barrier_count 0
		.amdhsa_reserve_vcc 1
		.amdhsa_float_round_mode_32 0
		.amdhsa_float_round_mode_16_64 0
		.amdhsa_float_denorm_mode_32 3
		.amdhsa_float_denorm_mode_16_64 3
		.amdhsa_fp16_overflow 0
		.amdhsa_memory_ordered 1
		.amdhsa_forward_progress 1
		.amdhsa_inst_pref_size 25
		.amdhsa_round_robin_scheduling 0
		.amdhsa_exception_fp_ieee_invalid_op 0
		.amdhsa_exception_fp_denorm_src 0
		.amdhsa_exception_fp_ieee_div_zero 0
		.amdhsa_exception_fp_ieee_overflow 0
		.amdhsa_exception_fp_ieee_underflow 0
		.amdhsa_exception_fp_ieee_inexact 0
		.amdhsa_exception_int_div_zero 0
	.end_amdhsa_kernel
	.section	.text._ZN2at6native12_GLOBAL__N_127reflection_pad3d_out_kernelIaEEvN5torch10headeronly6detail27GenericPackedTensorAccessorINS5_14TensorAccessorIN3c108ArrayRefIlEEKT_Lm4ENS4_16DefaultPtrTraitsElEENS_6detail16IndexBoundsCheckILm5ElEESC_Lm5ESD_lEENS6_INS7_ISA_SB_Lm4ESD_lEESH_SB_Lm5ESD_lEElllll,"axG",@progbits,_ZN2at6native12_GLOBAL__N_127reflection_pad3d_out_kernelIaEEvN5torch10headeronly6detail27GenericPackedTensorAccessorINS5_14TensorAccessorIN3c108ArrayRefIlEEKT_Lm4ENS4_16DefaultPtrTraitsElEENS_6detail16IndexBoundsCheckILm5ElEESC_Lm5ESD_lEENS6_INS7_ISA_SB_Lm4ESD_lEESH_SB_Lm5ESD_lEElllll,comdat
.Lfunc_end58:
	.size	_ZN2at6native12_GLOBAL__N_127reflection_pad3d_out_kernelIaEEvN5torch10headeronly6detail27GenericPackedTensorAccessorINS5_14TensorAccessorIN3c108ArrayRefIlEEKT_Lm4ENS4_16DefaultPtrTraitsElEENS_6detail16IndexBoundsCheckILm5ElEESC_Lm5ESD_lEENS6_INS7_ISA_SB_Lm4ESD_lEESH_SB_Lm5ESD_lEElllll, .Lfunc_end58-_ZN2at6native12_GLOBAL__N_127reflection_pad3d_out_kernelIaEEvN5torch10headeronly6detail27GenericPackedTensorAccessorINS5_14TensorAccessorIN3c108ArrayRefIlEEKT_Lm4ENS4_16DefaultPtrTraitsElEENS_6detail16IndexBoundsCheckILm5ElEESC_Lm5ESD_lEENS6_INS7_ISA_SB_Lm4ESD_lEESH_SB_Lm5ESD_lEElllll
                                        ; -- End function
	.set _ZN2at6native12_GLOBAL__N_127reflection_pad3d_out_kernelIaEEvN5torch10headeronly6detail27GenericPackedTensorAccessorINS5_14TensorAccessorIN3c108ArrayRefIlEEKT_Lm4ENS4_16DefaultPtrTraitsElEENS_6detail16IndexBoundsCheckILm5ElEESC_Lm5ESD_lEENS6_INS7_ISA_SB_Lm4ESD_lEESH_SB_Lm5ESD_lEElllll.num_vgpr, 26
	.set _ZN2at6native12_GLOBAL__N_127reflection_pad3d_out_kernelIaEEvN5torch10headeronly6detail27GenericPackedTensorAccessorINS5_14TensorAccessorIN3c108ArrayRefIlEEKT_Lm4ENS4_16DefaultPtrTraitsElEENS_6detail16IndexBoundsCheckILm5ElEESC_Lm5ESD_lEENS6_INS7_ISA_SB_Lm4ESD_lEESH_SB_Lm5ESD_lEElllll.num_agpr, 0
	.set _ZN2at6native12_GLOBAL__N_127reflection_pad3d_out_kernelIaEEvN5torch10headeronly6detail27GenericPackedTensorAccessorINS5_14TensorAccessorIN3c108ArrayRefIlEEKT_Lm4ENS4_16DefaultPtrTraitsElEENS_6detail16IndexBoundsCheckILm5ElEESC_Lm5ESD_lEENS6_INS7_ISA_SB_Lm4ESD_lEESH_SB_Lm5ESD_lEElllll.numbered_sgpr, 52
	.set _ZN2at6native12_GLOBAL__N_127reflection_pad3d_out_kernelIaEEvN5torch10headeronly6detail27GenericPackedTensorAccessorINS5_14TensorAccessorIN3c108ArrayRefIlEEKT_Lm4ENS4_16DefaultPtrTraitsElEENS_6detail16IndexBoundsCheckILm5ElEESC_Lm5ESD_lEENS6_INS7_ISA_SB_Lm4ESD_lEESH_SB_Lm5ESD_lEElllll.num_named_barrier, 0
	.set _ZN2at6native12_GLOBAL__N_127reflection_pad3d_out_kernelIaEEvN5torch10headeronly6detail27GenericPackedTensorAccessorINS5_14TensorAccessorIN3c108ArrayRefIlEEKT_Lm4ENS4_16DefaultPtrTraitsElEENS_6detail16IndexBoundsCheckILm5ElEESC_Lm5ESD_lEENS6_INS7_ISA_SB_Lm4ESD_lEESH_SB_Lm5ESD_lEElllll.private_seg_size, 0
	.set _ZN2at6native12_GLOBAL__N_127reflection_pad3d_out_kernelIaEEvN5torch10headeronly6detail27GenericPackedTensorAccessorINS5_14TensorAccessorIN3c108ArrayRefIlEEKT_Lm4ENS4_16DefaultPtrTraitsElEENS_6detail16IndexBoundsCheckILm5ElEESC_Lm5ESD_lEENS6_INS7_ISA_SB_Lm4ESD_lEESH_SB_Lm5ESD_lEElllll.uses_vcc, 1
	.set _ZN2at6native12_GLOBAL__N_127reflection_pad3d_out_kernelIaEEvN5torch10headeronly6detail27GenericPackedTensorAccessorINS5_14TensorAccessorIN3c108ArrayRefIlEEKT_Lm4ENS4_16DefaultPtrTraitsElEENS_6detail16IndexBoundsCheckILm5ElEESC_Lm5ESD_lEENS6_INS7_ISA_SB_Lm4ESD_lEESH_SB_Lm5ESD_lEElllll.uses_flat_scratch, 0
	.set _ZN2at6native12_GLOBAL__N_127reflection_pad3d_out_kernelIaEEvN5torch10headeronly6detail27GenericPackedTensorAccessorINS5_14TensorAccessorIN3c108ArrayRefIlEEKT_Lm4ENS4_16DefaultPtrTraitsElEENS_6detail16IndexBoundsCheckILm5ElEESC_Lm5ESD_lEENS6_INS7_ISA_SB_Lm4ESD_lEESH_SB_Lm5ESD_lEElllll.has_dyn_sized_stack, 0
	.set _ZN2at6native12_GLOBAL__N_127reflection_pad3d_out_kernelIaEEvN5torch10headeronly6detail27GenericPackedTensorAccessorINS5_14TensorAccessorIN3c108ArrayRefIlEEKT_Lm4ENS4_16DefaultPtrTraitsElEENS_6detail16IndexBoundsCheckILm5ElEESC_Lm5ESD_lEENS6_INS7_ISA_SB_Lm4ESD_lEESH_SB_Lm5ESD_lEElllll.has_recursion, 0
	.set _ZN2at6native12_GLOBAL__N_127reflection_pad3d_out_kernelIaEEvN5torch10headeronly6detail27GenericPackedTensorAccessorINS5_14TensorAccessorIN3c108ArrayRefIlEEKT_Lm4ENS4_16DefaultPtrTraitsElEENS_6detail16IndexBoundsCheckILm5ElEESC_Lm5ESD_lEENS6_INS7_ISA_SB_Lm4ESD_lEESH_SB_Lm5ESD_lEElllll.has_indirect_call, 0
	.section	.AMDGPU.csdata,"",@progbits
; Kernel info:
; codeLenInByte = 3176
; TotalNumSgprs: 54
; NumVgprs: 26
; ScratchSize: 0
; MemoryBound: 0
; FloatMode: 240
; IeeeMode: 1
; LDSByteSize: 0 bytes/workgroup (compile time only)
; SGPRBlocks: 0
; VGPRBlocks: 1
; NumSGPRsForWavesPerEU: 54
; NumVGPRsForWavesPerEU: 26
; NamedBarCnt: 0
; Occupancy: 16
; WaveLimiterHint : 0
; COMPUTE_PGM_RSRC2:SCRATCH_EN: 0
; COMPUTE_PGM_RSRC2:USER_SGPR: 2
; COMPUTE_PGM_RSRC2:TRAP_HANDLER: 0
; COMPUTE_PGM_RSRC2:TGID_X_EN: 1
; COMPUTE_PGM_RSRC2:TGID_Y_EN: 1
; COMPUTE_PGM_RSRC2:TGID_Z_EN: 1
; COMPUTE_PGM_RSRC2:TIDIG_COMP_CNT: 0
	.section	.text._ZN2at6native12_GLOBAL__N_127reflection_pad3d_out_kernelIiEEvN5torch10headeronly6detail27GenericPackedTensorAccessorINS5_14TensorAccessorIN3c108ArrayRefIlEEKT_Lm4ENS4_16DefaultPtrTraitsElEENS_6detail16IndexBoundsCheckILm5ElEESC_Lm5ESD_lEENS6_INS7_ISA_SB_Lm4ESD_lEESH_SB_Lm5ESD_lEElllll,"axG",@progbits,_ZN2at6native12_GLOBAL__N_127reflection_pad3d_out_kernelIiEEvN5torch10headeronly6detail27GenericPackedTensorAccessorINS5_14TensorAccessorIN3c108ArrayRefIlEEKT_Lm4ENS4_16DefaultPtrTraitsElEENS_6detail16IndexBoundsCheckILm5ElEESC_Lm5ESD_lEENS6_INS7_ISA_SB_Lm4ESD_lEESH_SB_Lm5ESD_lEElllll,comdat
	.globl	_ZN2at6native12_GLOBAL__N_127reflection_pad3d_out_kernelIiEEvN5torch10headeronly6detail27GenericPackedTensorAccessorINS5_14TensorAccessorIN3c108ArrayRefIlEEKT_Lm4ENS4_16DefaultPtrTraitsElEENS_6detail16IndexBoundsCheckILm5ElEESC_Lm5ESD_lEENS6_INS7_ISA_SB_Lm4ESD_lEESH_SB_Lm5ESD_lEElllll ; -- Begin function _ZN2at6native12_GLOBAL__N_127reflection_pad3d_out_kernelIiEEvN5torch10headeronly6detail27GenericPackedTensorAccessorINS5_14TensorAccessorIN3c108ArrayRefIlEEKT_Lm4ENS4_16DefaultPtrTraitsElEENS_6detail16IndexBoundsCheckILm5ElEESC_Lm5ESD_lEENS6_INS7_ISA_SB_Lm4ESD_lEESH_SB_Lm5ESD_lEElllll
	.p2align	8
	.type	_ZN2at6native12_GLOBAL__N_127reflection_pad3d_out_kernelIiEEvN5torch10headeronly6detail27GenericPackedTensorAccessorINS5_14TensorAccessorIN3c108ArrayRefIlEEKT_Lm4ENS4_16DefaultPtrTraitsElEENS_6detail16IndexBoundsCheckILm5ElEESC_Lm5ESD_lEENS6_INS7_ISA_SB_Lm4ESD_lEESH_SB_Lm5ESD_lEElllll,@function
_ZN2at6native12_GLOBAL__N_127reflection_pad3d_out_kernelIiEEvN5torch10headeronly6detail27GenericPackedTensorAccessorINS5_14TensorAccessorIN3c108ArrayRefIlEEKT_Lm4ENS4_16DefaultPtrTraitsElEENS_6detail16IndexBoundsCheckILm5ElEESC_Lm5ESD_lEENS6_INS7_ISA_SB_Lm4ESD_lEESH_SB_Lm5ESD_lEElllll: ; @_ZN2at6native12_GLOBAL__N_127reflection_pad3d_out_kernelIiEEvN5torch10headeronly6detail27GenericPackedTensorAccessorINS5_14TensorAccessorIN3c108ArrayRefIlEEKT_Lm4ENS4_16DefaultPtrTraitsElEENS_6detail16IndexBoundsCheckILm5ElEESC_Lm5ESD_lEENS6_INS7_ISA_SB_Lm4ESD_lEESH_SB_Lm5ESD_lEElllll
; %bb.0:
	s_clause 0x2
	s_load_b32 s2, s[0:1], 0xe4
	s_load_b128 s[4:7], s[0:1], 0x70
	s_load_b64 s[28:29], s[0:1], 0x80
	s_bfe_u32 s3, ttmp6, 0x4000c
	v_mov_b32_e32 v2, 0
	s_add_co_i32 s3, s3, 1
	s_and_b32 s8, ttmp6, 15
	s_mul_i32 s3, ttmp9, s3
	s_getreg_b32 s33, hwreg(HW_REG_IB_STS2, 6, 4)
	v_mov_b32_e32 v1, v2
	s_add_co_i32 s8, s8, s3
	s_wait_kmcnt 0x0
	s_and_b32 s2, s2, 0xffff
	s_cmp_eq_u32 s33, 0
	s_mul_u64 s[30:31], s[28:29], s[6:7]
	s_cselect_b32 s3, ttmp9, s8
	s_delay_alu instid0(SALU_CYCLE_1)
	v_mad_nc_u64_u32 v[0:1], s2, s3, v[0:1]
	s_mul_u64 s[2:3], s[30:31], s[4:5]
	s_delay_alu instid0(VALU_DEP_1) | instid1(SALU_CYCLE_1)
	v_cmp_gt_i64_e32 vcc_lo, s[2:3], v[0:1]
	s_and_saveexec_b32 s2, vcc_lo
	s_cbranch_execz .LBB59_14
; %bb.1:
	v_or_b32_e32 v3, s29, v1
                                        ; implicit-def: $vgpr4_vgpr5
	s_delay_alu instid0(VALU_DEP_1) | instskip(SKIP_2) | instid1(SALU_CYCLE_1)
	v_cmp_ne_u64_e32 vcc_lo, 0, v[2:3]
	v_ashrrev_i32_e32 v2, 31, v1
	s_and_saveexec_b32 s2, vcc_lo
	s_xor_b32 s3, exec_lo, s2
	s_cbranch_execz .LBB59_3
; %bb.2:
	s_ashr_i32 s4, s29, 31
	s_mov_b32 s17, 0
	s_mov_b32 s5, s4
	v_dual_mov_b32 v3, v2 :: v_dual_mov_b32 v7, 0
	s_add_nc_u64 s[8:9], s[28:29], s[4:5]
	s_delay_alu instid0(SALU_CYCLE_1) | instskip(NEXT) | instid1(VALU_DEP_1)
	s_xor_b64 s[8:9], s[8:9], s[4:5]
	v_add_nc_u64_e32 v[4:5], v[0:1], v[2:3]
	s_cvt_f32_u32 s2, s8
	s_cvt_f32_u32 s5, s9
	s_sub_nc_u64 s[12:13], 0, s[8:9]
	v_dual_mov_b32 v9, v7 :: v_dual_mov_b32 v15, v7
	s_delay_alu instid0(SALU_CYCLE_1) | instskip(NEXT) | instid1(VALU_DEP_2)
	s_fmamk_f32 s2, s5, 0x4f800000, s2
	v_xor_b32_e32 v6, v4, v2
	v_xor_b32_e32 v8, v5, v2
	s_delay_alu instid0(SALU_CYCLE_1) | instskip(NEXT) | instid1(TRANS32_DEP_1)
	v_s_rcp_f32 s2, s2
	s_mul_f32 s2, s2, 0x5f7ffffc
	s_delay_alu instid0(SALU_CYCLE_3) | instskip(NEXT) | instid1(SALU_CYCLE_3)
	s_mul_f32 s5, s2, 0x2f800000
	s_trunc_f32 s5, s5
	s_delay_alu instid0(SALU_CYCLE_3) | instskip(SKIP_1) | instid1(SALU_CYCLE_2)
	s_fmamk_f32 s2, s5, 0xcf800000, s2
	s_cvt_u32_f32 s11, s5
	s_cvt_u32_f32 s10, s2
	s_delay_alu instid0(SALU_CYCLE_3) | instskip(NEXT) | instid1(SALU_CYCLE_1)
	s_mul_u64 s[14:15], s[12:13], s[10:11]
	s_mul_hi_u32 s19, s10, s15
	s_mul_i32 s18, s10, s15
	s_mul_hi_u32 s16, s10, s14
	s_mul_i32 s5, s11, s14
	s_add_nc_u64 s[18:19], s[16:17], s[18:19]
	s_mul_hi_u32 s2, s11, s14
	s_mul_hi_u32 s20, s11, s15
	s_add_co_u32 s5, s18, s5
	s_add_co_ci_u32 s16, s19, s2
	s_mul_i32 s14, s11, s15
	s_add_co_ci_u32 s15, s20, 0
	s_delay_alu instid0(SALU_CYCLE_1) | instskip(NEXT) | instid1(SALU_CYCLE_1)
	s_add_nc_u64 s[14:15], s[16:17], s[14:15]
	s_add_co_u32 s10, s10, s14
	s_cselect_b32 s2, -1, 0
	s_delay_alu instid0(SALU_CYCLE_1) | instskip(SKIP_1) | instid1(SALU_CYCLE_1)
	s_cmp_lg_u32 s2, 0
	s_add_co_ci_u32 s11, s11, s15
	s_mul_u64 s[12:13], s[12:13], s[10:11]
	s_delay_alu instid0(SALU_CYCLE_1)
	s_mul_hi_u32 s15, s10, s13
	s_mul_i32 s14, s10, s13
	s_mul_hi_u32 s16, s10, s12
	s_mul_i32 s5, s11, s12
	s_add_nc_u64 s[14:15], s[16:17], s[14:15]
	s_mul_hi_u32 s2, s11, s12
	s_mul_hi_u32 s18, s11, s13
	s_add_co_u32 s5, s14, s5
	s_add_co_ci_u32 s16, s15, s2
	s_mul_i32 s12, s11, s13
	s_add_co_ci_u32 s13, s18, 0
	s_delay_alu instid0(SALU_CYCLE_1) | instskip(NEXT) | instid1(SALU_CYCLE_1)
	s_add_nc_u64 s[12:13], s[16:17], s[12:13]
	s_add_co_u32 s2, s10, s12
	s_cselect_b32 s5, -1, 0
	v_nop
	v_mul_hi_u32 v14, v6, s2
	s_cmp_lg_u32 s5, 0
	s_add_co_ci_u32 s16, s11, s13
	s_mov_b64 s[10:11], 0xffffffff
	v_mul_u64_e32 v[10:11], s[16:17], v[6:7]
	s_and_b64 s[10:11], s[2:3], s[10:11]
	v_mul_u64_e32 v[12:13], s[16:17], v[8:9]
	v_mul_u64_e32 v[4:5], s[10:11], v[8:9]
	s_delay_alu instid0(VALU_DEP_3) | instskip(NEXT) | instid1(VALU_DEP_1)
	v_add_nc_u64_e32 v[10:11], v[14:15], v[10:11]
	v_add_co_u32 v3, vcc_lo, v10, v4
	s_delay_alu instid0(VALU_DEP_2) | instskip(SKIP_1) | instid1(VALU_DEP_1)
	v_add_co_ci_u32_e32 v14, vcc_lo, v11, v5, vcc_lo
	v_add_co_ci_u32_e32 v13, vcc_lo, 0, v13, vcc_lo
	v_add_nc_u64_e32 v[4:5], v[14:15], v[12:13]
	s_delay_alu instid0(VALU_DEP_1) | instskip(NEXT) | instid1(VALU_DEP_1)
	v_mul_u64_e32 v[10:11], s[8:9], v[4:5]
	v_sub_nc_u32_e32 v3, v8, v11
	s_delay_alu instid0(VALU_DEP_2) | instskip(NEXT) | instid1(VALU_DEP_1)
	v_sub_co_u32 v6, vcc_lo, v6, v10
	v_sub_co_ci_u32_e64 v10, null, v8, v11, vcc_lo
	s_delay_alu instid0(VALU_DEP_3) | instskip(NEXT) | instid1(VALU_DEP_3)
	v_subrev_co_ci_u32_e64 v3, null, s9, v3, vcc_lo
	v_sub_co_u32 v7, s2, v6, s8
	s_delay_alu instid0(VALU_DEP_1) | instskip(NEXT) | instid1(VALU_DEP_2)
	v_subrev_co_ci_u32_e64 v3, null, 0, v3, s2
	v_cmp_le_u32_e32 vcc_lo, s8, v7
	v_cndmask_b32_e64 v7, 0, -1, vcc_lo
	s_delay_alu instid0(VALU_DEP_3)
	v_cmp_le_u32_e32 vcc_lo, s9, v3
	v_cndmask_b32_e64 v8, 0, -1, vcc_lo
	v_cmp_le_u32_e32 vcc_lo, s8, v6
	v_cndmask_b32_e64 v11, 0, -1, vcc_lo
	;; [unrolled: 2-line block ×3, first 2 shown]
	v_cmp_eq_u32_e32 vcc_lo, s9, v3
	v_cndmask_b32_e32 v3, v8, v7, vcc_lo
	v_cmp_eq_u32_e32 vcc_lo, s9, v10
	v_add_nc_u64_e32 v[6:7], 2, v[4:5]
	v_add_nc_u64_e32 v[8:9], 1, v[4:5]
	v_cndmask_b32_e32 v10, v12, v11, vcc_lo
	v_cmp_ne_u32_e32 vcc_lo, 0, v3
	s_delay_alu instid0(VALU_DEP_2) | instskip(NEXT) | instid1(VALU_DEP_4)
	v_cmp_ne_u32_e64 s2, 0, v10
	v_dual_cndmask_b32 v3, v9, v7, vcc_lo :: v_dual_cndmask_b32 v7, v8, v6, vcc_lo
	s_delay_alu instid0(VALU_DEP_1) | instskip(NEXT) | instid1(VALU_DEP_1)
	v_dual_cndmask_b32 v4, v4, v7, s2 :: v_dual_bitop2_b32 v6, s4, v2 bitop3:0x14
	v_dual_cndmask_b32 v3, v5, v3, s2 :: v_dual_mov_b32 v7, v6
	s_delay_alu instid0(VALU_DEP_2) | instskip(NEXT) | instid1(VALU_DEP_2)
	v_xor_b32_e32 v4, v4, v6
	v_xor_b32_e32 v5, v3, v6
	s_delay_alu instid0(VALU_DEP_1)
	v_sub_nc_u64_e32 v[4:5], v[4:5], v[6:7]
.LBB59_3:
	s_and_not1_saveexec_b32 s2, s3
	s_cbranch_execz .LBB59_5
; %bb.4:
	v_cvt_f32_u32_e32 v3, s28
	s_sub_co_i32 s3, 0, s28
	s_delay_alu instid0(VALU_DEP_1) | instskip(SKIP_1) | instid1(TRANS32_DEP_1)
	v_rcp_iflag_f32_e32 v3, v3
	v_nop
	v_mul_f32_e32 v3, 0x4f7ffffe, v3
	s_delay_alu instid0(VALU_DEP_1) | instskip(NEXT) | instid1(VALU_DEP_1)
	v_cvt_u32_f32_e32 v3, v3
	v_mul_lo_u32 v4, s3, v3
	s_delay_alu instid0(VALU_DEP_1) | instskip(NEXT) | instid1(VALU_DEP_1)
	v_mul_hi_u32 v4, v3, v4
	v_add_nc_u32_e32 v3, v3, v4
	s_delay_alu instid0(VALU_DEP_1) | instskip(NEXT) | instid1(VALU_DEP_1)
	v_mul_hi_u32 v3, v0, v3
	v_mul_lo_u32 v4, v3, s28
	s_delay_alu instid0(VALU_DEP_1) | instskip(NEXT) | instid1(VALU_DEP_1)
	v_dual_add_nc_u32 v5, 1, v3 :: v_dual_sub_nc_u32 v4, v0, v4
	v_subrev_nc_u32_e32 v6, s28, v4
	v_cmp_le_u32_e32 vcc_lo, s28, v4
	s_delay_alu instid0(VALU_DEP_2) | instskip(NEXT) | instid1(VALU_DEP_1)
	v_dual_cndmask_b32 v4, v4, v6 :: v_dual_cndmask_b32 v3, v3, v5
	v_cmp_le_u32_e32 vcc_lo, s28, v4
	s_delay_alu instid0(VALU_DEP_2) | instskip(NEXT) | instid1(VALU_DEP_1)
	v_add_nc_u32_e32 v5, 1, v3
	v_dual_cndmask_b32 v4, v3, v5 :: v_dual_mov_b32 v5, 0
.LBB59_5:
	s_or_b32 exec_lo, exec_lo, s2
	s_delay_alu instid0(VALU_DEP_1) | instskip(SKIP_1) | instid1(VALU_DEP_1)
	v_dual_mov_b32 v8, 0 :: v_dual_bitop2_b32 v9, s7, v5 bitop3:0x54
                                        ; implicit-def: $vgpr6_vgpr7
	s_mov_b32 s2, exec_lo
	v_cmpx_ne_u64_e32 0, v[8:9]
	s_xor_b32 s3, exec_lo, s2
	s_cbranch_execz .LBB59_7
; %bb.6:
	s_ashr_i32 s4, s7, 31
	s_mov_b32 s15, 0
	s_mov_b32 s5, s4
	v_dual_mov_b32 v13, v8 :: v_dual_ashrrev_i32 v6, 31, v5
	s_add_nc_u64 s[8:9], s[6:7], s[4:5]
	v_mov_b32_e32 v15, v8
	s_xor_b64 s[4:5], s[8:9], s[4:5]
	s_delay_alu instid0(VALU_DEP_2)
	v_mov_b32_e32 v7, v6
	s_cvt_f32_u32 s2, s4
	s_cvt_f32_u32 s7, s5
	s_sub_nc_u64 s[10:11], 0, s[4:5]
	v_mov_b32_e32 v21, v8
	v_add_nc_u64_e32 v[10:11], v[4:5], v[6:7]
	s_fmamk_f32 s2, s7, 0x4f800000, s2
	v_mov_b32_e32 v9, v8
	s_delay_alu instid0(SALU_CYCLE_2) | instskip(NEXT) | instid1(VALU_DEP_2)
	v_s_rcp_f32 s2, s2
	v_xor_b32_e32 v12, v10, v6
	s_delay_alu instid0(VALU_DEP_3) | instskip(NEXT) | instid1(TRANS32_DEP_1)
	v_xor_b32_e32 v14, v11, v6
	s_mul_f32 s2, s2, 0x5f7ffffc
	s_delay_alu instid0(SALU_CYCLE_3) | instskip(NEXT) | instid1(SALU_CYCLE_3)
	s_mul_f32 s7, s2, 0x2f800000
	s_trunc_f32 s7, s7
	s_delay_alu instid0(SALU_CYCLE_3) | instskip(SKIP_1) | instid1(SALU_CYCLE_2)
	s_fmamk_f32 s2, s7, 0xcf800000, s2
	s_cvt_u32_f32 s9, s7
	s_cvt_u32_f32 s8, s2
	s_delay_alu instid0(SALU_CYCLE_3) | instskip(NEXT) | instid1(SALU_CYCLE_1)
	s_mul_u64 s[12:13], s[10:11], s[8:9]
	s_mul_hi_u32 s17, s8, s13
	s_mul_i32 s16, s8, s13
	s_mul_hi_u32 s14, s8, s12
	s_mul_i32 s7, s9, s12
	s_add_nc_u64 s[16:17], s[14:15], s[16:17]
	s_mul_hi_u32 s2, s9, s12
	s_mul_hi_u32 s18, s9, s13
	s_add_co_u32 s7, s16, s7
	s_add_co_ci_u32 s14, s17, s2
	s_mul_i32 s12, s9, s13
	s_add_co_ci_u32 s13, s18, 0
	s_delay_alu instid0(SALU_CYCLE_1) | instskip(NEXT) | instid1(SALU_CYCLE_1)
	s_add_nc_u64 s[12:13], s[14:15], s[12:13]
	s_add_co_u32 s8, s8, s12
	s_cselect_b32 s2, -1, 0
	s_delay_alu instid0(SALU_CYCLE_1) | instskip(SKIP_1) | instid1(SALU_CYCLE_1)
	s_cmp_lg_u32 s2, 0
	s_add_co_ci_u32 s9, s9, s13
	s_mul_u64 s[10:11], s[10:11], s[8:9]
	s_delay_alu instid0(SALU_CYCLE_1)
	s_mul_hi_u32 s13, s8, s11
	s_mul_i32 s12, s8, s11
	s_mul_hi_u32 s14, s8, s10
	s_mul_i32 s7, s9, s10
	s_add_nc_u64 s[12:13], s[14:15], s[12:13]
	s_mul_hi_u32 s2, s9, s10
	s_mul_hi_u32 s16, s9, s11
	s_add_co_u32 s7, s12, s7
	s_add_co_ci_u32 s14, s13, s2
	s_mul_i32 s10, s9, s11
	s_add_co_ci_u32 s11, s16, 0
	s_delay_alu instid0(SALU_CYCLE_1) | instskip(NEXT) | instid1(SALU_CYCLE_1)
	s_add_nc_u64 s[10:11], s[14:15], s[10:11]
	s_add_co_u32 s2, s8, s10
	s_cselect_b32 s7, -1, 0
	v_mul_hi_u32 v20, v12, s2
	s_cmp_lg_u32 s7, 0
	s_add_co_ci_u32 s14, s9, s11
	s_mov_b64 s[8:9], 0xffffffff
	v_mul_u64_e32 v[16:17], s[14:15], v[12:13]
	s_and_b64 s[8:9], s[2:3], s[8:9]
	v_mul_u64_e32 v[18:19], s[14:15], v[14:15]
	v_mul_u64_e32 v[10:11], s[8:9], v[14:15]
	s_delay_alu instid0(VALU_DEP_3) | instskip(NEXT) | instid1(VALU_DEP_1)
	v_add_nc_u64_e32 v[16:17], v[20:21], v[16:17]
	v_add_co_u32 v3, vcc_lo, v16, v10
	s_delay_alu instid0(VALU_DEP_2) | instskip(SKIP_1) | instid1(VALU_DEP_1)
	v_add_co_ci_u32_e32 v8, vcc_lo, v17, v11, vcc_lo
	v_add_co_ci_u32_e32 v19, vcc_lo, 0, v19, vcc_lo
	v_add_nc_u64_e32 v[8:9], v[8:9], v[18:19]
	s_delay_alu instid0(VALU_DEP_1) | instskip(NEXT) | instid1(VALU_DEP_1)
	v_mul_u64_e32 v[8:9], s[4:5], v[8:9]
	v_sub_co_u32 v8, vcc_lo, v12, v8
	s_delay_alu instid0(VALU_DEP_1) | instskip(NEXT) | instid1(VALU_DEP_1)
	v_cmp_le_u32_e64 s2, s4, v8
	v_cndmask_b32_e64 v12, 0, -1, s2
	s_delay_alu instid0(VALU_DEP_4) | instskip(SKIP_1) | instid1(VALU_DEP_2)
	v_sub_nc_u32_e32 v3, v14, v9
	v_sub_co_ci_u32_e64 v9, null, v14, v9, vcc_lo
	v_subrev_co_ci_u32_e64 v3, null, s5, v3, vcc_lo
	v_sub_co_u32 v10, vcc_lo, v8, s4
	s_delay_alu instid0(VALU_DEP_1) | instskip(NEXT) | instid1(VALU_DEP_2)
	v_subrev_co_ci_u32_e64 v11, null, 0, v3, vcc_lo
	v_cmp_le_u32_e64 s2, s4, v10
	v_subrev_co_ci_u32_e64 v3, null, s5, v3, vcc_lo
	v_cmp_le_u32_e32 vcc_lo, s5, v9
	s_delay_alu instid0(VALU_DEP_3) | instskip(SKIP_3) | instid1(VALU_DEP_3)
	v_cndmask_b32_e64 v13, 0, -1, s2
	v_cmp_le_u32_e64 s2, s5, v11
	v_cndmask_b32_e64 v15, 0, -1, vcc_lo
	v_cmp_eq_u32_e32 vcc_lo, s5, v11
	v_cndmask_b32_e64 v14, 0, -1, s2
	v_cmp_eq_u32_e64 s2, s5, v9
	s_delay_alu instid0(VALU_DEP_2) | instskip(SKIP_1) | instid1(VALU_DEP_1)
	v_cndmask_b32_e32 v13, v14, v13, vcc_lo
	v_sub_co_u32 v14, vcc_lo, v10, s4
	v_subrev_co_ci_u32_e64 v3, null, 0, v3, vcc_lo
	s_delay_alu instid0(VALU_DEP_3) | instskip(SKIP_1) | instid1(VALU_DEP_3)
	v_cmp_ne_u32_e32 vcc_lo, 0, v13
	v_cndmask_b32_e64 v12, v15, v12, s2
	v_dual_cndmask_b32 v3, v11, v3 :: v_dual_cndmask_b32 v10, v10, v14
	s_delay_alu instid0(VALU_DEP_2) | instskip(NEXT) | instid1(VALU_DEP_2)
	v_cmp_ne_u32_e32 vcc_lo, 0, v12
	v_dual_cndmask_b32 v3, v9, v3 :: v_dual_cndmask_b32 v8, v8, v10
	s_delay_alu instid0(VALU_DEP_1) | instskip(NEXT) | instid1(VALU_DEP_2)
	v_xor_b32_e32 v9, v3, v6
	v_xor_b32_e32 v8, v8, v6
	s_delay_alu instid0(VALU_DEP_1)
	v_sub_nc_u64_e32 v[6:7], v[8:9], v[6:7]
.LBB59_7:
	s_or_saveexec_b32 s2, s3
	s_clause 0x1
	s_load_b64 s[34:35], s[0:1], 0xa8
	s_load_b256 s[20:27], s[0:1], 0x88
	s_xor_b32 exec_lo, exec_lo, s2
	s_cbranch_execz .LBB59_9
; %bb.8:
	v_cvt_f32_u32_e32 v3, s6
	s_sub_co_i32 s3, 0, s6
	v_mov_b32_e32 v7, 0
	s_delay_alu instid0(VALU_DEP_2) | instskip(SKIP_1) | instid1(TRANS32_DEP_1)
	v_rcp_iflag_f32_e32 v3, v3
	v_nop
	v_mul_f32_e32 v3, 0x4f7ffffe, v3
	s_delay_alu instid0(VALU_DEP_1) | instskip(NEXT) | instid1(VALU_DEP_1)
	v_cvt_u32_f32_e32 v3, v3
	v_mul_lo_u32 v6, s3, v3
	s_delay_alu instid0(VALU_DEP_1) | instskip(NEXT) | instid1(VALU_DEP_1)
	v_mul_hi_u32 v6, v3, v6
	v_add_nc_u32_e32 v3, v3, v6
	s_delay_alu instid0(VALU_DEP_1) | instskip(NEXT) | instid1(VALU_DEP_1)
	v_mul_hi_u32 v3, v4, v3
	v_mul_lo_u32 v3, v3, s6
	s_delay_alu instid0(VALU_DEP_1) | instskip(NEXT) | instid1(VALU_DEP_1)
	v_sub_nc_u32_e32 v3, v4, v3
	v_subrev_nc_u32_e32 v6, s6, v3
	v_cmp_le_u32_e32 vcc_lo, s6, v3
	s_delay_alu instid0(VALU_DEP_2) | instskip(NEXT) | instid1(VALU_DEP_1)
	v_cndmask_b32_e32 v3, v3, v6, vcc_lo
	v_subrev_nc_u32_e32 v6, s6, v3
	v_cmp_le_u32_e32 vcc_lo, s6, v3
	s_delay_alu instid0(VALU_DEP_2)
	v_cndmask_b32_e32 v6, v3, v6, vcc_lo
.LBB59_9:
	s_or_b32 exec_lo, exec_lo, s2
	v_dual_mov_b32 v10, 0 :: v_dual_bitop2_b32 v11, s31, v1 bitop3:0x54
                                        ; implicit-def: $vgpr8_vgpr9
	s_mov_b32 s2, exec_lo
	s_delay_alu instid0(VALU_DEP_1)
	v_cmpx_ne_u64_e32 0, v[10:11]
	s_xor_b32 s3, exec_lo, s2
	s_cbranch_execz .LBB59_11
; %bb.10:
	s_ashr_i32 s4, s31, 31
	s_mov_b32 s15, 0
	s_mov_b32 s5, s4
	v_dual_mov_b32 v3, v2 :: v_dual_mov_b32 v13, v10
	s_add_nc_u64 s[6:7], s[30:31], s[4:5]
	v_mov_b32_e32 v11, v10
	s_xor_b64 s[6:7], s[6:7], s[4:5]
	s_delay_alu instid0(VALU_DEP_2) | instskip(SKIP_4) | instid1(SALU_CYCLE_1)
	v_add_nc_u64_e32 v[8:9], v[0:1], v[2:3]
	s_cvt_f32_u32 s2, s6
	s_cvt_f32_u32 s5, s7
	s_sub_nc_u64 s[10:11], 0, s[6:7]
	v_dual_mov_b32 v15, v10 :: v_dual_mov_b32 v21, v10
	s_fmamk_f32 s2, s5, 0x4f800000, s2
	s_delay_alu instid0(VALU_DEP_2) | instskip(SKIP_3) | instid1(TRANS32_DEP_1)
	v_xor_b32_e32 v12, v8, v2
	v_xor_b32_e32 v14, v9, v2
	;; [unrolled: 1-line block ×3, first 2 shown]
	v_s_rcp_f32 s2, s2
	s_mul_f32 s2, s2, 0x5f7ffffc
	s_delay_alu instid0(SALU_CYCLE_3) | instskip(NEXT) | instid1(SALU_CYCLE_3)
	s_mul_f32 s5, s2, 0x2f800000
	s_trunc_f32 s5, s5
	s_delay_alu instid0(SALU_CYCLE_3) | instskip(SKIP_1) | instid1(SALU_CYCLE_2)
	s_fmamk_f32 s2, s5, 0xcf800000, s2
	s_cvt_u32_f32 s9, s5
	s_cvt_u32_f32 s8, s2
	s_delay_alu instid0(SALU_CYCLE_3) | instskip(NEXT) | instid1(SALU_CYCLE_1)
	s_mul_u64 s[12:13], s[10:11], s[8:9]
	s_mul_hi_u32 s17, s8, s13
	s_mul_i32 s16, s8, s13
	s_mul_hi_u32 s14, s8, s12
	s_mul_i32 s5, s9, s12
	s_add_nc_u64 s[16:17], s[14:15], s[16:17]
	s_mul_hi_u32 s2, s9, s12
	s_mul_hi_u32 s18, s9, s13
	s_add_co_u32 s5, s16, s5
	s_add_co_ci_u32 s14, s17, s2
	s_mul_i32 s12, s9, s13
	s_add_co_ci_u32 s13, s18, 0
	s_delay_alu instid0(SALU_CYCLE_1) | instskip(NEXT) | instid1(SALU_CYCLE_1)
	s_add_nc_u64 s[12:13], s[14:15], s[12:13]
	s_add_co_u32 s8, s8, s12
	s_cselect_b32 s2, -1, 0
	s_delay_alu instid0(SALU_CYCLE_1) | instskip(SKIP_1) | instid1(SALU_CYCLE_1)
	s_cmp_lg_u32 s2, 0
	s_add_co_ci_u32 s9, s9, s13
	s_mul_u64 s[10:11], s[10:11], s[8:9]
	s_delay_alu instid0(SALU_CYCLE_1)
	s_mul_hi_u32 s13, s8, s11
	s_mul_i32 s12, s8, s11
	s_mul_hi_u32 s14, s8, s10
	s_mul_i32 s5, s9, s10
	s_add_nc_u64 s[12:13], s[14:15], s[12:13]
	s_mul_hi_u32 s2, s9, s10
	s_mul_hi_u32 s16, s9, s11
	s_add_co_u32 s5, s12, s5
	s_add_co_ci_u32 s14, s13, s2
	s_mul_i32 s10, s9, s11
	s_add_co_ci_u32 s11, s16, 0
	s_delay_alu instid0(SALU_CYCLE_1) | instskip(NEXT) | instid1(SALU_CYCLE_1)
	s_add_nc_u64 s[10:11], s[14:15], s[10:11]
	s_add_co_u32 s2, s8, s10
	s_cselect_b32 s5, -1, 0
	v_nop
	v_mul_hi_u32 v20, v12, s2
	s_cmp_lg_u32 s5, 0
	s_add_co_ci_u32 s14, s9, s11
	s_mov_b64 s[8:9], 0xffffffff
	v_mul_u64_e32 v[16:17], s[14:15], v[12:13]
	s_and_b64 s[8:9], s[2:3], s[8:9]
	v_mul_u64_e32 v[18:19], s[14:15], v[14:15]
	v_mul_u64_e32 v[8:9], s[8:9], v[14:15]
	s_delay_alu instid0(VALU_DEP_3) | instskip(NEXT) | instid1(VALU_DEP_1)
	v_add_nc_u64_e32 v[16:17], v[20:21], v[16:17]
	v_add_co_u32 v3, vcc_lo, v16, v8
	s_delay_alu instid0(VALU_DEP_2) | instskip(SKIP_1) | instid1(VALU_DEP_1)
	v_add_co_ci_u32_e32 v10, vcc_lo, v17, v9, vcc_lo
	v_add_co_ci_u32_e32 v19, vcc_lo, 0, v19, vcc_lo
	v_add_nc_u64_e32 v[8:9], v[10:11], v[18:19]
	s_delay_alu instid0(VALU_DEP_1) | instskip(NEXT) | instid1(VALU_DEP_1)
	v_mul_u64_e32 v[10:11], s[6:7], v[8:9]
	v_sub_nc_u32_e32 v3, v14, v11
	s_delay_alu instid0(VALU_DEP_2) | instskip(NEXT) | instid1(VALU_DEP_1)
	v_sub_co_u32 v10, vcc_lo, v12, v10
	v_sub_co_ci_u32_e64 v14, null, v14, v11, vcc_lo
	s_delay_alu instid0(VALU_DEP_3) | instskip(NEXT) | instid1(VALU_DEP_3)
	v_subrev_co_ci_u32_e64 v3, null, s7, v3, vcc_lo
	v_sub_co_u32 v12, s2, v10, s6
	s_delay_alu instid0(VALU_DEP_1) | instskip(NEXT) | instid1(VALU_DEP_2)
	v_subrev_co_ci_u32_e64 v3, null, 0, v3, s2
	v_cmp_le_u32_e32 vcc_lo, s6, v12
	v_cndmask_b32_e64 v11, 0, -1, vcc_lo
	s_delay_alu instid0(VALU_DEP_3)
	v_cmp_le_u32_e32 vcc_lo, s7, v3
	v_cndmask_b32_e64 v12, 0, -1, vcc_lo
	v_cmp_le_u32_e32 vcc_lo, s6, v10
	v_cndmask_b32_e64 v15, 0, -1, vcc_lo
	;; [unrolled: 2-line block ×3, first 2 shown]
	v_cmp_eq_u32_e32 vcc_lo, s7, v3
	v_cndmask_b32_e32 v3, v12, v11, vcc_lo
	v_cmp_eq_u32_e32 vcc_lo, s7, v14
	v_add_nc_u64_e32 v[10:11], 2, v[8:9]
	v_add_nc_u64_e32 v[12:13], 1, v[8:9]
	v_cndmask_b32_e32 v14, v16, v15, vcc_lo
	v_cmp_ne_u32_e32 vcc_lo, 0, v3
	s_delay_alu instid0(VALU_DEP_2) | instskip(NEXT) | instid1(VALU_DEP_4)
	v_cmp_ne_u32_e64 s2, 0, v14
	v_dual_cndmask_b32 v10, v12, v10 :: v_dual_cndmask_b32 v3, v13, v11
	s_delay_alu instid0(VALU_DEP_1) | instskip(NEXT) | instid1(VALU_DEP_1)
	v_dual_cndmask_b32 v8, v8, v10, s2 :: v_dual_cndmask_b32 v9, v9, v3, s2
	v_dual_mov_b32 v3, v2 :: v_dual_bitop2_b32 v8, v8, v2 bitop3:0x14
	s_delay_alu instid0(VALU_DEP_2) | instskip(NEXT) | instid1(VALU_DEP_1)
	v_xor_b32_e32 v9, v9, v2
	v_sub_nc_u64_e32 v[8:9], v[8:9], v[2:3]
.LBB59_11:
	s_or_saveexec_b32 s31, s3
	s_clause 0x2
	s_load_b64 s[2:3], s[0:1], 0x58
	s_load_b64 s[44:45], s[0:1], 0x0
	s_load_b512 s[4:19], s[0:1], 0x18
	s_xor_b32 exec_lo, exec_lo, s31
	s_cbranch_execz .LBB59_13
; %bb.12:
	v_cvt_f32_u32_e32 v2, s30
	s_sub_co_i32 s36, 0, s30
	s_delay_alu instid0(VALU_DEP_1) | instskip(SKIP_1) | instid1(TRANS32_DEP_1)
	v_rcp_iflag_f32_e32 v2, v2
	v_nop
	v_mul_f32_e32 v2, 0x4f7ffffe, v2
	s_delay_alu instid0(VALU_DEP_1) | instskip(NEXT) | instid1(VALU_DEP_1)
	v_cvt_u32_f32_e32 v2, v2
	v_mul_lo_u32 v3, s36, v2
	s_delay_alu instid0(VALU_DEP_1) | instskip(NEXT) | instid1(VALU_DEP_1)
	v_mul_hi_u32 v3, v2, v3
	v_add_nc_u32_e32 v2, v2, v3
	s_delay_alu instid0(VALU_DEP_1) | instskip(NEXT) | instid1(VALU_DEP_1)
	v_mul_hi_u32 v2, v0, v2
	v_mul_lo_u32 v3, v2, s30
	s_delay_alu instid0(VALU_DEP_1) | instskip(NEXT) | instid1(VALU_DEP_1)
	v_dual_add_nc_u32 v8, 1, v2 :: v_dual_sub_nc_u32 v3, v0, v3
	v_subrev_nc_u32_e32 v9, s30, v3
	v_cmp_le_u32_e32 vcc_lo, s30, v3
	s_delay_alu instid0(VALU_DEP_2) | instskip(NEXT) | instid1(VALU_DEP_4)
	v_dual_cndmask_b32 v3, v3, v9, vcc_lo :: v_dual_mov_b32 v9, 0
	v_cndmask_b32_e32 v2, v2, v8, vcc_lo
	s_delay_alu instid0(VALU_DEP_2) | instskip(NEXT) | instid1(VALU_DEP_2)
	v_cmp_le_u32_e32 vcc_lo, s30, v3
	v_add_nc_u32_e32 v8, 1, v2
	s_delay_alu instid0(VALU_DEP_1)
	v_cndmask_b32_e32 v8, v2, v8, vcc_lo
.LBB59_13:
	s_or_b32 exec_lo, exec_lo, s31
	v_mul_u64_e32 v[2:3], s[28:29], v[4:5]
	s_load_b256 s[36:43], s[0:1], 0xb0
	s_wait_kmcnt 0x0
	v_max_i64 v[10:11], s[40:41], 0
	s_add_nc_u64 s[50:51], s[40:41], s[4:5]
	v_max_i64 v[14:15], s[38:39], 0
	v_sub_nc_u64_e64 v[16:17], v[8:9], s[50:51]
	s_add_nc_u64 s[48:49], s[38:39], s[6:7]
	s_sub_nc_u64 s[46:47], 0, s[40:41]
	v_sub_nc_u64_e64 v[12:13], v[6:7], s[48:49]
	v_max_i64 v[4:5], s[36:37], 0
	s_add_nc_u64 s[48:49], s[36:37], s[8:9]
	s_sub_nc_u64 s[30:31], 0, s[38:39]
	v_add_nc_u64_e32 v[22:23], 1, v[16:17]
	v_sub_nc_u64_e32 v[0:1], v[0:1], v[2:3]
	v_max_i64 v[2:3], s[46:47], 0
	v_not_b32_e32 v17, v17
	v_not_b32_e32 v16, v16
	v_add_nc_u64_e32 v[20:21], 1, v[12:13]
	v_not_b32_e32 v13, v13
	v_not_b32_e32 v12, v12
	v_sub_nc_u64_e64 v[24:25], v[0:1], s[48:49]
	v_max_i64 v[28:29], s[30:31], 0
	v_sub_nc_u64_e64 v[26:27], v[8:9], s[40:41]
	v_max_i64 v[16:17], v[22:23], v[16:17]
	s_sub_nc_u64 s[28:29], 0, s[36:37]
	v_max_i64 v[12:13], v[20:21], v[12:13]
	v_max_i64 v[22:23], s[28:29], 0
	v_add_nc_u64_e32 v[20:21], 1, v[24:25]
	v_sub_nc_u64_e64 v[18:19], v[6:7], s[38:39]
	v_not_b32_e32 v25, v25
	v_not_b32_e32 v24, v24
	v_sub_nc_u64_e32 v[30:31], 0, v[26:27]
	v_sub_nc_u64_e64 v[32:33], v[0:1], s[36:37]
	s_lshl_b64 s[30:31], s[40:41], 1
	v_not_b32_e32 v10, v10
	v_max_i64 v[20:21], v[20:21], v[24:25]
	v_sub_nc_u64_e32 v[24:25], 0, v[18:19]
	v_not_b32_e32 v11, v11
	v_max_i64 v[26:27], v[26:27], v[30:31]
	v_sub_nc_u64_e32 v[30:31], 0, v[32:33]
	v_not_b32_e32 v14, v14
	v_not_b32_e32 v15, v15
	v_add_nc_u64_e32 v[10:11], s[30:31], v[10:11]
	v_max_i64 v[18:19], v[18:19], v[24:25]
	s_lshl_b64 s[28:29], s[38:39], 1
	v_not_b32_e32 v4, v4
	v_not_b32_e32 v5, v5
	v_add_nc_u64_e32 v[14:15], s[28:29], v[14:15]
	v_max_i64 v[24:25], v[32:33], v[30:31]
	v_add_nc_u64_e32 v[2:3], v[10:11], v[2:3]
	s_lshl_b64 s[28:29], s[36:37], 1
	s_load_b64 s[0:1], s[0:1], 0xd0
	v_add_nc_u64_e32 v[4:5], s[28:29], v[4:5]
	s_delay_alu instid0(VALU_DEP_4) | instskip(SKIP_1) | instid1(VALU_DEP_4)
	v_add_nc_u64_e32 v[10:11], v[14:15], v[28:29]
	v_add_nc_u64_e32 v[14:15], v[8:9], v[16:17]
	;; [unrolled: 1-line block ×4, first 2 shown]
	s_bfe_u32 s4, ttmp6, 0x40014
	v_add_nc_u64_e32 v[4:5], v[4:5], v[22:23]
	s_bfe_u32 s5, ttmp6, 0x40010
	v_add_nc_u64_e32 v[10:11], s[6:7], v[10:11]
	s_lshr_b32 s6, ttmp7, 16
	v_sub_nc_u64_e32 v[2:3], v[2:3], v[14:15]
	s_add_co_i32 s4, s4, 1
	s_add_co_i32 s5, s5, 1
	v_add_nc_u64_e32 v[4:5], s[8:9], v[4:5]
	v_add_nc_u64_e32 v[14:15], v[0:1], v[20:21]
	v_sub_nc_u64_e32 v[10:11], v[10:11], v[12:13]
	s_and_b32 s8, ttmp7, 0xffff
	v_add_nc_u64_e32 v[2:3], v[2:3], v[26:27]
	s_mul_i32 s4, s6, s4
	s_bfe_u32 s7, ttmp6, 0x40008
	s_mul_i32 s5, s8, s5
	v_sub_nc_u64_e32 v[4:5], v[4:5], v[14:15]
	v_add_nc_u64_e32 v[10:11], v[10:11], v[18:19]
	s_bfe_u32 s9, ttmp6, 0x40004
	v_mul_u64_e32 v[2:3], s[14:15], v[2:3]
	s_add_co_i32 s7, s7, s4
	s_add_co_i32 s9, s9, s5
	s_cmp_eq_u32 s33, 0
	v_add_nc_u64_e32 v[4:5], v[4:5], v[24:25]
	v_mul_u64_e32 v[10:11], s[16:17], v[10:11]
	s_mov_b32 s5, 0
	s_cselect_b32 s6, s6, s7
	s_mov_b32 s7, s5
	s_cselect_b32 s4, s8, s9
	s_wait_kmcnt 0x0
	s_add_nc_u64 s[0:1], s[0:1], s[6:7]
	v_mul_u64_e32 v[4:5], s[18:19], v[4:5]
	s_mul_u64 s[6:7], s[10:11], s[0:1]
	s_add_nc_u64 s[4:5], s[42:43], s[4:5]
	s_lshl_b64 s[6:7], s[6:7], 2
	s_mul_u64 s[8:9], s[12:13], s[4:5]
	s_add_nc_u64 s[6:7], s[44:45], s[6:7]
	s_lshl_b64 s[8:9], s[8:9], 2
	v_mul_u64_e32 v[0:1], s[34:35], v[0:1]
	s_add_nc_u64 s[6:7], s[6:7], s[8:9]
	s_mul_u64 s[0:1], s[20:21], s[0:1]
	s_mul_u64 s[4:5], s[22:23], s[4:5]
	s_lshl_b64 s[0:1], s[0:1], 2
	s_delay_alu instid0(SALU_CYCLE_1) | instskip(SKIP_1) | instid1(SALU_CYCLE_1)
	s_add_nc_u64 s[0:1], s[2:3], s[0:1]
	s_lshl_b64 s[2:3], s[4:5], 2
	s_add_nc_u64 s[0:1], s[0:1], s[2:3]
	v_lshl_add_u64 v[2:3], v[2:3], 2, s[6:7]
	s_delay_alu instid0(VALU_DEP_1) | instskip(NEXT) | instid1(VALU_DEP_1)
	v_lshl_add_u64 v[2:3], v[10:11], 2, v[2:3]
	v_lshl_add_u64 v[2:3], v[4:5], 2, v[2:3]
	v_mul_u64_e32 v[4:5], s[26:27], v[6:7]
	global_load_b32 v10, v[2:3], off
	s_wait_xcnt 0x0
	v_mul_u64_e32 v[2:3], s[24:25], v[8:9]
	s_delay_alu instid0(VALU_DEP_1) | instskip(NEXT) | instid1(VALU_DEP_1)
	v_lshl_add_u64 v[2:3], v[2:3], 2, s[0:1]
	v_lshl_add_u64 v[2:3], v[4:5], 2, v[2:3]
	s_delay_alu instid0(VALU_DEP_1)
	v_lshl_add_u64 v[0:1], v[0:1], 2, v[2:3]
	s_wait_loadcnt 0x0
	global_store_b32 v[0:1], v10, off
.LBB59_14:
	s_endpgm
	.section	.rodata,"a",@progbits
	.p2align	6, 0x0
	.amdhsa_kernel _ZN2at6native12_GLOBAL__N_127reflection_pad3d_out_kernelIiEEvN5torch10headeronly6detail27GenericPackedTensorAccessorINS5_14TensorAccessorIN3c108ArrayRefIlEEKT_Lm4ENS4_16DefaultPtrTraitsElEENS_6detail16IndexBoundsCheckILm5ElEESC_Lm5ESD_lEENS6_INS7_ISA_SB_Lm4ESD_lEESH_SB_Lm5ESD_lEElllll
		.amdhsa_group_segment_fixed_size 0
		.amdhsa_private_segment_fixed_size 0
		.amdhsa_kernarg_size 472
		.amdhsa_user_sgpr_count 2
		.amdhsa_user_sgpr_dispatch_ptr 0
		.amdhsa_user_sgpr_queue_ptr 0
		.amdhsa_user_sgpr_kernarg_segment_ptr 1
		.amdhsa_user_sgpr_dispatch_id 0
		.amdhsa_user_sgpr_kernarg_preload_length 0
		.amdhsa_user_sgpr_kernarg_preload_offset 0
		.amdhsa_user_sgpr_private_segment_size 0
		.amdhsa_wavefront_size32 1
		.amdhsa_uses_dynamic_stack 0
		.amdhsa_enable_private_segment 0
		.amdhsa_system_sgpr_workgroup_id_x 1
		.amdhsa_system_sgpr_workgroup_id_y 1
		.amdhsa_system_sgpr_workgroup_id_z 1
		.amdhsa_system_sgpr_workgroup_info 0
		.amdhsa_system_vgpr_workitem_id 0
		.amdhsa_next_free_vgpr 34
		.amdhsa_next_free_sgpr 52
		.amdhsa_named_barrier_count 0
		.amdhsa_reserve_vcc 1
		.amdhsa_float_round_mode_32 0
		.amdhsa_float_round_mode_16_64 0
		.amdhsa_float_denorm_mode_32 3
		.amdhsa_float_denorm_mode_16_64 3
		.amdhsa_fp16_overflow 0
		.amdhsa_memory_ordered 1
		.amdhsa_forward_progress 1
		.amdhsa_inst_pref_size 25
		.amdhsa_round_robin_scheduling 0
		.amdhsa_exception_fp_ieee_invalid_op 0
		.amdhsa_exception_fp_denorm_src 0
		.amdhsa_exception_fp_ieee_div_zero 0
		.amdhsa_exception_fp_ieee_overflow 0
		.amdhsa_exception_fp_ieee_underflow 0
		.amdhsa_exception_fp_ieee_inexact 0
		.amdhsa_exception_int_div_zero 0
	.end_amdhsa_kernel
	.section	.text._ZN2at6native12_GLOBAL__N_127reflection_pad3d_out_kernelIiEEvN5torch10headeronly6detail27GenericPackedTensorAccessorINS5_14TensorAccessorIN3c108ArrayRefIlEEKT_Lm4ENS4_16DefaultPtrTraitsElEENS_6detail16IndexBoundsCheckILm5ElEESC_Lm5ESD_lEENS6_INS7_ISA_SB_Lm4ESD_lEESH_SB_Lm5ESD_lEElllll,"axG",@progbits,_ZN2at6native12_GLOBAL__N_127reflection_pad3d_out_kernelIiEEvN5torch10headeronly6detail27GenericPackedTensorAccessorINS5_14TensorAccessorIN3c108ArrayRefIlEEKT_Lm4ENS4_16DefaultPtrTraitsElEENS_6detail16IndexBoundsCheckILm5ElEESC_Lm5ESD_lEENS6_INS7_ISA_SB_Lm4ESD_lEESH_SB_Lm5ESD_lEElllll,comdat
.Lfunc_end59:
	.size	_ZN2at6native12_GLOBAL__N_127reflection_pad3d_out_kernelIiEEvN5torch10headeronly6detail27GenericPackedTensorAccessorINS5_14TensorAccessorIN3c108ArrayRefIlEEKT_Lm4ENS4_16DefaultPtrTraitsElEENS_6detail16IndexBoundsCheckILm5ElEESC_Lm5ESD_lEENS6_INS7_ISA_SB_Lm4ESD_lEESH_SB_Lm5ESD_lEElllll, .Lfunc_end59-_ZN2at6native12_GLOBAL__N_127reflection_pad3d_out_kernelIiEEvN5torch10headeronly6detail27GenericPackedTensorAccessorINS5_14TensorAccessorIN3c108ArrayRefIlEEKT_Lm4ENS4_16DefaultPtrTraitsElEENS_6detail16IndexBoundsCheckILm5ElEESC_Lm5ESD_lEENS6_INS7_ISA_SB_Lm4ESD_lEESH_SB_Lm5ESD_lEElllll
                                        ; -- End function
	.set _ZN2at6native12_GLOBAL__N_127reflection_pad3d_out_kernelIiEEvN5torch10headeronly6detail27GenericPackedTensorAccessorINS5_14TensorAccessorIN3c108ArrayRefIlEEKT_Lm4ENS4_16DefaultPtrTraitsElEENS_6detail16IndexBoundsCheckILm5ElEESC_Lm5ESD_lEENS6_INS7_ISA_SB_Lm4ESD_lEESH_SB_Lm5ESD_lEElllll.num_vgpr, 34
	.set _ZN2at6native12_GLOBAL__N_127reflection_pad3d_out_kernelIiEEvN5torch10headeronly6detail27GenericPackedTensorAccessorINS5_14TensorAccessorIN3c108ArrayRefIlEEKT_Lm4ENS4_16DefaultPtrTraitsElEENS_6detail16IndexBoundsCheckILm5ElEESC_Lm5ESD_lEENS6_INS7_ISA_SB_Lm4ESD_lEESH_SB_Lm5ESD_lEElllll.num_agpr, 0
	.set _ZN2at6native12_GLOBAL__N_127reflection_pad3d_out_kernelIiEEvN5torch10headeronly6detail27GenericPackedTensorAccessorINS5_14TensorAccessorIN3c108ArrayRefIlEEKT_Lm4ENS4_16DefaultPtrTraitsElEENS_6detail16IndexBoundsCheckILm5ElEESC_Lm5ESD_lEENS6_INS7_ISA_SB_Lm4ESD_lEESH_SB_Lm5ESD_lEElllll.numbered_sgpr, 52
	.set _ZN2at6native12_GLOBAL__N_127reflection_pad3d_out_kernelIiEEvN5torch10headeronly6detail27GenericPackedTensorAccessorINS5_14TensorAccessorIN3c108ArrayRefIlEEKT_Lm4ENS4_16DefaultPtrTraitsElEENS_6detail16IndexBoundsCheckILm5ElEESC_Lm5ESD_lEENS6_INS7_ISA_SB_Lm4ESD_lEESH_SB_Lm5ESD_lEElllll.num_named_barrier, 0
	.set _ZN2at6native12_GLOBAL__N_127reflection_pad3d_out_kernelIiEEvN5torch10headeronly6detail27GenericPackedTensorAccessorINS5_14TensorAccessorIN3c108ArrayRefIlEEKT_Lm4ENS4_16DefaultPtrTraitsElEENS_6detail16IndexBoundsCheckILm5ElEESC_Lm5ESD_lEENS6_INS7_ISA_SB_Lm4ESD_lEESH_SB_Lm5ESD_lEElllll.private_seg_size, 0
	.set _ZN2at6native12_GLOBAL__N_127reflection_pad3d_out_kernelIiEEvN5torch10headeronly6detail27GenericPackedTensorAccessorINS5_14TensorAccessorIN3c108ArrayRefIlEEKT_Lm4ENS4_16DefaultPtrTraitsElEENS_6detail16IndexBoundsCheckILm5ElEESC_Lm5ESD_lEENS6_INS7_ISA_SB_Lm4ESD_lEESH_SB_Lm5ESD_lEElllll.uses_vcc, 1
	.set _ZN2at6native12_GLOBAL__N_127reflection_pad3d_out_kernelIiEEvN5torch10headeronly6detail27GenericPackedTensorAccessorINS5_14TensorAccessorIN3c108ArrayRefIlEEKT_Lm4ENS4_16DefaultPtrTraitsElEENS_6detail16IndexBoundsCheckILm5ElEESC_Lm5ESD_lEENS6_INS7_ISA_SB_Lm4ESD_lEESH_SB_Lm5ESD_lEElllll.uses_flat_scratch, 0
	.set _ZN2at6native12_GLOBAL__N_127reflection_pad3d_out_kernelIiEEvN5torch10headeronly6detail27GenericPackedTensorAccessorINS5_14TensorAccessorIN3c108ArrayRefIlEEKT_Lm4ENS4_16DefaultPtrTraitsElEENS_6detail16IndexBoundsCheckILm5ElEESC_Lm5ESD_lEENS6_INS7_ISA_SB_Lm4ESD_lEESH_SB_Lm5ESD_lEElllll.has_dyn_sized_stack, 0
	.set _ZN2at6native12_GLOBAL__N_127reflection_pad3d_out_kernelIiEEvN5torch10headeronly6detail27GenericPackedTensorAccessorINS5_14TensorAccessorIN3c108ArrayRefIlEEKT_Lm4ENS4_16DefaultPtrTraitsElEENS_6detail16IndexBoundsCheckILm5ElEESC_Lm5ESD_lEENS6_INS7_ISA_SB_Lm4ESD_lEESH_SB_Lm5ESD_lEElllll.has_recursion, 0
	.set _ZN2at6native12_GLOBAL__N_127reflection_pad3d_out_kernelIiEEvN5torch10headeronly6detail27GenericPackedTensorAccessorINS5_14TensorAccessorIN3c108ArrayRefIlEEKT_Lm4ENS4_16DefaultPtrTraitsElEENS_6detail16IndexBoundsCheckILm5ElEESC_Lm5ESD_lEENS6_INS7_ISA_SB_Lm4ESD_lEESH_SB_Lm5ESD_lEElllll.has_indirect_call, 0
	.section	.AMDGPU.csdata,"",@progbits
; Kernel info:
; codeLenInByte = 3080
; TotalNumSgprs: 54
; NumVgprs: 34
; ScratchSize: 0
; MemoryBound: 0
; FloatMode: 240
; IeeeMode: 1
; LDSByteSize: 0 bytes/workgroup (compile time only)
; SGPRBlocks: 0
; VGPRBlocks: 2
; NumSGPRsForWavesPerEU: 54
; NumVGPRsForWavesPerEU: 34
; NamedBarCnt: 0
; Occupancy: 16
; WaveLimiterHint : 0
; COMPUTE_PGM_RSRC2:SCRATCH_EN: 0
; COMPUTE_PGM_RSRC2:USER_SGPR: 2
; COMPUTE_PGM_RSRC2:TRAP_HANDLER: 0
; COMPUTE_PGM_RSRC2:TGID_X_EN: 1
; COMPUTE_PGM_RSRC2:TGID_Y_EN: 1
; COMPUTE_PGM_RSRC2:TGID_Z_EN: 1
; COMPUTE_PGM_RSRC2:TIDIG_COMP_CNT: 0
	.section	.text._ZN2at6native12_GLOBAL__N_127reflection_pad3d_out_kernelIlEEvN5torch10headeronly6detail27GenericPackedTensorAccessorINS5_14TensorAccessorIN3c108ArrayRefIlEEKT_Lm4ENS4_16DefaultPtrTraitsElEENS_6detail16IndexBoundsCheckILm5ElEESC_Lm5ESD_lEENS6_INS7_ISA_SB_Lm4ESD_lEESH_SB_Lm5ESD_lEElllll,"axG",@progbits,_ZN2at6native12_GLOBAL__N_127reflection_pad3d_out_kernelIlEEvN5torch10headeronly6detail27GenericPackedTensorAccessorINS5_14TensorAccessorIN3c108ArrayRefIlEEKT_Lm4ENS4_16DefaultPtrTraitsElEENS_6detail16IndexBoundsCheckILm5ElEESC_Lm5ESD_lEENS6_INS7_ISA_SB_Lm4ESD_lEESH_SB_Lm5ESD_lEElllll,comdat
	.globl	_ZN2at6native12_GLOBAL__N_127reflection_pad3d_out_kernelIlEEvN5torch10headeronly6detail27GenericPackedTensorAccessorINS5_14TensorAccessorIN3c108ArrayRefIlEEKT_Lm4ENS4_16DefaultPtrTraitsElEENS_6detail16IndexBoundsCheckILm5ElEESC_Lm5ESD_lEENS6_INS7_ISA_SB_Lm4ESD_lEESH_SB_Lm5ESD_lEElllll ; -- Begin function _ZN2at6native12_GLOBAL__N_127reflection_pad3d_out_kernelIlEEvN5torch10headeronly6detail27GenericPackedTensorAccessorINS5_14TensorAccessorIN3c108ArrayRefIlEEKT_Lm4ENS4_16DefaultPtrTraitsElEENS_6detail16IndexBoundsCheckILm5ElEESC_Lm5ESD_lEENS6_INS7_ISA_SB_Lm4ESD_lEESH_SB_Lm5ESD_lEElllll
	.p2align	8
	.type	_ZN2at6native12_GLOBAL__N_127reflection_pad3d_out_kernelIlEEvN5torch10headeronly6detail27GenericPackedTensorAccessorINS5_14TensorAccessorIN3c108ArrayRefIlEEKT_Lm4ENS4_16DefaultPtrTraitsElEENS_6detail16IndexBoundsCheckILm5ElEESC_Lm5ESD_lEENS6_INS7_ISA_SB_Lm4ESD_lEESH_SB_Lm5ESD_lEElllll,@function
_ZN2at6native12_GLOBAL__N_127reflection_pad3d_out_kernelIlEEvN5torch10headeronly6detail27GenericPackedTensorAccessorINS5_14TensorAccessorIN3c108ArrayRefIlEEKT_Lm4ENS4_16DefaultPtrTraitsElEENS_6detail16IndexBoundsCheckILm5ElEESC_Lm5ESD_lEENS6_INS7_ISA_SB_Lm4ESD_lEESH_SB_Lm5ESD_lEElllll: ; @_ZN2at6native12_GLOBAL__N_127reflection_pad3d_out_kernelIlEEvN5torch10headeronly6detail27GenericPackedTensorAccessorINS5_14TensorAccessorIN3c108ArrayRefIlEEKT_Lm4ENS4_16DefaultPtrTraitsElEENS_6detail16IndexBoundsCheckILm5ElEESC_Lm5ESD_lEENS6_INS7_ISA_SB_Lm4ESD_lEESH_SB_Lm5ESD_lEElllll
; %bb.0:
	s_clause 0x2
	s_load_b32 s2, s[0:1], 0xe4
	s_load_b128 s[4:7], s[0:1], 0x70
	s_load_b64 s[28:29], s[0:1], 0x80
	s_bfe_u32 s3, ttmp6, 0x4000c
	v_mov_b32_e32 v2, 0
	s_add_co_i32 s3, s3, 1
	s_and_b32 s8, ttmp6, 15
	s_mul_i32 s3, ttmp9, s3
	s_getreg_b32 s33, hwreg(HW_REG_IB_STS2, 6, 4)
	v_mov_b32_e32 v1, v2
	s_add_co_i32 s8, s8, s3
	s_wait_kmcnt 0x0
	s_and_b32 s2, s2, 0xffff
	s_cmp_eq_u32 s33, 0
	s_mul_u64 s[30:31], s[28:29], s[6:7]
	s_cselect_b32 s3, ttmp9, s8
	s_delay_alu instid0(SALU_CYCLE_1)
	v_mad_nc_u64_u32 v[0:1], s2, s3, v[0:1]
	s_mul_u64 s[2:3], s[30:31], s[4:5]
	s_delay_alu instid0(VALU_DEP_1) | instid1(SALU_CYCLE_1)
	v_cmp_gt_i64_e32 vcc_lo, s[2:3], v[0:1]
	s_and_saveexec_b32 s2, vcc_lo
	s_cbranch_execz .LBB60_14
; %bb.1:
	v_or_b32_e32 v3, s29, v1
                                        ; implicit-def: $vgpr4_vgpr5
	s_delay_alu instid0(VALU_DEP_1) | instskip(SKIP_2) | instid1(SALU_CYCLE_1)
	v_cmp_ne_u64_e32 vcc_lo, 0, v[2:3]
	v_ashrrev_i32_e32 v2, 31, v1
	s_and_saveexec_b32 s2, vcc_lo
	s_xor_b32 s3, exec_lo, s2
	s_cbranch_execz .LBB60_3
; %bb.2:
	s_ashr_i32 s4, s29, 31
	s_mov_b32 s17, 0
	s_mov_b32 s5, s4
	v_dual_mov_b32 v3, v2 :: v_dual_mov_b32 v7, 0
	s_add_nc_u64 s[8:9], s[28:29], s[4:5]
	s_delay_alu instid0(SALU_CYCLE_1) | instskip(NEXT) | instid1(VALU_DEP_1)
	s_xor_b64 s[8:9], s[8:9], s[4:5]
	v_add_nc_u64_e32 v[4:5], v[0:1], v[2:3]
	s_cvt_f32_u32 s2, s8
	s_cvt_f32_u32 s5, s9
	s_sub_nc_u64 s[12:13], 0, s[8:9]
	v_dual_mov_b32 v9, v7 :: v_dual_mov_b32 v15, v7
	s_delay_alu instid0(SALU_CYCLE_1) | instskip(NEXT) | instid1(VALU_DEP_2)
	s_fmamk_f32 s2, s5, 0x4f800000, s2
	v_xor_b32_e32 v6, v4, v2
	v_xor_b32_e32 v8, v5, v2
	s_delay_alu instid0(SALU_CYCLE_1) | instskip(NEXT) | instid1(TRANS32_DEP_1)
	v_s_rcp_f32 s2, s2
	s_mul_f32 s2, s2, 0x5f7ffffc
	s_delay_alu instid0(SALU_CYCLE_3) | instskip(NEXT) | instid1(SALU_CYCLE_3)
	s_mul_f32 s5, s2, 0x2f800000
	s_trunc_f32 s5, s5
	s_delay_alu instid0(SALU_CYCLE_3) | instskip(SKIP_1) | instid1(SALU_CYCLE_2)
	s_fmamk_f32 s2, s5, 0xcf800000, s2
	s_cvt_u32_f32 s11, s5
	s_cvt_u32_f32 s10, s2
	s_delay_alu instid0(SALU_CYCLE_3) | instskip(NEXT) | instid1(SALU_CYCLE_1)
	s_mul_u64 s[14:15], s[12:13], s[10:11]
	s_mul_hi_u32 s19, s10, s15
	s_mul_i32 s18, s10, s15
	s_mul_hi_u32 s16, s10, s14
	s_mul_i32 s5, s11, s14
	s_add_nc_u64 s[18:19], s[16:17], s[18:19]
	s_mul_hi_u32 s2, s11, s14
	s_mul_hi_u32 s20, s11, s15
	s_add_co_u32 s5, s18, s5
	s_add_co_ci_u32 s16, s19, s2
	s_mul_i32 s14, s11, s15
	s_add_co_ci_u32 s15, s20, 0
	s_delay_alu instid0(SALU_CYCLE_1) | instskip(NEXT) | instid1(SALU_CYCLE_1)
	s_add_nc_u64 s[14:15], s[16:17], s[14:15]
	s_add_co_u32 s10, s10, s14
	s_cselect_b32 s2, -1, 0
	s_delay_alu instid0(SALU_CYCLE_1) | instskip(SKIP_1) | instid1(SALU_CYCLE_1)
	s_cmp_lg_u32 s2, 0
	s_add_co_ci_u32 s11, s11, s15
	s_mul_u64 s[12:13], s[12:13], s[10:11]
	s_delay_alu instid0(SALU_CYCLE_1)
	s_mul_hi_u32 s15, s10, s13
	s_mul_i32 s14, s10, s13
	s_mul_hi_u32 s16, s10, s12
	s_mul_i32 s5, s11, s12
	s_add_nc_u64 s[14:15], s[16:17], s[14:15]
	s_mul_hi_u32 s2, s11, s12
	s_mul_hi_u32 s18, s11, s13
	s_add_co_u32 s5, s14, s5
	s_add_co_ci_u32 s16, s15, s2
	s_mul_i32 s12, s11, s13
	s_add_co_ci_u32 s13, s18, 0
	s_delay_alu instid0(SALU_CYCLE_1) | instskip(NEXT) | instid1(SALU_CYCLE_1)
	s_add_nc_u64 s[12:13], s[16:17], s[12:13]
	s_add_co_u32 s2, s10, s12
	s_cselect_b32 s5, -1, 0
	v_nop
	v_mul_hi_u32 v14, v6, s2
	s_cmp_lg_u32 s5, 0
	s_add_co_ci_u32 s16, s11, s13
	s_mov_b64 s[10:11], 0xffffffff
	v_mul_u64_e32 v[10:11], s[16:17], v[6:7]
	s_and_b64 s[10:11], s[2:3], s[10:11]
	v_mul_u64_e32 v[12:13], s[16:17], v[8:9]
	v_mul_u64_e32 v[4:5], s[10:11], v[8:9]
	s_delay_alu instid0(VALU_DEP_3) | instskip(NEXT) | instid1(VALU_DEP_1)
	v_add_nc_u64_e32 v[10:11], v[14:15], v[10:11]
	v_add_co_u32 v3, vcc_lo, v10, v4
	s_delay_alu instid0(VALU_DEP_2) | instskip(SKIP_1) | instid1(VALU_DEP_1)
	v_add_co_ci_u32_e32 v14, vcc_lo, v11, v5, vcc_lo
	v_add_co_ci_u32_e32 v13, vcc_lo, 0, v13, vcc_lo
	v_add_nc_u64_e32 v[4:5], v[14:15], v[12:13]
	s_delay_alu instid0(VALU_DEP_1) | instskip(NEXT) | instid1(VALU_DEP_1)
	v_mul_u64_e32 v[10:11], s[8:9], v[4:5]
	v_sub_nc_u32_e32 v3, v8, v11
	s_delay_alu instid0(VALU_DEP_2) | instskip(NEXT) | instid1(VALU_DEP_1)
	v_sub_co_u32 v6, vcc_lo, v6, v10
	v_sub_co_ci_u32_e64 v10, null, v8, v11, vcc_lo
	s_delay_alu instid0(VALU_DEP_3) | instskip(NEXT) | instid1(VALU_DEP_3)
	v_subrev_co_ci_u32_e64 v3, null, s9, v3, vcc_lo
	v_sub_co_u32 v7, s2, v6, s8
	s_delay_alu instid0(VALU_DEP_1) | instskip(NEXT) | instid1(VALU_DEP_2)
	v_subrev_co_ci_u32_e64 v3, null, 0, v3, s2
	v_cmp_le_u32_e32 vcc_lo, s8, v7
	v_cndmask_b32_e64 v7, 0, -1, vcc_lo
	s_delay_alu instid0(VALU_DEP_3)
	v_cmp_le_u32_e32 vcc_lo, s9, v3
	v_cndmask_b32_e64 v8, 0, -1, vcc_lo
	v_cmp_le_u32_e32 vcc_lo, s8, v6
	v_cndmask_b32_e64 v11, 0, -1, vcc_lo
	;; [unrolled: 2-line block ×3, first 2 shown]
	v_cmp_eq_u32_e32 vcc_lo, s9, v3
	v_cndmask_b32_e32 v3, v8, v7, vcc_lo
	v_cmp_eq_u32_e32 vcc_lo, s9, v10
	v_add_nc_u64_e32 v[6:7], 2, v[4:5]
	v_add_nc_u64_e32 v[8:9], 1, v[4:5]
	v_cndmask_b32_e32 v10, v12, v11, vcc_lo
	v_cmp_ne_u32_e32 vcc_lo, 0, v3
	s_delay_alu instid0(VALU_DEP_2) | instskip(NEXT) | instid1(VALU_DEP_4)
	v_cmp_ne_u32_e64 s2, 0, v10
	v_dual_cndmask_b32 v3, v9, v7, vcc_lo :: v_dual_cndmask_b32 v7, v8, v6, vcc_lo
	s_delay_alu instid0(VALU_DEP_1) | instskip(NEXT) | instid1(VALU_DEP_1)
	v_dual_cndmask_b32 v4, v4, v7, s2 :: v_dual_bitop2_b32 v6, s4, v2 bitop3:0x14
	v_dual_cndmask_b32 v3, v5, v3, s2 :: v_dual_mov_b32 v7, v6
	s_delay_alu instid0(VALU_DEP_2) | instskip(NEXT) | instid1(VALU_DEP_2)
	v_xor_b32_e32 v4, v4, v6
	v_xor_b32_e32 v5, v3, v6
	s_delay_alu instid0(VALU_DEP_1)
	v_sub_nc_u64_e32 v[4:5], v[4:5], v[6:7]
.LBB60_3:
	s_and_not1_saveexec_b32 s2, s3
	s_cbranch_execz .LBB60_5
; %bb.4:
	v_cvt_f32_u32_e32 v3, s28
	s_sub_co_i32 s3, 0, s28
	s_delay_alu instid0(VALU_DEP_1) | instskip(SKIP_1) | instid1(TRANS32_DEP_1)
	v_rcp_iflag_f32_e32 v3, v3
	v_nop
	v_mul_f32_e32 v3, 0x4f7ffffe, v3
	s_delay_alu instid0(VALU_DEP_1) | instskip(NEXT) | instid1(VALU_DEP_1)
	v_cvt_u32_f32_e32 v3, v3
	v_mul_lo_u32 v4, s3, v3
	s_delay_alu instid0(VALU_DEP_1) | instskip(NEXT) | instid1(VALU_DEP_1)
	v_mul_hi_u32 v4, v3, v4
	v_add_nc_u32_e32 v3, v3, v4
	s_delay_alu instid0(VALU_DEP_1) | instskip(NEXT) | instid1(VALU_DEP_1)
	v_mul_hi_u32 v3, v0, v3
	v_mul_lo_u32 v4, v3, s28
	s_delay_alu instid0(VALU_DEP_1) | instskip(NEXT) | instid1(VALU_DEP_1)
	v_dual_add_nc_u32 v5, 1, v3 :: v_dual_sub_nc_u32 v4, v0, v4
	v_subrev_nc_u32_e32 v6, s28, v4
	v_cmp_le_u32_e32 vcc_lo, s28, v4
	s_delay_alu instid0(VALU_DEP_2) | instskip(NEXT) | instid1(VALU_DEP_1)
	v_dual_cndmask_b32 v4, v4, v6 :: v_dual_cndmask_b32 v3, v3, v5
	v_cmp_le_u32_e32 vcc_lo, s28, v4
	s_delay_alu instid0(VALU_DEP_2) | instskip(NEXT) | instid1(VALU_DEP_1)
	v_add_nc_u32_e32 v5, 1, v3
	v_dual_cndmask_b32 v4, v3, v5 :: v_dual_mov_b32 v5, 0
.LBB60_5:
	s_or_b32 exec_lo, exec_lo, s2
	s_delay_alu instid0(VALU_DEP_1) | instskip(SKIP_1) | instid1(VALU_DEP_1)
	v_dual_mov_b32 v8, 0 :: v_dual_bitop2_b32 v9, s7, v5 bitop3:0x54
                                        ; implicit-def: $vgpr6_vgpr7
	s_mov_b32 s2, exec_lo
	v_cmpx_ne_u64_e32 0, v[8:9]
	s_xor_b32 s3, exec_lo, s2
	s_cbranch_execz .LBB60_7
; %bb.6:
	s_ashr_i32 s4, s7, 31
	s_mov_b32 s15, 0
	s_mov_b32 s5, s4
	v_dual_mov_b32 v13, v8 :: v_dual_ashrrev_i32 v6, 31, v5
	s_add_nc_u64 s[8:9], s[6:7], s[4:5]
	v_mov_b32_e32 v15, v8
	s_xor_b64 s[4:5], s[8:9], s[4:5]
	s_delay_alu instid0(VALU_DEP_2)
	v_mov_b32_e32 v7, v6
	s_cvt_f32_u32 s2, s4
	s_cvt_f32_u32 s7, s5
	s_sub_nc_u64 s[10:11], 0, s[4:5]
	v_mov_b32_e32 v21, v8
	v_add_nc_u64_e32 v[10:11], v[4:5], v[6:7]
	s_fmamk_f32 s2, s7, 0x4f800000, s2
	v_mov_b32_e32 v9, v8
	s_delay_alu instid0(SALU_CYCLE_2) | instskip(NEXT) | instid1(VALU_DEP_2)
	v_s_rcp_f32 s2, s2
	v_xor_b32_e32 v12, v10, v6
	s_delay_alu instid0(VALU_DEP_3) | instskip(NEXT) | instid1(TRANS32_DEP_1)
	v_xor_b32_e32 v14, v11, v6
	s_mul_f32 s2, s2, 0x5f7ffffc
	s_delay_alu instid0(SALU_CYCLE_3) | instskip(NEXT) | instid1(SALU_CYCLE_3)
	s_mul_f32 s7, s2, 0x2f800000
	s_trunc_f32 s7, s7
	s_delay_alu instid0(SALU_CYCLE_3) | instskip(SKIP_1) | instid1(SALU_CYCLE_2)
	s_fmamk_f32 s2, s7, 0xcf800000, s2
	s_cvt_u32_f32 s9, s7
	s_cvt_u32_f32 s8, s2
	s_delay_alu instid0(SALU_CYCLE_3) | instskip(NEXT) | instid1(SALU_CYCLE_1)
	s_mul_u64 s[12:13], s[10:11], s[8:9]
	s_mul_hi_u32 s17, s8, s13
	s_mul_i32 s16, s8, s13
	s_mul_hi_u32 s14, s8, s12
	s_mul_i32 s7, s9, s12
	s_add_nc_u64 s[16:17], s[14:15], s[16:17]
	s_mul_hi_u32 s2, s9, s12
	s_mul_hi_u32 s18, s9, s13
	s_add_co_u32 s7, s16, s7
	s_add_co_ci_u32 s14, s17, s2
	s_mul_i32 s12, s9, s13
	s_add_co_ci_u32 s13, s18, 0
	s_delay_alu instid0(SALU_CYCLE_1) | instskip(NEXT) | instid1(SALU_CYCLE_1)
	s_add_nc_u64 s[12:13], s[14:15], s[12:13]
	s_add_co_u32 s8, s8, s12
	s_cselect_b32 s2, -1, 0
	s_delay_alu instid0(SALU_CYCLE_1) | instskip(SKIP_1) | instid1(SALU_CYCLE_1)
	s_cmp_lg_u32 s2, 0
	s_add_co_ci_u32 s9, s9, s13
	s_mul_u64 s[10:11], s[10:11], s[8:9]
	s_delay_alu instid0(SALU_CYCLE_1)
	s_mul_hi_u32 s13, s8, s11
	s_mul_i32 s12, s8, s11
	s_mul_hi_u32 s14, s8, s10
	s_mul_i32 s7, s9, s10
	s_add_nc_u64 s[12:13], s[14:15], s[12:13]
	s_mul_hi_u32 s2, s9, s10
	s_mul_hi_u32 s16, s9, s11
	s_add_co_u32 s7, s12, s7
	s_add_co_ci_u32 s14, s13, s2
	s_mul_i32 s10, s9, s11
	s_add_co_ci_u32 s11, s16, 0
	s_delay_alu instid0(SALU_CYCLE_1) | instskip(NEXT) | instid1(SALU_CYCLE_1)
	s_add_nc_u64 s[10:11], s[14:15], s[10:11]
	s_add_co_u32 s2, s8, s10
	s_cselect_b32 s7, -1, 0
	v_mul_hi_u32 v20, v12, s2
	s_cmp_lg_u32 s7, 0
	s_add_co_ci_u32 s14, s9, s11
	s_mov_b64 s[8:9], 0xffffffff
	v_mul_u64_e32 v[16:17], s[14:15], v[12:13]
	s_and_b64 s[8:9], s[2:3], s[8:9]
	v_mul_u64_e32 v[18:19], s[14:15], v[14:15]
	v_mul_u64_e32 v[10:11], s[8:9], v[14:15]
	s_delay_alu instid0(VALU_DEP_3) | instskip(NEXT) | instid1(VALU_DEP_1)
	v_add_nc_u64_e32 v[16:17], v[20:21], v[16:17]
	v_add_co_u32 v3, vcc_lo, v16, v10
	s_delay_alu instid0(VALU_DEP_2) | instskip(SKIP_1) | instid1(VALU_DEP_1)
	v_add_co_ci_u32_e32 v8, vcc_lo, v17, v11, vcc_lo
	v_add_co_ci_u32_e32 v19, vcc_lo, 0, v19, vcc_lo
	v_add_nc_u64_e32 v[8:9], v[8:9], v[18:19]
	s_delay_alu instid0(VALU_DEP_1) | instskip(NEXT) | instid1(VALU_DEP_1)
	v_mul_u64_e32 v[8:9], s[4:5], v[8:9]
	v_sub_co_u32 v8, vcc_lo, v12, v8
	s_delay_alu instid0(VALU_DEP_1) | instskip(NEXT) | instid1(VALU_DEP_1)
	v_cmp_le_u32_e64 s2, s4, v8
	v_cndmask_b32_e64 v12, 0, -1, s2
	s_delay_alu instid0(VALU_DEP_4) | instskip(SKIP_1) | instid1(VALU_DEP_2)
	v_sub_nc_u32_e32 v3, v14, v9
	v_sub_co_ci_u32_e64 v9, null, v14, v9, vcc_lo
	v_subrev_co_ci_u32_e64 v3, null, s5, v3, vcc_lo
	v_sub_co_u32 v10, vcc_lo, v8, s4
	s_delay_alu instid0(VALU_DEP_1) | instskip(NEXT) | instid1(VALU_DEP_2)
	v_subrev_co_ci_u32_e64 v11, null, 0, v3, vcc_lo
	v_cmp_le_u32_e64 s2, s4, v10
	v_subrev_co_ci_u32_e64 v3, null, s5, v3, vcc_lo
	v_cmp_le_u32_e32 vcc_lo, s5, v9
	s_delay_alu instid0(VALU_DEP_3) | instskip(SKIP_3) | instid1(VALU_DEP_3)
	v_cndmask_b32_e64 v13, 0, -1, s2
	v_cmp_le_u32_e64 s2, s5, v11
	v_cndmask_b32_e64 v15, 0, -1, vcc_lo
	v_cmp_eq_u32_e32 vcc_lo, s5, v11
	v_cndmask_b32_e64 v14, 0, -1, s2
	v_cmp_eq_u32_e64 s2, s5, v9
	s_delay_alu instid0(VALU_DEP_2) | instskip(SKIP_1) | instid1(VALU_DEP_1)
	v_cndmask_b32_e32 v13, v14, v13, vcc_lo
	v_sub_co_u32 v14, vcc_lo, v10, s4
	v_subrev_co_ci_u32_e64 v3, null, 0, v3, vcc_lo
	s_delay_alu instid0(VALU_DEP_3) | instskip(SKIP_1) | instid1(VALU_DEP_3)
	v_cmp_ne_u32_e32 vcc_lo, 0, v13
	v_cndmask_b32_e64 v12, v15, v12, s2
	v_dual_cndmask_b32 v3, v11, v3 :: v_dual_cndmask_b32 v10, v10, v14
	s_delay_alu instid0(VALU_DEP_2) | instskip(NEXT) | instid1(VALU_DEP_2)
	v_cmp_ne_u32_e32 vcc_lo, 0, v12
	v_dual_cndmask_b32 v3, v9, v3 :: v_dual_cndmask_b32 v8, v8, v10
	s_delay_alu instid0(VALU_DEP_1) | instskip(NEXT) | instid1(VALU_DEP_2)
	v_xor_b32_e32 v9, v3, v6
	v_xor_b32_e32 v8, v8, v6
	s_delay_alu instid0(VALU_DEP_1)
	v_sub_nc_u64_e32 v[6:7], v[8:9], v[6:7]
.LBB60_7:
	s_or_saveexec_b32 s2, s3
	s_clause 0x1
	s_load_b64 s[34:35], s[0:1], 0xa8
	s_load_b256 s[20:27], s[0:1], 0x88
	s_xor_b32 exec_lo, exec_lo, s2
	s_cbranch_execz .LBB60_9
; %bb.8:
	v_cvt_f32_u32_e32 v3, s6
	s_sub_co_i32 s3, 0, s6
	v_mov_b32_e32 v7, 0
	s_delay_alu instid0(VALU_DEP_2) | instskip(SKIP_1) | instid1(TRANS32_DEP_1)
	v_rcp_iflag_f32_e32 v3, v3
	v_nop
	v_mul_f32_e32 v3, 0x4f7ffffe, v3
	s_delay_alu instid0(VALU_DEP_1) | instskip(NEXT) | instid1(VALU_DEP_1)
	v_cvt_u32_f32_e32 v3, v3
	v_mul_lo_u32 v6, s3, v3
	s_delay_alu instid0(VALU_DEP_1) | instskip(NEXT) | instid1(VALU_DEP_1)
	v_mul_hi_u32 v6, v3, v6
	v_add_nc_u32_e32 v3, v3, v6
	s_delay_alu instid0(VALU_DEP_1) | instskip(NEXT) | instid1(VALU_DEP_1)
	v_mul_hi_u32 v3, v4, v3
	v_mul_lo_u32 v3, v3, s6
	s_delay_alu instid0(VALU_DEP_1) | instskip(NEXT) | instid1(VALU_DEP_1)
	v_sub_nc_u32_e32 v3, v4, v3
	v_subrev_nc_u32_e32 v6, s6, v3
	v_cmp_le_u32_e32 vcc_lo, s6, v3
	s_delay_alu instid0(VALU_DEP_2) | instskip(NEXT) | instid1(VALU_DEP_1)
	v_cndmask_b32_e32 v3, v3, v6, vcc_lo
	v_subrev_nc_u32_e32 v6, s6, v3
	v_cmp_le_u32_e32 vcc_lo, s6, v3
	s_delay_alu instid0(VALU_DEP_2)
	v_cndmask_b32_e32 v6, v3, v6, vcc_lo
.LBB60_9:
	s_or_b32 exec_lo, exec_lo, s2
	v_dual_mov_b32 v10, 0 :: v_dual_bitop2_b32 v11, s31, v1 bitop3:0x54
                                        ; implicit-def: $vgpr8_vgpr9
	s_mov_b32 s2, exec_lo
	s_delay_alu instid0(VALU_DEP_1)
	v_cmpx_ne_u64_e32 0, v[10:11]
	s_xor_b32 s3, exec_lo, s2
	s_cbranch_execz .LBB60_11
; %bb.10:
	s_ashr_i32 s4, s31, 31
	s_mov_b32 s15, 0
	s_mov_b32 s5, s4
	v_dual_mov_b32 v3, v2 :: v_dual_mov_b32 v13, v10
	s_add_nc_u64 s[6:7], s[30:31], s[4:5]
	v_mov_b32_e32 v11, v10
	s_xor_b64 s[6:7], s[6:7], s[4:5]
	s_delay_alu instid0(VALU_DEP_2) | instskip(SKIP_4) | instid1(SALU_CYCLE_1)
	v_add_nc_u64_e32 v[8:9], v[0:1], v[2:3]
	s_cvt_f32_u32 s2, s6
	s_cvt_f32_u32 s5, s7
	s_sub_nc_u64 s[10:11], 0, s[6:7]
	v_dual_mov_b32 v15, v10 :: v_dual_mov_b32 v21, v10
	s_fmamk_f32 s2, s5, 0x4f800000, s2
	s_delay_alu instid0(VALU_DEP_2) | instskip(SKIP_3) | instid1(TRANS32_DEP_1)
	v_xor_b32_e32 v12, v8, v2
	v_xor_b32_e32 v14, v9, v2
	;; [unrolled: 1-line block ×3, first 2 shown]
	v_s_rcp_f32 s2, s2
	s_mul_f32 s2, s2, 0x5f7ffffc
	s_delay_alu instid0(SALU_CYCLE_3) | instskip(NEXT) | instid1(SALU_CYCLE_3)
	s_mul_f32 s5, s2, 0x2f800000
	s_trunc_f32 s5, s5
	s_delay_alu instid0(SALU_CYCLE_3) | instskip(SKIP_1) | instid1(SALU_CYCLE_2)
	s_fmamk_f32 s2, s5, 0xcf800000, s2
	s_cvt_u32_f32 s9, s5
	s_cvt_u32_f32 s8, s2
	s_delay_alu instid0(SALU_CYCLE_3) | instskip(NEXT) | instid1(SALU_CYCLE_1)
	s_mul_u64 s[12:13], s[10:11], s[8:9]
	s_mul_hi_u32 s17, s8, s13
	s_mul_i32 s16, s8, s13
	s_mul_hi_u32 s14, s8, s12
	s_mul_i32 s5, s9, s12
	s_add_nc_u64 s[16:17], s[14:15], s[16:17]
	s_mul_hi_u32 s2, s9, s12
	s_mul_hi_u32 s18, s9, s13
	s_add_co_u32 s5, s16, s5
	s_add_co_ci_u32 s14, s17, s2
	s_mul_i32 s12, s9, s13
	s_add_co_ci_u32 s13, s18, 0
	s_delay_alu instid0(SALU_CYCLE_1) | instskip(NEXT) | instid1(SALU_CYCLE_1)
	s_add_nc_u64 s[12:13], s[14:15], s[12:13]
	s_add_co_u32 s8, s8, s12
	s_cselect_b32 s2, -1, 0
	s_delay_alu instid0(SALU_CYCLE_1) | instskip(SKIP_1) | instid1(SALU_CYCLE_1)
	s_cmp_lg_u32 s2, 0
	s_add_co_ci_u32 s9, s9, s13
	s_mul_u64 s[10:11], s[10:11], s[8:9]
	s_delay_alu instid0(SALU_CYCLE_1)
	s_mul_hi_u32 s13, s8, s11
	s_mul_i32 s12, s8, s11
	s_mul_hi_u32 s14, s8, s10
	s_mul_i32 s5, s9, s10
	s_add_nc_u64 s[12:13], s[14:15], s[12:13]
	s_mul_hi_u32 s2, s9, s10
	s_mul_hi_u32 s16, s9, s11
	s_add_co_u32 s5, s12, s5
	s_add_co_ci_u32 s14, s13, s2
	s_mul_i32 s10, s9, s11
	s_add_co_ci_u32 s11, s16, 0
	s_delay_alu instid0(SALU_CYCLE_1) | instskip(NEXT) | instid1(SALU_CYCLE_1)
	s_add_nc_u64 s[10:11], s[14:15], s[10:11]
	s_add_co_u32 s2, s8, s10
	s_cselect_b32 s5, -1, 0
	v_nop
	v_mul_hi_u32 v20, v12, s2
	s_cmp_lg_u32 s5, 0
	s_add_co_ci_u32 s14, s9, s11
	s_mov_b64 s[8:9], 0xffffffff
	v_mul_u64_e32 v[16:17], s[14:15], v[12:13]
	s_and_b64 s[8:9], s[2:3], s[8:9]
	v_mul_u64_e32 v[18:19], s[14:15], v[14:15]
	v_mul_u64_e32 v[8:9], s[8:9], v[14:15]
	s_delay_alu instid0(VALU_DEP_3) | instskip(NEXT) | instid1(VALU_DEP_1)
	v_add_nc_u64_e32 v[16:17], v[20:21], v[16:17]
	v_add_co_u32 v3, vcc_lo, v16, v8
	s_delay_alu instid0(VALU_DEP_2) | instskip(SKIP_1) | instid1(VALU_DEP_1)
	v_add_co_ci_u32_e32 v10, vcc_lo, v17, v9, vcc_lo
	v_add_co_ci_u32_e32 v19, vcc_lo, 0, v19, vcc_lo
	v_add_nc_u64_e32 v[8:9], v[10:11], v[18:19]
	s_delay_alu instid0(VALU_DEP_1) | instskip(NEXT) | instid1(VALU_DEP_1)
	v_mul_u64_e32 v[10:11], s[6:7], v[8:9]
	v_sub_nc_u32_e32 v3, v14, v11
	s_delay_alu instid0(VALU_DEP_2) | instskip(NEXT) | instid1(VALU_DEP_1)
	v_sub_co_u32 v10, vcc_lo, v12, v10
	v_sub_co_ci_u32_e64 v14, null, v14, v11, vcc_lo
	s_delay_alu instid0(VALU_DEP_3) | instskip(NEXT) | instid1(VALU_DEP_3)
	v_subrev_co_ci_u32_e64 v3, null, s7, v3, vcc_lo
	v_sub_co_u32 v12, s2, v10, s6
	s_delay_alu instid0(VALU_DEP_1) | instskip(NEXT) | instid1(VALU_DEP_2)
	v_subrev_co_ci_u32_e64 v3, null, 0, v3, s2
	v_cmp_le_u32_e32 vcc_lo, s6, v12
	v_cndmask_b32_e64 v11, 0, -1, vcc_lo
	s_delay_alu instid0(VALU_DEP_3)
	v_cmp_le_u32_e32 vcc_lo, s7, v3
	v_cndmask_b32_e64 v12, 0, -1, vcc_lo
	v_cmp_le_u32_e32 vcc_lo, s6, v10
	v_cndmask_b32_e64 v15, 0, -1, vcc_lo
	;; [unrolled: 2-line block ×3, first 2 shown]
	v_cmp_eq_u32_e32 vcc_lo, s7, v3
	v_cndmask_b32_e32 v3, v12, v11, vcc_lo
	v_cmp_eq_u32_e32 vcc_lo, s7, v14
	v_add_nc_u64_e32 v[10:11], 2, v[8:9]
	v_add_nc_u64_e32 v[12:13], 1, v[8:9]
	v_cndmask_b32_e32 v14, v16, v15, vcc_lo
	v_cmp_ne_u32_e32 vcc_lo, 0, v3
	s_delay_alu instid0(VALU_DEP_2) | instskip(NEXT) | instid1(VALU_DEP_4)
	v_cmp_ne_u32_e64 s2, 0, v14
	v_dual_cndmask_b32 v10, v12, v10 :: v_dual_cndmask_b32 v3, v13, v11
	s_delay_alu instid0(VALU_DEP_1) | instskip(NEXT) | instid1(VALU_DEP_1)
	v_dual_cndmask_b32 v8, v8, v10, s2 :: v_dual_cndmask_b32 v9, v9, v3, s2
	v_dual_mov_b32 v3, v2 :: v_dual_bitop2_b32 v8, v8, v2 bitop3:0x14
	s_delay_alu instid0(VALU_DEP_2) | instskip(NEXT) | instid1(VALU_DEP_1)
	v_xor_b32_e32 v9, v9, v2
	v_sub_nc_u64_e32 v[8:9], v[8:9], v[2:3]
.LBB60_11:
	s_or_saveexec_b32 s31, s3
	s_clause 0x2
	s_load_b64 s[2:3], s[0:1], 0x58
	s_load_b64 s[44:45], s[0:1], 0x0
	s_load_b512 s[4:19], s[0:1], 0x18
	s_xor_b32 exec_lo, exec_lo, s31
	s_cbranch_execz .LBB60_13
; %bb.12:
	v_cvt_f32_u32_e32 v2, s30
	s_sub_co_i32 s36, 0, s30
	s_delay_alu instid0(VALU_DEP_1) | instskip(SKIP_1) | instid1(TRANS32_DEP_1)
	v_rcp_iflag_f32_e32 v2, v2
	v_nop
	v_mul_f32_e32 v2, 0x4f7ffffe, v2
	s_delay_alu instid0(VALU_DEP_1) | instskip(NEXT) | instid1(VALU_DEP_1)
	v_cvt_u32_f32_e32 v2, v2
	v_mul_lo_u32 v3, s36, v2
	s_delay_alu instid0(VALU_DEP_1) | instskip(NEXT) | instid1(VALU_DEP_1)
	v_mul_hi_u32 v3, v2, v3
	v_add_nc_u32_e32 v2, v2, v3
	s_delay_alu instid0(VALU_DEP_1) | instskip(NEXT) | instid1(VALU_DEP_1)
	v_mul_hi_u32 v2, v0, v2
	v_mul_lo_u32 v3, v2, s30
	s_delay_alu instid0(VALU_DEP_1) | instskip(NEXT) | instid1(VALU_DEP_1)
	v_dual_add_nc_u32 v8, 1, v2 :: v_dual_sub_nc_u32 v3, v0, v3
	v_subrev_nc_u32_e32 v9, s30, v3
	v_cmp_le_u32_e32 vcc_lo, s30, v3
	s_delay_alu instid0(VALU_DEP_2) | instskip(NEXT) | instid1(VALU_DEP_4)
	v_dual_cndmask_b32 v3, v3, v9, vcc_lo :: v_dual_mov_b32 v9, 0
	v_cndmask_b32_e32 v2, v2, v8, vcc_lo
	s_delay_alu instid0(VALU_DEP_2) | instskip(NEXT) | instid1(VALU_DEP_2)
	v_cmp_le_u32_e32 vcc_lo, s30, v3
	v_add_nc_u32_e32 v8, 1, v2
	s_delay_alu instid0(VALU_DEP_1)
	v_cndmask_b32_e32 v8, v2, v8, vcc_lo
.LBB60_13:
	s_or_b32 exec_lo, exec_lo, s31
	v_mul_u64_e32 v[2:3], s[28:29], v[4:5]
	s_load_b256 s[36:43], s[0:1], 0xb0
	s_wait_kmcnt 0x0
	v_max_i64 v[10:11], s[40:41], 0
	s_add_nc_u64 s[50:51], s[40:41], s[4:5]
	v_max_i64 v[14:15], s[38:39], 0
	v_sub_nc_u64_e64 v[16:17], v[8:9], s[50:51]
	s_add_nc_u64 s[48:49], s[38:39], s[6:7]
	s_sub_nc_u64 s[46:47], 0, s[40:41]
	v_sub_nc_u64_e64 v[12:13], v[6:7], s[48:49]
	v_max_i64 v[4:5], s[36:37], 0
	s_add_nc_u64 s[48:49], s[36:37], s[8:9]
	s_sub_nc_u64 s[30:31], 0, s[38:39]
	v_add_nc_u64_e32 v[22:23], 1, v[16:17]
	v_sub_nc_u64_e32 v[0:1], v[0:1], v[2:3]
	v_max_i64 v[2:3], s[46:47], 0
	v_not_b32_e32 v17, v17
	v_not_b32_e32 v16, v16
	v_add_nc_u64_e32 v[20:21], 1, v[12:13]
	v_not_b32_e32 v13, v13
	v_not_b32_e32 v12, v12
	v_sub_nc_u64_e64 v[24:25], v[0:1], s[48:49]
	v_max_i64 v[28:29], s[30:31], 0
	v_sub_nc_u64_e64 v[26:27], v[8:9], s[40:41]
	v_max_i64 v[16:17], v[22:23], v[16:17]
	s_sub_nc_u64 s[28:29], 0, s[36:37]
	v_max_i64 v[12:13], v[20:21], v[12:13]
	v_max_i64 v[22:23], s[28:29], 0
	v_add_nc_u64_e32 v[20:21], 1, v[24:25]
	v_sub_nc_u64_e64 v[18:19], v[6:7], s[38:39]
	v_not_b32_e32 v25, v25
	v_not_b32_e32 v24, v24
	v_sub_nc_u64_e32 v[30:31], 0, v[26:27]
	v_sub_nc_u64_e64 v[32:33], v[0:1], s[36:37]
	s_lshl_b64 s[30:31], s[40:41], 1
	v_not_b32_e32 v10, v10
	v_max_i64 v[20:21], v[20:21], v[24:25]
	v_sub_nc_u64_e32 v[24:25], 0, v[18:19]
	v_not_b32_e32 v11, v11
	v_max_i64 v[26:27], v[26:27], v[30:31]
	v_sub_nc_u64_e32 v[30:31], 0, v[32:33]
	v_not_b32_e32 v14, v14
	v_not_b32_e32 v15, v15
	v_add_nc_u64_e32 v[10:11], s[30:31], v[10:11]
	v_max_i64 v[18:19], v[18:19], v[24:25]
	s_lshl_b64 s[28:29], s[38:39], 1
	v_not_b32_e32 v4, v4
	v_not_b32_e32 v5, v5
	v_add_nc_u64_e32 v[14:15], s[28:29], v[14:15]
	v_max_i64 v[24:25], v[32:33], v[30:31]
	v_add_nc_u64_e32 v[2:3], v[10:11], v[2:3]
	s_lshl_b64 s[28:29], s[36:37], 1
	s_load_b64 s[0:1], s[0:1], 0xd0
	v_add_nc_u64_e32 v[4:5], s[28:29], v[4:5]
	s_delay_alu instid0(VALU_DEP_4) | instskip(SKIP_1) | instid1(VALU_DEP_4)
	v_add_nc_u64_e32 v[10:11], v[14:15], v[28:29]
	v_add_nc_u64_e32 v[14:15], v[8:9], v[16:17]
	;; [unrolled: 1-line block ×4, first 2 shown]
	s_bfe_u32 s4, ttmp6, 0x40014
	v_add_nc_u64_e32 v[4:5], v[4:5], v[22:23]
	s_bfe_u32 s5, ttmp6, 0x40010
	v_add_nc_u64_e32 v[10:11], s[6:7], v[10:11]
	s_lshr_b32 s6, ttmp7, 16
	v_sub_nc_u64_e32 v[2:3], v[2:3], v[14:15]
	s_add_co_i32 s4, s4, 1
	s_add_co_i32 s5, s5, 1
	v_add_nc_u64_e32 v[4:5], s[8:9], v[4:5]
	v_add_nc_u64_e32 v[14:15], v[0:1], v[20:21]
	v_sub_nc_u64_e32 v[10:11], v[10:11], v[12:13]
	s_and_b32 s8, ttmp7, 0xffff
	v_add_nc_u64_e32 v[2:3], v[2:3], v[26:27]
	s_mul_i32 s4, s6, s4
	s_bfe_u32 s7, ttmp6, 0x40008
	s_mul_i32 s5, s8, s5
	v_sub_nc_u64_e32 v[4:5], v[4:5], v[14:15]
	v_add_nc_u64_e32 v[10:11], v[10:11], v[18:19]
	s_bfe_u32 s9, ttmp6, 0x40004
	v_mul_u64_e32 v[2:3], s[14:15], v[2:3]
	s_add_co_i32 s7, s7, s4
	s_add_co_i32 s9, s9, s5
	s_cmp_eq_u32 s33, 0
	v_add_nc_u64_e32 v[4:5], v[4:5], v[24:25]
	v_mul_u64_e32 v[10:11], s[16:17], v[10:11]
	s_mov_b32 s5, 0
	s_cselect_b32 s6, s6, s7
	s_mov_b32 s7, s5
	s_cselect_b32 s4, s8, s9
	s_wait_kmcnt 0x0
	s_add_nc_u64 s[0:1], s[0:1], s[6:7]
	v_mul_u64_e32 v[4:5], s[18:19], v[4:5]
	s_mul_u64 s[6:7], s[10:11], s[0:1]
	s_add_nc_u64 s[4:5], s[42:43], s[4:5]
	s_lshl_b64 s[6:7], s[6:7], 3
	s_mul_u64 s[8:9], s[12:13], s[4:5]
	s_add_nc_u64 s[6:7], s[44:45], s[6:7]
	s_lshl_b64 s[8:9], s[8:9], 3
	v_mul_u64_e32 v[6:7], s[26:27], v[6:7]
	s_add_nc_u64 s[6:7], s[6:7], s[8:9]
	v_mul_u64_e32 v[0:1], s[34:35], v[0:1]
	s_mul_u64 s[0:1], s[20:21], s[0:1]
	s_mul_u64 s[4:5], s[22:23], s[4:5]
	s_lshl_b64 s[0:1], s[0:1], 3
	s_delay_alu instid0(SALU_CYCLE_1) | instskip(SKIP_1) | instid1(SALU_CYCLE_1)
	s_add_nc_u64 s[0:1], s[2:3], s[0:1]
	s_lshl_b64 s[2:3], s[4:5], 3
	s_add_nc_u64 s[0:1], s[0:1], s[2:3]
	v_lshl_add_u64 v[2:3], v[2:3], 3, s[6:7]
	s_delay_alu instid0(VALU_DEP_1) | instskip(NEXT) | instid1(VALU_DEP_1)
	v_lshl_add_u64 v[2:3], v[10:11], 3, v[2:3]
	v_lshl_add_u64 v[2:3], v[4:5], 3, v[2:3]
	v_mul_u64_e32 v[4:5], s[24:25], v[8:9]
	global_load_b64 v[2:3], v[2:3], off
	v_lshl_add_u64 v[4:5], v[4:5], 3, s[0:1]
	s_delay_alu instid0(VALU_DEP_1) | instskip(NEXT) | instid1(VALU_DEP_1)
	v_lshl_add_u64 v[4:5], v[6:7], 3, v[4:5]
	v_lshl_add_u64 v[0:1], v[0:1], 3, v[4:5]
	s_wait_loadcnt 0x0
	global_store_b64 v[0:1], v[2:3], off
.LBB60_14:
	s_endpgm
	.section	.rodata,"a",@progbits
	.p2align	6, 0x0
	.amdhsa_kernel _ZN2at6native12_GLOBAL__N_127reflection_pad3d_out_kernelIlEEvN5torch10headeronly6detail27GenericPackedTensorAccessorINS5_14TensorAccessorIN3c108ArrayRefIlEEKT_Lm4ENS4_16DefaultPtrTraitsElEENS_6detail16IndexBoundsCheckILm5ElEESC_Lm5ESD_lEENS6_INS7_ISA_SB_Lm4ESD_lEESH_SB_Lm5ESD_lEElllll
		.amdhsa_group_segment_fixed_size 0
		.amdhsa_private_segment_fixed_size 0
		.amdhsa_kernarg_size 472
		.amdhsa_user_sgpr_count 2
		.amdhsa_user_sgpr_dispatch_ptr 0
		.amdhsa_user_sgpr_queue_ptr 0
		.amdhsa_user_sgpr_kernarg_segment_ptr 1
		.amdhsa_user_sgpr_dispatch_id 0
		.amdhsa_user_sgpr_kernarg_preload_length 0
		.amdhsa_user_sgpr_kernarg_preload_offset 0
		.amdhsa_user_sgpr_private_segment_size 0
		.amdhsa_wavefront_size32 1
		.amdhsa_uses_dynamic_stack 0
		.amdhsa_enable_private_segment 0
		.amdhsa_system_sgpr_workgroup_id_x 1
		.amdhsa_system_sgpr_workgroup_id_y 1
		.amdhsa_system_sgpr_workgroup_id_z 1
		.amdhsa_system_sgpr_workgroup_info 0
		.amdhsa_system_vgpr_workitem_id 0
		.amdhsa_next_free_vgpr 34
		.amdhsa_next_free_sgpr 52
		.amdhsa_named_barrier_count 0
		.amdhsa_reserve_vcc 1
		.amdhsa_float_round_mode_32 0
		.amdhsa_float_round_mode_16_64 0
		.amdhsa_float_denorm_mode_32 3
		.amdhsa_float_denorm_mode_16_64 3
		.amdhsa_fp16_overflow 0
		.amdhsa_memory_ordered 1
		.amdhsa_forward_progress 1
		.amdhsa_inst_pref_size 24
		.amdhsa_round_robin_scheduling 0
		.amdhsa_exception_fp_ieee_invalid_op 0
		.amdhsa_exception_fp_denorm_src 0
		.amdhsa_exception_fp_ieee_div_zero 0
		.amdhsa_exception_fp_ieee_overflow 0
		.amdhsa_exception_fp_ieee_underflow 0
		.amdhsa_exception_fp_ieee_inexact 0
		.amdhsa_exception_int_div_zero 0
	.end_amdhsa_kernel
	.section	.text._ZN2at6native12_GLOBAL__N_127reflection_pad3d_out_kernelIlEEvN5torch10headeronly6detail27GenericPackedTensorAccessorINS5_14TensorAccessorIN3c108ArrayRefIlEEKT_Lm4ENS4_16DefaultPtrTraitsElEENS_6detail16IndexBoundsCheckILm5ElEESC_Lm5ESD_lEENS6_INS7_ISA_SB_Lm4ESD_lEESH_SB_Lm5ESD_lEElllll,"axG",@progbits,_ZN2at6native12_GLOBAL__N_127reflection_pad3d_out_kernelIlEEvN5torch10headeronly6detail27GenericPackedTensorAccessorINS5_14TensorAccessorIN3c108ArrayRefIlEEKT_Lm4ENS4_16DefaultPtrTraitsElEENS_6detail16IndexBoundsCheckILm5ElEESC_Lm5ESD_lEENS6_INS7_ISA_SB_Lm4ESD_lEESH_SB_Lm5ESD_lEElllll,comdat
.Lfunc_end60:
	.size	_ZN2at6native12_GLOBAL__N_127reflection_pad3d_out_kernelIlEEvN5torch10headeronly6detail27GenericPackedTensorAccessorINS5_14TensorAccessorIN3c108ArrayRefIlEEKT_Lm4ENS4_16DefaultPtrTraitsElEENS_6detail16IndexBoundsCheckILm5ElEESC_Lm5ESD_lEENS6_INS7_ISA_SB_Lm4ESD_lEESH_SB_Lm5ESD_lEElllll, .Lfunc_end60-_ZN2at6native12_GLOBAL__N_127reflection_pad3d_out_kernelIlEEvN5torch10headeronly6detail27GenericPackedTensorAccessorINS5_14TensorAccessorIN3c108ArrayRefIlEEKT_Lm4ENS4_16DefaultPtrTraitsElEENS_6detail16IndexBoundsCheckILm5ElEESC_Lm5ESD_lEENS6_INS7_ISA_SB_Lm4ESD_lEESH_SB_Lm5ESD_lEElllll
                                        ; -- End function
	.set _ZN2at6native12_GLOBAL__N_127reflection_pad3d_out_kernelIlEEvN5torch10headeronly6detail27GenericPackedTensorAccessorINS5_14TensorAccessorIN3c108ArrayRefIlEEKT_Lm4ENS4_16DefaultPtrTraitsElEENS_6detail16IndexBoundsCheckILm5ElEESC_Lm5ESD_lEENS6_INS7_ISA_SB_Lm4ESD_lEESH_SB_Lm5ESD_lEElllll.num_vgpr, 34
	.set _ZN2at6native12_GLOBAL__N_127reflection_pad3d_out_kernelIlEEvN5torch10headeronly6detail27GenericPackedTensorAccessorINS5_14TensorAccessorIN3c108ArrayRefIlEEKT_Lm4ENS4_16DefaultPtrTraitsElEENS_6detail16IndexBoundsCheckILm5ElEESC_Lm5ESD_lEENS6_INS7_ISA_SB_Lm4ESD_lEESH_SB_Lm5ESD_lEElllll.num_agpr, 0
	.set _ZN2at6native12_GLOBAL__N_127reflection_pad3d_out_kernelIlEEvN5torch10headeronly6detail27GenericPackedTensorAccessorINS5_14TensorAccessorIN3c108ArrayRefIlEEKT_Lm4ENS4_16DefaultPtrTraitsElEENS_6detail16IndexBoundsCheckILm5ElEESC_Lm5ESD_lEENS6_INS7_ISA_SB_Lm4ESD_lEESH_SB_Lm5ESD_lEElllll.numbered_sgpr, 52
	.set _ZN2at6native12_GLOBAL__N_127reflection_pad3d_out_kernelIlEEvN5torch10headeronly6detail27GenericPackedTensorAccessorINS5_14TensorAccessorIN3c108ArrayRefIlEEKT_Lm4ENS4_16DefaultPtrTraitsElEENS_6detail16IndexBoundsCheckILm5ElEESC_Lm5ESD_lEENS6_INS7_ISA_SB_Lm4ESD_lEESH_SB_Lm5ESD_lEElllll.num_named_barrier, 0
	.set _ZN2at6native12_GLOBAL__N_127reflection_pad3d_out_kernelIlEEvN5torch10headeronly6detail27GenericPackedTensorAccessorINS5_14TensorAccessorIN3c108ArrayRefIlEEKT_Lm4ENS4_16DefaultPtrTraitsElEENS_6detail16IndexBoundsCheckILm5ElEESC_Lm5ESD_lEENS6_INS7_ISA_SB_Lm4ESD_lEESH_SB_Lm5ESD_lEElllll.private_seg_size, 0
	.set _ZN2at6native12_GLOBAL__N_127reflection_pad3d_out_kernelIlEEvN5torch10headeronly6detail27GenericPackedTensorAccessorINS5_14TensorAccessorIN3c108ArrayRefIlEEKT_Lm4ENS4_16DefaultPtrTraitsElEENS_6detail16IndexBoundsCheckILm5ElEESC_Lm5ESD_lEENS6_INS7_ISA_SB_Lm4ESD_lEESH_SB_Lm5ESD_lEElllll.uses_vcc, 1
	.set _ZN2at6native12_GLOBAL__N_127reflection_pad3d_out_kernelIlEEvN5torch10headeronly6detail27GenericPackedTensorAccessorINS5_14TensorAccessorIN3c108ArrayRefIlEEKT_Lm4ENS4_16DefaultPtrTraitsElEENS_6detail16IndexBoundsCheckILm5ElEESC_Lm5ESD_lEENS6_INS7_ISA_SB_Lm4ESD_lEESH_SB_Lm5ESD_lEElllll.uses_flat_scratch, 0
	.set _ZN2at6native12_GLOBAL__N_127reflection_pad3d_out_kernelIlEEvN5torch10headeronly6detail27GenericPackedTensorAccessorINS5_14TensorAccessorIN3c108ArrayRefIlEEKT_Lm4ENS4_16DefaultPtrTraitsElEENS_6detail16IndexBoundsCheckILm5ElEESC_Lm5ESD_lEENS6_INS7_ISA_SB_Lm4ESD_lEESH_SB_Lm5ESD_lEElllll.has_dyn_sized_stack, 0
	.set _ZN2at6native12_GLOBAL__N_127reflection_pad3d_out_kernelIlEEvN5torch10headeronly6detail27GenericPackedTensorAccessorINS5_14TensorAccessorIN3c108ArrayRefIlEEKT_Lm4ENS4_16DefaultPtrTraitsElEENS_6detail16IndexBoundsCheckILm5ElEESC_Lm5ESD_lEENS6_INS7_ISA_SB_Lm4ESD_lEESH_SB_Lm5ESD_lEElllll.has_recursion, 0
	.set _ZN2at6native12_GLOBAL__N_127reflection_pad3d_out_kernelIlEEvN5torch10headeronly6detail27GenericPackedTensorAccessorINS5_14TensorAccessorIN3c108ArrayRefIlEEKT_Lm4ENS4_16DefaultPtrTraitsElEENS_6detail16IndexBoundsCheckILm5ElEESC_Lm5ESD_lEENS6_INS7_ISA_SB_Lm4ESD_lEESH_SB_Lm5ESD_lEElllll.has_indirect_call, 0
	.section	.AMDGPU.csdata,"",@progbits
; Kernel info:
; codeLenInByte = 3072
; TotalNumSgprs: 54
; NumVgprs: 34
; ScratchSize: 0
; MemoryBound: 0
; FloatMode: 240
; IeeeMode: 1
; LDSByteSize: 0 bytes/workgroup (compile time only)
; SGPRBlocks: 0
; VGPRBlocks: 2
; NumSGPRsForWavesPerEU: 54
; NumVGPRsForWavesPerEU: 34
; NamedBarCnt: 0
; Occupancy: 16
; WaveLimiterHint : 0
; COMPUTE_PGM_RSRC2:SCRATCH_EN: 0
; COMPUTE_PGM_RSRC2:USER_SGPR: 2
; COMPUTE_PGM_RSRC2:TRAP_HANDLER: 0
; COMPUTE_PGM_RSRC2:TGID_X_EN: 1
; COMPUTE_PGM_RSRC2:TGID_Y_EN: 1
; COMPUTE_PGM_RSRC2:TGID_Z_EN: 1
; COMPUTE_PGM_RSRC2:TIDIG_COMP_CNT: 0
	.section	.text._ZN2at6native12_GLOBAL__N_127reflection_pad3d_out_kernelIsEEvN5torch10headeronly6detail27GenericPackedTensorAccessorINS5_14TensorAccessorIN3c108ArrayRefIlEEKT_Lm4ENS4_16DefaultPtrTraitsElEENS_6detail16IndexBoundsCheckILm5ElEESC_Lm5ESD_lEENS6_INS7_ISA_SB_Lm4ESD_lEESH_SB_Lm5ESD_lEElllll,"axG",@progbits,_ZN2at6native12_GLOBAL__N_127reflection_pad3d_out_kernelIsEEvN5torch10headeronly6detail27GenericPackedTensorAccessorINS5_14TensorAccessorIN3c108ArrayRefIlEEKT_Lm4ENS4_16DefaultPtrTraitsElEENS_6detail16IndexBoundsCheckILm5ElEESC_Lm5ESD_lEENS6_INS7_ISA_SB_Lm4ESD_lEESH_SB_Lm5ESD_lEElllll,comdat
	.globl	_ZN2at6native12_GLOBAL__N_127reflection_pad3d_out_kernelIsEEvN5torch10headeronly6detail27GenericPackedTensorAccessorINS5_14TensorAccessorIN3c108ArrayRefIlEEKT_Lm4ENS4_16DefaultPtrTraitsElEENS_6detail16IndexBoundsCheckILm5ElEESC_Lm5ESD_lEENS6_INS7_ISA_SB_Lm4ESD_lEESH_SB_Lm5ESD_lEElllll ; -- Begin function _ZN2at6native12_GLOBAL__N_127reflection_pad3d_out_kernelIsEEvN5torch10headeronly6detail27GenericPackedTensorAccessorINS5_14TensorAccessorIN3c108ArrayRefIlEEKT_Lm4ENS4_16DefaultPtrTraitsElEENS_6detail16IndexBoundsCheckILm5ElEESC_Lm5ESD_lEENS6_INS7_ISA_SB_Lm4ESD_lEESH_SB_Lm5ESD_lEElllll
	.p2align	8
	.type	_ZN2at6native12_GLOBAL__N_127reflection_pad3d_out_kernelIsEEvN5torch10headeronly6detail27GenericPackedTensorAccessorINS5_14TensorAccessorIN3c108ArrayRefIlEEKT_Lm4ENS4_16DefaultPtrTraitsElEENS_6detail16IndexBoundsCheckILm5ElEESC_Lm5ESD_lEENS6_INS7_ISA_SB_Lm4ESD_lEESH_SB_Lm5ESD_lEElllll,@function
_ZN2at6native12_GLOBAL__N_127reflection_pad3d_out_kernelIsEEvN5torch10headeronly6detail27GenericPackedTensorAccessorINS5_14TensorAccessorIN3c108ArrayRefIlEEKT_Lm4ENS4_16DefaultPtrTraitsElEENS_6detail16IndexBoundsCheckILm5ElEESC_Lm5ESD_lEENS6_INS7_ISA_SB_Lm4ESD_lEESH_SB_Lm5ESD_lEElllll: ; @_ZN2at6native12_GLOBAL__N_127reflection_pad3d_out_kernelIsEEvN5torch10headeronly6detail27GenericPackedTensorAccessorINS5_14TensorAccessorIN3c108ArrayRefIlEEKT_Lm4ENS4_16DefaultPtrTraitsElEENS_6detail16IndexBoundsCheckILm5ElEESC_Lm5ESD_lEENS6_INS7_ISA_SB_Lm4ESD_lEESH_SB_Lm5ESD_lEElllll
; %bb.0:
	s_clause 0x2
	s_load_b32 s2, s[0:1], 0xe4
	s_load_b128 s[4:7], s[0:1], 0x70
	s_load_b64 s[28:29], s[0:1], 0x80
	s_bfe_u32 s3, ttmp6, 0x4000c
	v_mov_b32_e32 v2, 0
	s_add_co_i32 s3, s3, 1
	s_and_b32 s8, ttmp6, 15
	s_mul_i32 s3, ttmp9, s3
	s_getreg_b32 s33, hwreg(HW_REG_IB_STS2, 6, 4)
	v_mov_b32_e32 v1, v2
	s_add_co_i32 s8, s8, s3
	s_wait_kmcnt 0x0
	s_and_b32 s2, s2, 0xffff
	s_cmp_eq_u32 s33, 0
	s_mul_u64 s[30:31], s[28:29], s[6:7]
	s_cselect_b32 s3, ttmp9, s8
	s_delay_alu instid0(SALU_CYCLE_1)
	v_mad_nc_u64_u32 v[0:1], s2, s3, v[0:1]
	s_mul_u64 s[2:3], s[30:31], s[4:5]
	s_delay_alu instid0(VALU_DEP_1) | instid1(SALU_CYCLE_1)
	v_cmp_gt_i64_e32 vcc_lo, s[2:3], v[0:1]
	s_and_saveexec_b32 s2, vcc_lo
	s_cbranch_execz .LBB61_14
; %bb.1:
	v_or_b32_e32 v3, s29, v1
                                        ; implicit-def: $vgpr4_vgpr5
	s_delay_alu instid0(VALU_DEP_1) | instskip(SKIP_2) | instid1(SALU_CYCLE_1)
	v_cmp_ne_u64_e32 vcc_lo, 0, v[2:3]
	v_ashrrev_i32_e32 v2, 31, v1
	s_and_saveexec_b32 s2, vcc_lo
	s_xor_b32 s3, exec_lo, s2
	s_cbranch_execz .LBB61_3
; %bb.2:
	s_ashr_i32 s4, s29, 31
	s_mov_b32 s17, 0
	s_mov_b32 s5, s4
	v_dual_mov_b32 v3, v2 :: v_dual_mov_b32 v7, 0
	s_add_nc_u64 s[8:9], s[28:29], s[4:5]
	s_delay_alu instid0(SALU_CYCLE_1) | instskip(NEXT) | instid1(VALU_DEP_1)
	s_xor_b64 s[8:9], s[8:9], s[4:5]
	v_add_nc_u64_e32 v[4:5], v[0:1], v[2:3]
	s_cvt_f32_u32 s2, s8
	s_cvt_f32_u32 s5, s9
	s_sub_nc_u64 s[12:13], 0, s[8:9]
	v_dual_mov_b32 v9, v7 :: v_dual_mov_b32 v15, v7
	s_delay_alu instid0(SALU_CYCLE_1) | instskip(NEXT) | instid1(VALU_DEP_2)
	s_fmamk_f32 s2, s5, 0x4f800000, s2
	v_xor_b32_e32 v6, v4, v2
	v_xor_b32_e32 v8, v5, v2
	s_delay_alu instid0(SALU_CYCLE_1) | instskip(NEXT) | instid1(TRANS32_DEP_1)
	v_s_rcp_f32 s2, s2
	s_mul_f32 s2, s2, 0x5f7ffffc
	s_delay_alu instid0(SALU_CYCLE_3) | instskip(NEXT) | instid1(SALU_CYCLE_3)
	s_mul_f32 s5, s2, 0x2f800000
	s_trunc_f32 s5, s5
	s_delay_alu instid0(SALU_CYCLE_3) | instskip(SKIP_1) | instid1(SALU_CYCLE_2)
	s_fmamk_f32 s2, s5, 0xcf800000, s2
	s_cvt_u32_f32 s11, s5
	s_cvt_u32_f32 s10, s2
	s_delay_alu instid0(SALU_CYCLE_3) | instskip(NEXT) | instid1(SALU_CYCLE_1)
	s_mul_u64 s[14:15], s[12:13], s[10:11]
	s_mul_hi_u32 s19, s10, s15
	s_mul_i32 s18, s10, s15
	s_mul_hi_u32 s16, s10, s14
	s_mul_i32 s5, s11, s14
	s_add_nc_u64 s[18:19], s[16:17], s[18:19]
	s_mul_hi_u32 s2, s11, s14
	s_mul_hi_u32 s20, s11, s15
	s_add_co_u32 s5, s18, s5
	s_add_co_ci_u32 s16, s19, s2
	s_mul_i32 s14, s11, s15
	s_add_co_ci_u32 s15, s20, 0
	s_delay_alu instid0(SALU_CYCLE_1) | instskip(NEXT) | instid1(SALU_CYCLE_1)
	s_add_nc_u64 s[14:15], s[16:17], s[14:15]
	s_add_co_u32 s10, s10, s14
	s_cselect_b32 s2, -1, 0
	s_delay_alu instid0(SALU_CYCLE_1) | instskip(SKIP_1) | instid1(SALU_CYCLE_1)
	s_cmp_lg_u32 s2, 0
	s_add_co_ci_u32 s11, s11, s15
	s_mul_u64 s[12:13], s[12:13], s[10:11]
	s_delay_alu instid0(SALU_CYCLE_1)
	s_mul_hi_u32 s15, s10, s13
	s_mul_i32 s14, s10, s13
	s_mul_hi_u32 s16, s10, s12
	s_mul_i32 s5, s11, s12
	s_add_nc_u64 s[14:15], s[16:17], s[14:15]
	s_mul_hi_u32 s2, s11, s12
	s_mul_hi_u32 s18, s11, s13
	s_add_co_u32 s5, s14, s5
	s_add_co_ci_u32 s16, s15, s2
	s_mul_i32 s12, s11, s13
	s_add_co_ci_u32 s13, s18, 0
	s_delay_alu instid0(SALU_CYCLE_1) | instskip(NEXT) | instid1(SALU_CYCLE_1)
	s_add_nc_u64 s[12:13], s[16:17], s[12:13]
	s_add_co_u32 s2, s10, s12
	s_cselect_b32 s5, -1, 0
	v_nop
	v_mul_hi_u32 v14, v6, s2
	s_cmp_lg_u32 s5, 0
	s_add_co_ci_u32 s16, s11, s13
	s_mov_b64 s[10:11], 0xffffffff
	v_mul_u64_e32 v[10:11], s[16:17], v[6:7]
	s_and_b64 s[10:11], s[2:3], s[10:11]
	v_mul_u64_e32 v[12:13], s[16:17], v[8:9]
	v_mul_u64_e32 v[4:5], s[10:11], v[8:9]
	s_delay_alu instid0(VALU_DEP_3) | instskip(NEXT) | instid1(VALU_DEP_1)
	v_add_nc_u64_e32 v[10:11], v[14:15], v[10:11]
	v_add_co_u32 v3, vcc_lo, v10, v4
	s_delay_alu instid0(VALU_DEP_2) | instskip(SKIP_1) | instid1(VALU_DEP_1)
	v_add_co_ci_u32_e32 v14, vcc_lo, v11, v5, vcc_lo
	v_add_co_ci_u32_e32 v13, vcc_lo, 0, v13, vcc_lo
	v_add_nc_u64_e32 v[4:5], v[14:15], v[12:13]
	s_delay_alu instid0(VALU_DEP_1) | instskip(NEXT) | instid1(VALU_DEP_1)
	v_mul_u64_e32 v[10:11], s[8:9], v[4:5]
	v_sub_nc_u32_e32 v3, v8, v11
	s_delay_alu instid0(VALU_DEP_2) | instskip(NEXT) | instid1(VALU_DEP_1)
	v_sub_co_u32 v6, vcc_lo, v6, v10
	v_sub_co_ci_u32_e64 v10, null, v8, v11, vcc_lo
	s_delay_alu instid0(VALU_DEP_3) | instskip(NEXT) | instid1(VALU_DEP_3)
	v_subrev_co_ci_u32_e64 v3, null, s9, v3, vcc_lo
	v_sub_co_u32 v7, s2, v6, s8
	s_delay_alu instid0(VALU_DEP_1) | instskip(NEXT) | instid1(VALU_DEP_2)
	v_subrev_co_ci_u32_e64 v3, null, 0, v3, s2
	v_cmp_le_u32_e32 vcc_lo, s8, v7
	v_cndmask_b32_e64 v7, 0, -1, vcc_lo
	s_delay_alu instid0(VALU_DEP_3)
	v_cmp_le_u32_e32 vcc_lo, s9, v3
	v_cndmask_b32_e64 v8, 0, -1, vcc_lo
	v_cmp_le_u32_e32 vcc_lo, s8, v6
	v_cndmask_b32_e64 v11, 0, -1, vcc_lo
	;; [unrolled: 2-line block ×3, first 2 shown]
	v_cmp_eq_u32_e32 vcc_lo, s9, v3
	v_cndmask_b32_e32 v3, v8, v7, vcc_lo
	v_cmp_eq_u32_e32 vcc_lo, s9, v10
	v_add_nc_u64_e32 v[6:7], 2, v[4:5]
	v_add_nc_u64_e32 v[8:9], 1, v[4:5]
	v_cndmask_b32_e32 v10, v12, v11, vcc_lo
	v_cmp_ne_u32_e32 vcc_lo, 0, v3
	s_delay_alu instid0(VALU_DEP_2) | instskip(NEXT) | instid1(VALU_DEP_4)
	v_cmp_ne_u32_e64 s2, 0, v10
	v_dual_cndmask_b32 v3, v9, v7, vcc_lo :: v_dual_cndmask_b32 v7, v8, v6, vcc_lo
	s_delay_alu instid0(VALU_DEP_1) | instskip(NEXT) | instid1(VALU_DEP_1)
	v_dual_cndmask_b32 v4, v4, v7, s2 :: v_dual_bitop2_b32 v6, s4, v2 bitop3:0x14
	v_dual_cndmask_b32 v3, v5, v3, s2 :: v_dual_mov_b32 v7, v6
	s_delay_alu instid0(VALU_DEP_2) | instskip(NEXT) | instid1(VALU_DEP_2)
	v_xor_b32_e32 v4, v4, v6
	v_xor_b32_e32 v5, v3, v6
	s_delay_alu instid0(VALU_DEP_1)
	v_sub_nc_u64_e32 v[4:5], v[4:5], v[6:7]
.LBB61_3:
	s_and_not1_saveexec_b32 s2, s3
	s_cbranch_execz .LBB61_5
; %bb.4:
	v_cvt_f32_u32_e32 v3, s28
	s_sub_co_i32 s3, 0, s28
	s_delay_alu instid0(VALU_DEP_1) | instskip(SKIP_1) | instid1(TRANS32_DEP_1)
	v_rcp_iflag_f32_e32 v3, v3
	v_nop
	v_mul_f32_e32 v3, 0x4f7ffffe, v3
	s_delay_alu instid0(VALU_DEP_1) | instskip(NEXT) | instid1(VALU_DEP_1)
	v_cvt_u32_f32_e32 v3, v3
	v_mul_lo_u32 v4, s3, v3
	s_delay_alu instid0(VALU_DEP_1) | instskip(NEXT) | instid1(VALU_DEP_1)
	v_mul_hi_u32 v4, v3, v4
	v_add_nc_u32_e32 v3, v3, v4
	s_delay_alu instid0(VALU_DEP_1) | instskip(NEXT) | instid1(VALU_DEP_1)
	v_mul_hi_u32 v3, v0, v3
	v_mul_lo_u32 v4, v3, s28
	s_delay_alu instid0(VALU_DEP_1) | instskip(NEXT) | instid1(VALU_DEP_1)
	v_dual_add_nc_u32 v5, 1, v3 :: v_dual_sub_nc_u32 v4, v0, v4
	v_subrev_nc_u32_e32 v6, s28, v4
	v_cmp_le_u32_e32 vcc_lo, s28, v4
	s_delay_alu instid0(VALU_DEP_2) | instskip(NEXT) | instid1(VALU_DEP_1)
	v_dual_cndmask_b32 v4, v4, v6 :: v_dual_cndmask_b32 v3, v3, v5
	v_cmp_le_u32_e32 vcc_lo, s28, v4
	s_delay_alu instid0(VALU_DEP_2) | instskip(NEXT) | instid1(VALU_DEP_1)
	v_add_nc_u32_e32 v5, 1, v3
	v_dual_cndmask_b32 v4, v3, v5 :: v_dual_mov_b32 v5, 0
.LBB61_5:
	s_or_b32 exec_lo, exec_lo, s2
	s_delay_alu instid0(VALU_DEP_1) | instskip(SKIP_1) | instid1(VALU_DEP_1)
	v_dual_mov_b32 v8, 0 :: v_dual_bitop2_b32 v9, s7, v5 bitop3:0x54
                                        ; implicit-def: $vgpr6_vgpr7
	s_mov_b32 s2, exec_lo
	v_cmpx_ne_u64_e32 0, v[8:9]
	s_xor_b32 s3, exec_lo, s2
	s_cbranch_execz .LBB61_7
; %bb.6:
	s_ashr_i32 s4, s7, 31
	s_mov_b32 s15, 0
	s_mov_b32 s5, s4
	v_dual_mov_b32 v13, v8 :: v_dual_ashrrev_i32 v6, 31, v5
	s_add_nc_u64 s[8:9], s[6:7], s[4:5]
	v_mov_b32_e32 v15, v8
	s_xor_b64 s[4:5], s[8:9], s[4:5]
	s_delay_alu instid0(VALU_DEP_2)
	v_mov_b32_e32 v7, v6
	s_cvt_f32_u32 s2, s4
	s_cvt_f32_u32 s7, s5
	s_sub_nc_u64 s[10:11], 0, s[4:5]
	v_mov_b32_e32 v21, v8
	v_add_nc_u64_e32 v[10:11], v[4:5], v[6:7]
	s_fmamk_f32 s2, s7, 0x4f800000, s2
	v_mov_b32_e32 v9, v8
	s_delay_alu instid0(SALU_CYCLE_2) | instskip(NEXT) | instid1(VALU_DEP_2)
	v_s_rcp_f32 s2, s2
	v_xor_b32_e32 v12, v10, v6
	s_delay_alu instid0(VALU_DEP_3) | instskip(NEXT) | instid1(TRANS32_DEP_1)
	v_xor_b32_e32 v14, v11, v6
	s_mul_f32 s2, s2, 0x5f7ffffc
	s_delay_alu instid0(SALU_CYCLE_3) | instskip(NEXT) | instid1(SALU_CYCLE_3)
	s_mul_f32 s7, s2, 0x2f800000
	s_trunc_f32 s7, s7
	s_delay_alu instid0(SALU_CYCLE_3) | instskip(SKIP_1) | instid1(SALU_CYCLE_2)
	s_fmamk_f32 s2, s7, 0xcf800000, s2
	s_cvt_u32_f32 s9, s7
	s_cvt_u32_f32 s8, s2
	s_delay_alu instid0(SALU_CYCLE_3) | instskip(NEXT) | instid1(SALU_CYCLE_1)
	s_mul_u64 s[12:13], s[10:11], s[8:9]
	s_mul_hi_u32 s17, s8, s13
	s_mul_i32 s16, s8, s13
	s_mul_hi_u32 s14, s8, s12
	s_mul_i32 s7, s9, s12
	s_add_nc_u64 s[16:17], s[14:15], s[16:17]
	s_mul_hi_u32 s2, s9, s12
	s_mul_hi_u32 s18, s9, s13
	s_add_co_u32 s7, s16, s7
	s_add_co_ci_u32 s14, s17, s2
	s_mul_i32 s12, s9, s13
	s_add_co_ci_u32 s13, s18, 0
	s_delay_alu instid0(SALU_CYCLE_1) | instskip(NEXT) | instid1(SALU_CYCLE_1)
	s_add_nc_u64 s[12:13], s[14:15], s[12:13]
	s_add_co_u32 s8, s8, s12
	s_cselect_b32 s2, -1, 0
	s_delay_alu instid0(SALU_CYCLE_1) | instskip(SKIP_1) | instid1(SALU_CYCLE_1)
	s_cmp_lg_u32 s2, 0
	s_add_co_ci_u32 s9, s9, s13
	s_mul_u64 s[10:11], s[10:11], s[8:9]
	s_delay_alu instid0(SALU_CYCLE_1)
	s_mul_hi_u32 s13, s8, s11
	s_mul_i32 s12, s8, s11
	s_mul_hi_u32 s14, s8, s10
	s_mul_i32 s7, s9, s10
	s_add_nc_u64 s[12:13], s[14:15], s[12:13]
	s_mul_hi_u32 s2, s9, s10
	s_mul_hi_u32 s16, s9, s11
	s_add_co_u32 s7, s12, s7
	s_add_co_ci_u32 s14, s13, s2
	s_mul_i32 s10, s9, s11
	s_add_co_ci_u32 s11, s16, 0
	s_delay_alu instid0(SALU_CYCLE_1) | instskip(NEXT) | instid1(SALU_CYCLE_1)
	s_add_nc_u64 s[10:11], s[14:15], s[10:11]
	s_add_co_u32 s2, s8, s10
	s_cselect_b32 s7, -1, 0
	v_mul_hi_u32 v20, v12, s2
	s_cmp_lg_u32 s7, 0
	s_add_co_ci_u32 s14, s9, s11
	s_mov_b64 s[8:9], 0xffffffff
	v_mul_u64_e32 v[16:17], s[14:15], v[12:13]
	s_and_b64 s[8:9], s[2:3], s[8:9]
	v_mul_u64_e32 v[18:19], s[14:15], v[14:15]
	v_mul_u64_e32 v[10:11], s[8:9], v[14:15]
	s_delay_alu instid0(VALU_DEP_3) | instskip(NEXT) | instid1(VALU_DEP_1)
	v_add_nc_u64_e32 v[16:17], v[20:21], v[16:17]
	v_add_co_u32 v3, vcc_lo, v16, v10
	s_delay_alu instid0(VALU_DEP_2) | instskip(SKIP_1) | instid1(VALU_DEP_1)
	v_add_co_ci_u32_e32 v8, vcc_lo, v17, v11, vcc_lo
	v_add_co_ci_u32_e32 v19, vcc_lo, 0, v19, vcc_lo
	v_add_nc_u64_e32 v[8:9], v[8:9], v[18:19]
	s_delay_alu instid0(VALU_DEP_1) | instskip(NEXT) | instid1(VALU_DEP_1)
	v_mul_u64_e32 v[8:9], s[4:5], v[8:9]
	v_sub_co_u32 v8, vcc_lo, v12, v8
	s_delay_alu instid0(VALU_DEP_1) | instskip(NEXT) | instid1(VALU_DEP_1)
	v_cmp_le_u32_e64 s2, s4, v8
	v_cndmask_b32_e64 v12, 0, -1, s2
	s_delay_alu instid0(VALU_DEP_4) | instskip(SKIP_1) | instid1(VALU_DEP_2)
	v_sub_nc_u32_e32 v3, v14, v9
	v_sub_co_ci_u32_e64 v9, null, v14, v9, vcc_lo
	v_subrev_co_ci_u32_e64 v3, null, s5, v3, vcc_lo
	v_sub_co_u32 v10, vcc_lo, v8, s4
	s_delay_alu instid0(VALU_DEP_1) | instskip(NEXT) | instid1(VALU_DEP_2)
	v_subrev_co_ci_u32_e64 v11, null, 0, v3, vcc_lo
	v_cmp_le_u32_e64 s2, s4, v10
	v_subrev_co_ci_u32_e64 v3, null, s5, v3, vcc_lo
	v_cmp_le_u32_e32 vcc_lo, s5, v9
	s_delay_alu instid0(VALU_DEP_3) | instskip(SKIP_3) | instid1(VALU_DEP_3)
	v_cndmask_b32_e64 v13, 0, -1, s2
	v_cmp_le_u32_e64 s2, s5, v11
	v_cndmask_b32_e64 v15, 0, -1, vcc_lo
	v_cmp_eq_u32_e32 vcc_lo, s5, v11
	v_cndmask_b32_e64 v14, 0, -1, s2
	v_cmp_eq_u32_e64 s2, s5, v9
	s_delay_alu instid0(VALU_DEP_2) | instskip(SKIP_1) | instid1(VALU_DEP_1)
	v_cndmask_b32_e32 v13, v14, v13, vcc_lo
	v_sub_co_u32 v14, vcc_lo, v10, s4
	v_subrev_co_ci_u32_e64 v3, null, 0, v3, vcc_lo
	s_delay_alu instid0(VALU_DEP_3) | instskip(SKIP_1) | instid1(VALU_DEP_3)
	v_cmp_ne_u32_e32 vcc_lo, 0, v13
	v_cndmask_b32_e64 v12, v15, v12, s2
	v_dual_cndmask_b32 v3, v11, v3 :: v_dual_cndmask_b32 v10, v10, v14
	s_delay_alu instid0(VALU_DEP_2) | instskip(NEXT) | instid1(VALU_DEP_2)
	v_cmp_ne_u32_e32 vcc_lo, 0, v12
	v_dual_cndmask_b32 v3, v9, v3 :: v_dual_cndmask_b32 v8, v8, v10
	s_delay_alu instid0(VALU_DEP_1) | instskip(NEXT) | instid1(VALU_DEP_2)
	v_xor_b32_e32 v9, v3, v6
	v_xor_b32_e32 v8, v8, v6
	s_delay_alu instid0(VALU_DEP_1)
	v_sub_nc_u64_e32 v[6:7], v[8:9], v[6:7]
.LBB61_7:
	s_or_saveexec_b32 s2, s3
	s_clause 0x1
	s_load_b64 s[34:35], s[0:1], 0xa8
	s_load_b256 s[20:27], s[0:1], 0x88
	s_xor_b32 exec_lo, exec_lo, s2
	s_cbranch_execz .LBB61_9
; %bb.8:
	v_cvt_f32_u32_e32 v3, s6
	s_sub_co_i32 s3, 0, s6
	v_mov_b32_e32 v7, 0
	s_delay_alu instid0(VALU_DEP_2) | instskip(SKIP_1) | instid1(TRANS32_DEP_1)
	v_rcp_iflag_f32_e32 v3, v3
	v_nop
	v_mul_f32_e32 v3, 0x4f7ffffe, v3
	s_delay_alu instid0(VALU_DEP_1) | instskip(NEXT) | instid1(VALU_DEP_1)
	v_cvt_u32_f32_e32 v3, v3
	v_mul_lo_u32 v6, s3, v3
	s_delay_alu instid0(VALU_DEP_1) | instskip(NEXT) | instid1(VALU_DEP_1)
	v_mul_hi_u32 v6, v3, v6
	v_add_nc_u32_e32 v3, v3, v6
	s_delay_alu instid0(VALU_DEP_1) | instskip(NEXT) | instid1(VALU_DEP_1)
	v_mul_hi_u32 v3, v4, v3
	v_mul_lo_u32 v3, v3, s6
	s_delay_alu instid0(VALU_DEP_1) | instskip(NEXT) | instid1(VALU_DEP_1)
	v_sub_nc_u32_e32 v3, v4, v3
	v_subrev_nc_u32_e32 v6, s6, v3
	v_cmp_le_u32_e32 vcc_lo, s6, v3
	s_delay_alu instid0(VALU_DEP_2) | instskip(NEXT) | instid1(VALU_DEP_1)
	v_cndmask_b32_e32 v3, v3, v6, vcc_lo
	v_subrev_nc_u32_e32 v6, s6, v3
	v_cmp_le_u32_e32 vcc_lo, s6, v3
	s_delay_alu instid0(VALU_DEP_2)
	v_cndmask_b32_e32 v6, v3, v6, vcc_lo
.LBB61_9:
	s_or_b32 exec_lo, exec_lo, s2
	v_dual_mov_b32 v10, 0 :: v_dual_bitop2_b32 v11, s31, v1 bitop3:0x54
                                        ; implicit-def: $vgpr8_vgpr9
	s_mov_b32 s2, exec_lo
	s_delay_alu instid0(VALU_DEP_1)
	v_cmpx_ne_u64_e32 0, v[10:11]
	s_xor_b32 s3, exec_lo, s2
	s_cbranch_execz .LBB61_11
; %bb.10:
	s_ashr_i32 s4, s31, 31
	s_mov_b32 s15, 0
	s_mov_b32 s5, s4
	v_dual_mov_b32 v3, v2 :: v_dual_mov_b32 v13, v10
	s_add_nc_u64 s[6:7], s[30:31], s[4:5]
	v_mov_b32_e32 v11, v10
	s_xor_b64 s[6:7], s[6:7], s[4:5]
	s_delay_alu instid0(VALU_DEP_2) | instskip(SKIP_4) | instid1(SALU_CYCLE_1)
	v_add_nc_u64_e32 v[8:9], v[0:1], v[2:3]
	s_cvt_f32_u32 s2, s6
	s_cvt_f32_u32 s5, s7
	s_sub_nc_u64 s[10:11], 0, s[6:7]
	v_dual_mov_b32 v15, v10 :: v_dual_mov_b32 v21, v10
	s_fmamk_f32 s2, s5, 0x4f800000, s2
	s_delay_alu instid0(VALU_DEP_2) | instskip(SKIP_3) | instid1(TRANS32_DEP_1)
	v_xor_b32_e32 v12, v8, v2
	v_xor_b32_e32 v14, v9, v2
	;; [unrolled: 1-line block ×3, first 2 shown]
	v_s_rcp_f32 s2, s2
	s_mul_f32 s2, s2, 0x5f7ffffc
	s_delay_alu instid0(SALU_CYCLE_3) | instskip(NEXT) | instid1(SALU_CYCLE_3)
	s_mul_f32 s5, s2, 0x2f800000
	s_trunc_f32 s5, s5
	s_delay_alu instid0(SALU_CYCLE_3) | instskip(SKIP_1) | instid1(SALU_CYCLE_2)
	s_fmamk_f32 s2, s5, 0xcf800000, s2
	s_cvt_u32_f32 s9, s5
	s_cvt_u32_f32 s8, s2
	s_delay_alu instid0(SALU_CYCLE_3) | instskip(NEXT) | instid1(SALU_CYCLE_1)
	s_mul_u64 s[12:13], s[10:11], s[8:9]
	s_mul_hi_u32 s17, s8, s13
	s_mul_i32 s16, s8, s13
	s_mul_hi_u32 s14, s8, s12
	s_mul_i32 s5, s9, s12
	s_add_nc_u64 s[16:17], s[14:15], s[16:17]
	s_mul_hi_u32 s2, s9, s12
	s_mul_hi_u32 s18, s9, s13
	s_add_co_u32 s5, s16, s5
	s_add_co_ci_u32 s14, s17, s2
	s_mul_i32 s12, s9, s13
	s_add_co_ci_u32 s13, s18, 0
	s_delay_alu instid0(SALU_CYCLE_1) | instskip(NEXT) | instid1(SALU_CYCLE_1)
	s_add_nc_u64 s[12:13], s[14:15], s[12:13]
	s_add_co_u32 s8, s8, s12
	s_cselect_b32 s2, -1, 0
	s_delay_alu instid0(SALU_CYCLE_1) | instskip(SKIP_1) | instid1(SALU_CYCLE_1)
	s_cmp_lg_u32 s2, 0
	s_add_co_ci_u32 s9, s9, s13
	s_mul_u64 s[10:11], s[10:11], s[8:9]
	s_delay_alu instid0(SALU_CYCLE_1)
	s_mul_hi_u32 s13, s8, s11
	s_mul_i32 s12, s8, s11
	s_mul_hi_u32 s14, s8, s10
	s_mul_i32 s5, s9, s10
	s_add_nc_u64 s[12:13], s[14:15], s[12:13]
	s_mul_hi_u32 s2, s9, s10
	s_mul_hi_u32 s16, s9, s11
	s_add_co_u32 s5, s12, s5
	s_add_co_ci_u32 s14, s13, s2
	s_mul_i32 s10, s9, s11
	s_add_co_ci_u32 s11, s16, 0
	s_delay_alu instid0(SALU_CYCLE_1) | instskip(NEXT) | instid1(SALU_CYCLE_1)
	s_add_nc_u64 s[10:11], s[14:15], s[10:11]
	s_add_co_u32 s2, s8, s10
	s_cselect_b32 s5, -1, 0
	v_nop
	v_mul_hi_u32 v20, v12, s2
	s_cmp_lg_u32 s5, 0
	s_add_co_ci_u32 s14, s9, s11
	s_mov_b64 s[8:9], 0xffffffff
	v_mul_u64_e32 v[16:17], s[14:15], v[12:13]
	s_and_b64 s[8:9], s[2:3], s[8:9]
	v_mul_u64_e32 v[18:19], s[14:15], v[14:15]
	v_mul_u64_e32 v[8:9], s[8:9], v[14:15]
	s_delay_alu instid0(VALU_DEP_3) | instskip(NEXT) | instid1(VALU_DEP_1)
	v_add_nc_u64_e32 v[16:17], v[20:21], v[16:17]
	v_add_co_u32 v3, vcc_lo, v16, v8
	s_delay_alu instid0(VALU_DEP_2) | instskip(SKIP_1) | instid1(VALU_DEP_1)
	v_add_co_ci_u32_e32 v10, vcc_lo, v17, v9, vcc_lo
	v_add_co_ci_u32_e32 v19, vcc_lo, 0, v19, vcc_lo
	v_add_nc_u64_e32 v[8:9], v[10:11], v[18:19]
	s_delay_alu instid0(VALU_DEP_1) | instskip(NEXT) | instid1(VALU_DEP_1)
	v_mul_u64_e32 v[10:11], s[6:7], v[8:9]
	v_sub_nc_u32_e32 v3, v14, v11
	s_delay_alu instid0(VALU_DEP_2) | instskip(NEXT) | instid1(VALU_DEP_1)
	v_sub_co_u32 v10, vcc_lo, v12, v10
	v_sub_co_ci_u32_e64 v14, null, v14, v11, vcc_lo
	s_delay_alu instid0(VALU_DEP_3) | instskip(NEXT) | instid1(VALU_DEP_3)
	v_subrev_co_ci_u32_e64 v3, null, s7, v3, vcc_lo
	v_sub_co_u32 v12, s2, v10, s6
	s_delay_alu instid0(VALU_DEP_1) | instskip(NEXT) | instid1(VALU_DEP_2)
	v_subrev_co_ci_u32_e64 v3, null, 0, v3, s2
	v_cmp_le_u32_e32 vcc_lo, s6, v12
	v_cndmask_b32_e64 v11, 0, -1, vcc_lo
	s_delay_alu instid0(VALU_DEP_3)
	v_cmp_le_u32_e32 vcc_lo, s7, v3
	v_cndmask_b32_e64 v12, 0, -1, vcc_lo
	v_cmp_le_u32_e32 vcc_lo, s6, v10
	v_cndmask_b32_e64 v15, 0, -1, vcc_lo
	;; [unrolled: 2-line block ×3, first 2 shown]
	v_cmp_eq_u32_e32 vcc_lo, s7, v3
	v_cndmask_b32_e32 v3, v12, v11, vcc_lo
	v_cmp_eq_u32_e32 vcc_lo, s7, v14
	v_add_nc_u64_e32 v[10:11], 2, v[8:9]
	v_add_nc_u64_e32 v[12:13], 1, v[8:9]
	v_cndmask_b32_e32 v14, v16, v15, vcc_lo
	v_cmp_ne_u32_e32 vcc_lo, 0, v3
	s_delay_alu instid0(VALU_DEP_2) | instskip(NEXT) | instid1(VALU_DEP_4)
	v_cmp_ne_u32_e64 s2, 0, v14
	v_dual_cndmask_b32 v10, v12, v10 :: v_dual_cndmask_b32 v3, v13, v11
	s_delay_alu instid0(VALU_DEP_1) | instskip(NEXT) | instid1(VALU_DEP_1)
	v_dual_cndmask_b32 v8, v8, v10, s2 :: v_dual_cndmask_b32 v9, v9, v3, s2
	v_dual_mov_b32 v3, v2 :: v_dual_bitop2_b32 v8, v8, v2 bitop3:0x14
	s_delay_alu instid0(VALU_DEP_2) | instskip(NEXT) | instid1(VALU_DEP_1)
	v_xor_b32_e32 v9, v9, v2
	v_sub_nc_u64_e32 v[8:9], v[8:9], v[2:3]
.LBB61_11:
	s_or_saveexec_b32 s31, s3
	s_clause 0x2
	s_load_b64 s[2:3], s[0:1], 0x58
	s_load_b64 s[44:45], s[0:1], 0x0
	s_load_b512 s[4:19], s[0:1], 0x18
	s_xor_b32 exec_lo, exec_lo, s31
	s_cbranch_execz .LBB61_13
; %bb.12:
	v_cvt_f32_u32_e32 v2, s30
	s_sub_co_i32 s36, 0, s30
	s_delay_alu instid0(VALU_DEP_1) | instskip(SKIP_1) | instid1(TRANS32_DEP_1)
	v_rcp_iflag_f32_e32 v2, v2
	v_nop
	v_mul_f32_e32 v2, 0x4f7ffffe, v2
	s_delay_alu instid0(VALU_DEP_1) | instskip(NEXT) | instid1(VALU_DEP_1)
	v_cvt_u32_f32_e32 v2, v2
	v_mul_lo_u32 v3, s36, v2
	s_delay_alu instid0(VALU_DEP_1) | instskip(NEXT) | instid1(VALU_DEP_1)
	v_mul_hi_u32 v3, v2, v3
	v_add_nc_u32_e32 v2, v2, v3
	s_delay_alu instid0(VALU_DEP_1) | instskip(NEXT) | instid1(VALU_DEP_1)
	v_mul_hi_u32 v2, v0, v2
	v_mul_lo_u32 v3, v2, s30
	s_delay_alu instid0(VALU_DEP_1) | instskip(NEXT) | instid1(VALU_DEP_1)
	v_dual_add_nc_u32 v8, 1, v2 :: v_dual_sub_nc_u32 v3, v0, v3
	v_subrev_nc_u32_e32 v9, s30, v3
	v_cmp_le_u32_e32 vcc_lo, s30, v3
	s_delay_alu instid0(VALU_DEP_2) | instskip(NEXT) | instid1(VALU_DEP_4)
	v_dual_cndmask_b32 v3, v3, v9, vcc_lo :: v_dual_mov_b32 v9, 0
	v_cndmask_b32_e32 v2, v2, v8, vcc_lo
	s_delay_alu instid0(VALU_DEP_2) | instskip(NEXT) | instid1(VALU_DEP_2)
	v_cmp_le_u32_e32 vcc_lo, s30, v3
	v_add_nc_u32_e32 v8, 1, v2
	s_delay_alu instid0(VALU_DEP_1)
	v_cndmask_b32_e32 v8, v2, v8, vcc_lo
.LBB61_13:
	s_or_b32 exec_lo, exec_lo, s31
	v_mul_u64_e32 v[2:3], s[28:29], v[4:5]
	s_load_b256 s[36:43], s[0:1], 0xb0
	s_wait_kmcnt 0x0
	v_max_i64 v[10:11], s[40:41], 0
	s_add_nc_u64 s[50:51], s[40:41], s[4:5]
	v_max_i64 v[14:15], s[38:39], 0
	v_sub_nc_u64_e64 v[16:17], v[8:9], s[50:51]
	s_add_nc_u64 s[48:49], s[38:39], s[6:7]
	s_sub_nc_u64 s[46:47], 0, s[40:41]
	v_sub_nc_u64_e64 v[12:13], v[6:7], s[48:49]
	v_max_i64 v[4:5], s[36:37], 0
	s_add_nc_u64 s[48:49], s[36:37], s[8:9]
	s_sub_nc_u64 s[30:31], 0, s[38:39]
	v_add_nc_u64_e32 v[22:23], 1, v[16:17]
	v_sub_nc_u64_e32 v[0:1], v[0:1], v[2:3]
	v_max_i64 v[2:3], s[46:47], 0
	v_not_b32_e32 v17, v17
	v_not_b32_e32 v16, v16
	v_add_nc_u64_e32 v[20:21], 1, v[12:13]
	v_not_b32_e32 v13, v13
	v_not_b32_e32 v12, v12
	v_sub_nc_u64_e64 v[24:25], v[0:1], s[48:49]
	v_max_i64 v[28:29], s[30:31], 0
	v_sub_nc_u64_e64 v[26:27], v[8:9], s[40:41]
	v_max_i64 v[16:17], v[22:23], v[16:17]
	s_sub_nc_u64 s[28:29], 0, s[36:37]
	v_max_i64 v[12:13], v[20:21], v[12:13]
	v_max_i64 v[22:23], s[28:29], 0
	v_add_nc_u64_e32 v[20:21], 1, v[24:25]
	v_sub_nc_u64_e64 v[18:19], v[6:7], s[38:39]
	v_not_b32_e32 v25, v25
	v_not_b32_e32 v24, v24
	v_sub_nc_u64_e32 v[30:31], 0, v[26:27]
	v_sub_nc_u64_e64 v[32:33], v[0:1], s[36:37]
	s_lshl_b64 s[30:31], s[40:41], 1
	v_not_b32_e32 v10, v10
	v_max_i64 v[20:21], v[20:21], v[24:25]
	v_sub_nc_u64_e32 v[24:25], 0, v[18:19]
	v_not_b32_e32 v11, v11
	v_max_i64 v[26:27], v[26:27], v[30:31]
	v_sub_nc_u64_e32 v[30:31], 0, v[32:33]
	v_not_b32_e32 v14, v14
	v_not_b32_e32 v15, v15
	v_add_nc_u64_e32 v[10:11], s[30:31], v[10:11]
	v_max_i64 v[18:19], v[18:19], v[24:25]
	s_lshl_b64 s[28:29], s[38:39], 1
	v_not_b32_e32 v4, v4
	v_not_b32_e32 v5, v5
	v_add_nc_u64_e32 v[14:15], s[28:29], v[14:15]
	v_max_i64 v[24:25], v[32:33], v[30:31]
	v_add_nc_u64_e32 v[2:3], v[10:11], v[2:3]
	s_lshl_b64 s[28:29], s[36:37], 1
	s_load_b64 s[0:1], s[0:1], 0xd0
	v_add_nc_u64_e32 v[4:5], s[28:29], v[4:5]
	s_delay_alu instid0(VALU_DEP_4) | instskip(SKIP_1) | instid1(VALU_DEP_4)
	v_add_nc_u64_e32 v[10:11], v[14:15], v[28:29]
	v_add_nc_u64_e32 v[14:15], v[8:9], v[16:17]
	;; [unrolled: 1-line block ×4, first 2 shown]
	s_bfe_u32 s4, ttmp6, 0x40014
	v_add_nc_u64_e32 v[4:5], v[4:5], v[22:23]
	s_bfe_u32 s5, ttmp6, 0x40010
	v_add_nc_u64_e32 v[10:11], s[6:7], v[10:11]
	s_lshr_b32 s6, ttmp7, 16
	v_sub_nc_u64_e32 v[2:3], v[2:3], v[14:15]
	s_add_co_i32 s4, s4, 1
	s_add_co_i32 s5, s5, 1
	v_add_nc_u64_e32 v[4:5], s[8:9], v[4:5]
	v_add_nc_u64_e32 v[14:15], v[0:1], v[20:21]
	v_sub_nc_u64_e32 v[10:11], v[10:11], v[12:13]
	s_and_b32 s8, ttmp7, 0xffff
	v_add_nc_u64_e32 v[2:3], v[2:3], v[26:27]
	s_mul_i32 s4, s6, s4
	s_bfe_u32 s7, ttmp6, 0x40008
	s_mul_i32 s5, s8, s5
	v_sub_nc_u64_e32 v[4:5], v[4:5], v[14:15]
	v_add_nc_u64_e32 v[10:11], v[10:11], v[18:19]
	s_bfe_u32 s9, ttmp6, 0x40004
	v_mul_u64_e32 v[2:3], s[14:15], v[2:3]
	s_add_co_i32 s7, s7, s4
	s_add_co_i32 s9, s9, s5
	s_cmp_eq_u32 s33, 0
	v_add_nc_u64_e32 v[4:5], v[4:5], v[24:25]
	v_mul_u64_e32 v[10:11], s[16:17], v[10:11]
	s_mov_b32 s5, 0
	s_cselect_b32 s6, s6, s7
	s_mov_b32 s7, s5
	s_cselect_b32 s4, s8, s9
	s_wait_kmcnt 0x0
	s_add_nc_u64 s[0:1], s[0:1], s[6:7]
	v_mul_u64_e32 v[4:5], s[18:19], v[4:5]
	s_mul_u64 s[6:7], s[10:11], s[0:1]
	s_add_nc_u64 s[4:5], s[42:43], s[4:5]
	s_lshl_b64 s[6:7], s[6:7], 1
	s_mul_u64 s[8:9], s[12:13], s[4:5]
	s_add_nc_u64 s[6:7], s[44:45], s[6:7]
	s_lshl_b64 s[8:9], s[8:9], 1
	v_mul_u64_e32 v[0:1], s[34:35], v[0:1]
	s_add_nc_u64 s[6:7], s[6:7], s[8:9]
	s_mul_u64 s[0:1], s[20:21], s[0:1]
	s_mul_u64 s[4:5], s[22:23], s[4:5]
	s_lshl_b64 s[0:1], s[0:1], 1
	s_delay_alu instid0(SALU_CYCLE_1) | instskip(SKIP_1) | instid1(SALU_CYCLE_1)
	s_add_nc_u64 s[0:1], s[2:3], s[0:1]
	s_lshl_b64 s[2:3], s[4:5], 1
	s_add_nc_u64 s[0:1], s[0:1], s[2:3]
	v_lshl_add_u64 v[2:3], v[2:3], 1, s[6:7]
	s_delay_alu instid0(VALU_DEP_1) | instskip(NEXT) | instid1(VALU_DEP_1)
	v_lshl_add_u64 v[2:3], v[10:11], 1, v[2:3]
	v_lshl_add_u64 v[2:3], v[4:5], 1, v[2:3]
	v_mul_u64_e32 v[4:5], s[26:27], v[6:7]
	global_load_u16 v10, v[2:3], off
	s_wait_xcnt 0x0
	v_mul_u64_e32 v[2:3], s[24:25], v[8:9]
	s_delay_alu instid0(VALU_DEP_1) | instskip(NEXT) | instid1(VALU_DEP_1)
	v_lshl_add_u64 v[2:3], v[2:3], 1, s[0:1]
	v_lshl_add_u64 v[2:3], v[4:5], 1, v[2:3]
	s_delay_alu instid0(VALU_DEP_1)
	v_lshl_add_u64 v[0:1], v[0:1], 1, v[2:3]
	s_wait_loadcnt 0x0
	global_store_b16 v[0:1], v10, off
.LBB61_14:
	s_endpgm
	.section	.rodata,"a",@progbits
	.p2align	6, 0x0
	.amdhsa_kernel _ZN2at6native12_GLOBAL__N_127reflection_pad3d_out_kernelIsEEvN5torch10headeronly6detail27GenericPackedTensorAccessorINS5_14TensorAccessorIN3c108ArrayRefIlEEKT_Lm4ENS4_16DefaultPtrTraitsElEENS_6detail16IndexBoundsCheckILm5ElEESC_Lm5ESD_lEENS6_INS7_ISA_SB_Lm4ESD_lEESH_SB_Lm5ESD_lEElllll
		.amdhsa_group_segment_fixed_size 0
		.amdhsa_private_segment_fixed_size 0
		.amdhsa_kernarg_size 472
		.amdhsa_user_sgpr_count 2
		.amdhsa_user_sgpr_dispatch_ptr 0
		.amdhsa_user_sgpr_queue_ptr 0
		.amdhsa_user_sgpr_kernarg_segment_ptr 1
		.amdhsa_user_sgpr_dispatch_id 0
		.amdhsa_user_sgpr_kernarg_preload_length 0
		.amdhsa_user_sgpr_kernarg_preload_offset 0
		.amdhsa_user_sgpr_private_segment_size 0
		.amdhsa_wavefront_size32 1
		.amdhsa_uses_dynamic_stack 0
		.amdhsa_enable_private_segment 0
		.amdhsa_system_sgpr_workgroup_id_x 1
		.amdhsa_system_sgpr_workgroup_id_y 1
		.amdhsa_system_sgpr_workgroup_id_z 1
		.amdhsa_system_sgpr_workgroup_info 0
		.amdhsa_system_vgpr_workitem_id 0
		.amdhsa_next_free_vgpr 34
		.amdhsa_next_free_sgpr 52
		.amdhsa_named_barrier_count 0
		.amdhsa_reserve_vcc 1
		.amdhsa_float_round_mode_32 0
		.amdhsa_float_round_mode_16_64 0
		.amdhsa_float_denorm_mode_32 3
		.amdhsa_float_denorm_mode_16_64 3
		.amdhsa_fp16_overflow 0
		.amdhsa_memory_ordered 1
		.amdhsa_forward_progress 1
		.amdhsa_inst_pref_size 25
		.amdhsa_round_robin_scheduling 0
		.amdhsa_exception_fp_ieee_invalid_op 0
		.amdhsa_exception_fp_denorm_src 0
		.amdhsa_exception_fp_ieee_div_zero 0
		.amdhsa_exception_fp_ieee_overflow 0
		.amdhsa_exception_fp_ieee_underflow 0
		.amdhsa_exception_fp_ieee_inexact 0
		.amdhsa_exception_int_div_zero 0
	.end_amdhsa_kernel
	.section	.text._ZN2at6native12_GLOBAL__N_127reflection_pad3d_out_kernelIsEEvN5torch10headeronly6detail27GenericPackedTensorAccessorINS5_14TensorAccessorIN3c108ArrayRefIlEEKT_Lm4ENS4_16DefaultPtrTraitsElEENS_6detail16IndexBoundsCheckILm5ElEESC_Lm5ESD_lEENS6_INS7_ISA_SB_Lm4ESD_lEESH_SB_Lm5ESD_lEElllll,"axG",@progbits,_ZN2at6native12_GLOBAL__N_127reflection_pad3d_out_kernelIsEEvN5torch10headeronly6detail27GenericPackedTensorAccessorINS5_14TensorAccessorIN3c108ArrayRefIlEEKT_Lm4ENS4_16DefaultPtrTraitsElEENS_6detail16IndexBoundsCheckILm5ElEESC_Lm5ESD_lEENS6_INS7_ISA_SB_Lm4ESD_lEESH_SB_Lm5ESD_lEElllll,comdat
.Lfunc_end61:
	.size	_ZN2at6native12_GLOBAL__N_127reflection_pad3d_out_kernelIsEEvN5torch10headeronly6detail27GenericPackedTensorAccessorINS5_14TensorAccessorIN3c108ArrayRefIlEEKT_Lm4ENS4_16DefaultPtrTraitsElEENS_6detail16IndexBoundsCheckILm5ElEESC_Lm5ESD_lEENS6_INS7_ISA_SB_Lm4ESD_lEESH_SB_Lm5ESD_lEElllll, .Lfunc_end61-_ZN2at6native12_GLOBAL__N_127reflection_pad3d_out_kernelIsEEvN5torch10headeronly6detail27GenericPackedTensorAccessorINS5_14TensorAccessorIN3c108ArrayRefIlEEKT_Lm4ENS4_16DefaultPtrTraitsElEENS_6detail16IndexBoundsCheckILm5ElEESC_Lm5ESD_lEENS6_INS7_ISA_SB_Lm4ESD_lEESH_SB_Lm5ESD_lEElllll
                                        ; -- End function
	.set _ZN2at6native12_GLOBAL__N_127reflection_pad3d_out_kernelIsEEvN5torch10headeronly6detail27GenericPackedTensorAccessorINS5_14TensorAccessorIN3c108ArrayRefIlEEKT_Lm4ENS4_16DefaultPtrTraitsElEENS_6detail16IndexBoundsCheckILm5ElEESC_Lm5ESD_lEENS6_INS7_ISA_SB_Lm4ESD_lEESH_SB_Lm5ESD_lEElllll.num_vgpr, 34
	.set _ZN2at6native12_GLOBAL__N_127reflection_pad3d_out_kernelIsEEvN5torch10headeronly6detail27GenericPackedTensorAccessorINS5_14TensorAccessorIN3c108ArrayRefIlEEKT_Lm4ENS4_16DefaultPtrTraitsElEENS_6detail16IndexBoundsCheckILm5ElEESC_Lm5ESD_lEENS6_INS7_ISA_SB_Lm4ESD_lEESH_SB_Lm5ESD_lEElllll.num_agpr, 0
	.set _ZN2at6native12_GLOBAL__N_127reflection_pad3d_out_kernelIsEEvN5torch10headeronly6detail27GenericPackedTensorAccessorINS5_14TensorAccessorIN3c108ArrayRefIlEEKT_Lm4ENS4_16DefaultPtrTraitsElEENS_6detail16IndexBoundsCheckILm5ElEESC_Lm5ESD_lEENS6_INS7_ISA_SB_Lm4ESD_lEESH_SB_Lm5ESD_lEElllll.numbered_sgpr, 52
	.set _ZN2at6native12_GLOBAL__N_127reflection_pad3d_out_kernelIsEEvN5torch10headeronly6detail27GenericPackedTensorAccessorINS5_14TensorAccessorIN3c108ArrayRefIlEEKT_Lm4ENS4_16DefaultPtrTraitsElEENS_6detail16IndexBoundsCheckILm5ElEESC_Lm5ESD_lEENS6_INS7_ISA_SB_Lm4ESD_lEESH_SB_Lm5ESD_lEElllll.num_named_barrier, 0
	.set _ZN2at6native12_GLOBAL__N_127reflection_pad3d_out_kernelIsEEvN5torch10headeronly6detail27GenericPackedTensorAccessorINS5_14TensorAccessorIN3c108ArrayRefIlEEKT_Lm4ENS4_16DefaultPtrTraitsElEENS_6detail16IndexBoundsCheckILm5ElEESC_Lm5ESD_lEENS6_INS7_ISA_SB_Lm4ESD_lEESH_SB_Lm5ESD_lEElllll.private_seg_size, 0
	.set _ZN2at6native12_GLOBAL__N_127reflection_pad3d_out_kernelIsEEvN5torch10headeronly6detail27GenericPackedTensorAccessorINS5_14TensorAccessorIN3c108ArrayRefIlEEKT_Lm4ENS4_16DefaultPtrTraitsElEENS_6detail16IndexBoundsCheckILm5ElEESC_Lm5ESD_lEENS6_INS7_ISA_SB_Lm4ESD_lEESH_SB_Lm5ESD_lEElllll.uses_vcc, 1
	.set _ZN2at6native12_GLOBAL__N_127reflection_pad3d_out_kernelIsEEvN5torch10headeronly6detail27GenericPackedTensorAccessorINS5_14TensorAccessorIN3c108ArrayRefIlEEKT_Lm4ENS4_16DefaultPtrTraitsElEENS_6detail16IndexBoundsCheckILm5ElEESC_Lm5ESD_lEENS6_INS7_ISA_SB_Lm4ESD_lEESH_SB_Lm5ESD_lEElllll.uses_flat_scratch, 0
	.set _ZN2at6native12_GLOBAL__N_127reflection_pad3d_out_kernelIsEEvN5torch10headeronly6detail27GenericPackedTensorAccessorINS5_14TensorAccessorIN3c108ArrayRefIlEEKT_Lm4ENS4_16DefaultPtrTraitsElEENS_6detail16IndexBoundsCheckILm5ElEESC_Lm5ESD_lEENS6_INS7_ISA_SB_Lm4ESD_lEESH_SB_Lm5ESD_lEElllll.has_dyn_sized_stack, 0
	.set _ZN2at6native12_GLOBAL__N_127reflection_pad3d_out_kernelIsEEvN5torch10headeronly6detail27GenericPackedTensorAccessorINS5_14TensorAccessorIN3c108ArrayRefIlEEKT_Lm4ENS4_16DefaultPtrTraitsElEENS_6detail16IndexBoundsCheckILm5ElEESC_Lm5ESD_lEENS6_INS7_ISA_SB_Lm4ESD_lEESH_SB_Lm5ESD_lEElllll.has_recursion, 0
	.set _ZN2at6native12_GLOBAL__N_127reflection_pad3d_out_kernelIsEEvN5torch10headeronly6detail27GenericPackedTensorAccessorINS5_14TensorAccessorIN3c108ArrayRefIlEEKT_Lm4ENS4_16DefaultPtrTraitsElEENS_6detail16IndexBoundsCheckILm5ElEESC_Lm5ESD_lEENS6_INS7_ISA_SB_Lm4ESD_lEESH_SB_Lm5ESD_lEElllll.has_indirect_call, 0
	.section	.AMDGPU.csdata,"",@progbits
; Kernel info:
; codeLenInByte = 3080
; TotalNumSgprs: 54
; NumVgprs: 34
; ScratchSize: 0
; MemoryBound: 0
; FloatMode: 240
; IeeeMode: 1
; LDSByteSize: 0 bytes/workgroup (compile time only)
; SGPRBlocks: 0
; VGPRBlocks: 2
; NumSGPRsForWavesPerEU: 54
; NumVGPRsForWavesPerEU: 34
; NamedBarCnt: 0
; Occupancy: 16
; WaveLimiterHint : 0
; COMPUTE_PGM_RSRC2:SCRATCH_EN: 0
; COMPUTE_PGM_RSRC2:USER_SGPR: 2
; COMPUTE_PGM_RSRC2:TRAP_HANDLER: 0
; COMPUTE_PGM_RSRC2:TGID_X_EN: 1
; COMPUTE_PGM_RSRC2:TGID_Y_EN: 1
; COMPUTE_PGM_RSRC2:TGID_Z_EN: 1
; COMPUTE_PGM_RSRC2:TIDIG_COMP_CNT: 0
	.section	.text._ZN2at6native12_GLOBAL__N_127reflection_pad3d_out_kernelIdEEvN5torch10headeronly6detail27GenericPackedTensorAccessorINS5_14TensorAccessorIN3c108ArrayRefIlEEKT_Lm4ENS4_16DefaultPtrTraitsElEENS_6detail16IndexBoundsCheckILm5ElEESC_Lm5ESD_lEENS6_INS7_ISA_SB_Lm4ESD_lEESH_SB_Lm5ESD_lEElllll,"axG",@progbits,_ZN2at6native12_GLOBAL__N_127reflection_pad3d_out_kernelIdEEvN5torch10headeronly6detail27GenericPackedTensorAccessorINS5_14TensorAccessorIN3c108ArrayRefIlEEKT_Lm4ENS4_16DefaultPtrTraitsElEENS_6detail16IndexBoundsCheckILm5ElEESC_Lm5ESD_lEENS6_INS7_ISA_SB_Lm4ESD_lEESH_SB_Lm5ESD_lEElllll,comdat
	.globl	_ZN2at6native12_GLOBAL__N_127reflection_pad3d_out_kernelIdEEvN5torch10headeronly6detail27GenericPackedTensorAccessorINS5_14TensorAccessorIN3c108ArrayRefIlEEKT_Lm4ENS4_16DefaultPtrTraitsElEENS_6detail16IndexBoundsCheckILm5ElEESC_Lm5ESD_lEENS6_INS7_ISA_SB_Lm4ESD_lEESH_SB_Lm5ESD_lEElllll ; -- Begin function _ZN2at6native12_GLOBAL__N_127reflection_pad3d_out_kernelIdEEvN5torch10headeronly6detail27GenericPackedTensorAccessorINS5_14TensorAccessorIN3c108ArrayRefIlEEKT_Lm4ENS4_16DefaultPtrTraitsElEENS_6detail16IndexBoundsCheckILm5ElEESC_Lm5ESD_lEENS6_INS7_ISA_SB_Lm4ESD_lEESH_SB_Lm5ESD_lEElllll
	.p2align	8
	.type	_ZN2at6native12_GLOBAL__N_127reflection_pad3d_out_kernelIdEEvN5torch10headeronly6detail27GenericPackedTensorAccessorINS5_14TensorAccessorIN3c108ArrayRefIlEEKT_Lm4ENS4_16DefaultPtrTraitsElEENS_6detail16IndexBoundsCheckILm5ElEESC_Lm5ESD_lEENS6_INS7_ISA_SB_Lm4ESD_lEESH_SB_Lm5ESD_lEElllll,@function
_ZN2at6native12_GLOBAL__N_127reflection_pad3d_out_kernelIdEEvN5torch10headeronly6detail27GenericPackedTensorAccessorINS5_14TensorAccessorIN3c108ArrayRefIlEEKT_Lm4ENS4_16DefaultPtrTraitsElEENS_6detail16IndexBoundsCheckILm5ElEESC_Lm5ESD_lEENS6_INS7_ISA_SB_Lm4ESD_lEESH_SB_Lm5ESD_lEElllll: ; @_ZN2at6native12_GLOBAL__N_127reflection_pad3d_out_kernelIdEEvN5torch10headeronly6detail27GenericPackedTensorAccessorINS5_14TensorAccessorIN3c108ArrayRefIlEEKT_Lm4ENS4_16DefaultPtrTraitsElEENS_6detail16IndexBoundsCheckILm5ElEESC_Lm5ESD_lEENS6_INS7_ISA_SB_Lm4ESD_lEESH_SB_Lm5ESD_lEElllll
; %bb.0:
	s_clause 0x2
	s_load_b32 s2, s[0:1], 0xe4
	s_load_b128 s[4:7], s[0:1], 0x70
	s_load_b64 s[28:29], s[0:1], 0x80
	s_bfe_u32 s3, ttmp6, 0x4000c
	v_mov_b32_e32 v2, 0
	s_add_co_i32 s3, s3, 1
	s_and_b32 s8, ttmp6, 15
	s_mul_i32 s3, ttmp9, s3
	s_getreg_b32 s33, hwreg(HW_REG_IB_STS2, 6, 4)
	v_mov_b32_e32 v1, v2
	s_add_co_i32 s8, s8, s3
	s_wait_kmcnt 0x0
	s_and_b32 s2, s2, 0xffff
	s_cmp_eq_u32 s33, 0
	s_mul_u64 s[30:31], s[28:29], s[6:7]
	s_cselect_b32 s3, ttmp9, s8
	s_delay_alu instid0(SALU_CYCLE_1)
	v_mad_nc_u64_u32 v[0:1], s2, s3, v[0:1]
	s_mul_u64 s[2:3], s[30:31], s[4:5]
	s_delay_alu instid0(VALU_DEP_1) | instid1(SALU_CYCLE_1)
	v_cmp_gt_i64_e32 vcc_lo, s[2:3], v[0:1]
	s_and_saveexec_b32 s2, vcc_lo
	s_cbranch_execz .LBB62_14
; %bb.1:
	v_or_b32_e32 v3, s29, v1
                                        ; implicit-def: $vgpr4_vgpr5
	s_delay_alu instid0(VALU_DEP_1) | instskip(SKIP_2) | instid1(SALU_CYCLE_1)
	v_cmp_ne_u64_e32 vcc_lo, 0, v[2:3]
	v_ashrrev_i32_e32 v2, 31, v1
	s_and_saveexec_b32 s2, vcc_lo
	s_xor_b32 s3, exec_lo, s2
	s_cbranch_execz .LBB62_3
; %bb.2:
	s_ashr_i32 s4, s29, 31
	s_mov_b32 s17, 0
	s_mov_b32 s5, s4
	v_dual_mov_b32 v3, v2 :: v_dual_mov_b32 v7, 0
	s_add_nc_u64 s[8:9], s[28:29], s[4:5]
	s_delay_alu instid0(SALU_CYCLE_1) | instskip(NEXT) | instid1(VALU_DEP_1)
	s_xor_b64 s[8:9], s[8:9], s[4:5]
	v_add_nc_u64_e32 v[4:5], v[0:1], v[2:3]
	s_cvt_f32_u32 s2, s8
	s_cvt_f32_u32 s5, s9
	s_sub_nc_u64 s[12:13], 0, s[8:9]
	v_dual_mov_b32 v9, v7 :: v_dual_mov_b32 v15, v7
	s_delay_alu instid0(SALU_CYCLE_1) | instskip(NEXT) | instid1(VALU_DEP_2)
	s_fmamk_f32 s2, s5, 0x4f800000, s2
	v_xor_b32_e32 v6, v4, v2
	v_xor_b32_e32 v8, v5, v2
	s_delay_alu instid0(SALU_CYCLE_1) | instskip(NEXT) | instid1(TRANS32_DEP_1)
	v_s_rcp_f32 s2, s2
	s_mul_f32 s2, s2, 0x5f7ffffc
	s_delay_alu instid0(SALU_CYCLE_3) | instskip(NEXT) | instid1(SALU_CYCLE_3)
	s_mul_f32 s5, s2, 0x2f800000
	s_trunc_f32 s5, s5
	s_delay_alu instid0(SALU_CYCLE_3) | instskip(SKIP_1) | instid1(SALU_CYCLE_2)
	s_fmamk_f32 s2, s5, 0xcf800000, s2
	s_cvt_u32_f32 s11, s5
	s_cvt_u32_f32 s10, s2
	s_delay_alu instid0(SALU_CYCLE_3) | instskip(NEXT) | instid1(SALU_CYCLE_1)
	s_mul_u64 s[14:15], s[12:13], s[10:11]
	s_mul_hi_u32 s19, s10, s15
	s_mul_i32 s18, s10, s15
	s_mul_hi_u32 s16, s10, s14
	s_mul_i32 s5, s11, s14
	s_add_nc_u64 s[18:19], s[16:17], s[18:19]
	s_mul_hi_u32 s2, s11, s14
	s_mul_hi_u32 s20, s11, s15
	s_add_co_u32 s5, s18, s5
	s_add_co_ci_u32 s16, s19, s2
	s_mul_i32 s14, s11, s15
	s_add_co_ci_u32 s15, s20, 0
	s_delay_alu instid0(SALU_CYCLE_1) | instskip(NEXT) | instid1(SALU_CYCLE_1)
	s_add_nc_u64 s[14:15], s[16:17], s[14:15]
	s_add_co_u32 s10, s10, s14
	s_cselect_b32 s2, -1, 0
	s_delay_alu instid0(SALU_CYCLE_1) | instskip(SKIP_1) | instid1(SALU_CYCLE_1)
	s_cmp_lg_u32 s2, 0
	s_add_co_ci_u32 s11, s11, s15
	s_mul_u64 s[12:13], s[12:13], s[10:11]
	s_delay_alu instid0(SALU_CYCLE_1)
	s_mul_hi_u32 s15, s10, s13
	s_mul_i32 s14, s10, s13
	s_mul_hi_u32 s16, s10, s12
	s_mul_i32 s5, s11, s12
	s_add_nc_u64 s[14:15], s[16:17], s[14:15]
	s_mul_hi_u32 s2, s11, s12
	s_mul_hi_u32 s18, s11, s13
	s_add_co_u32 s5, s14, s5
	s_add_co_ci_u32 s16, s15, s2
	s_mul_i32 s12, s11, s13
	s_add_co_ci_u32 s13, s18, 0
	s_delay_alu instid0(SALU_CYCLE_1) | instskip(NEXT) | instid1(SALU_CYCLE_1)
	s_add_nc_u64 s[12:13], s[16:17], s[12:13]
	s_add_co_u32 s2, s10, s12
	s_cselect_b32 s5, -1, 0
	v_nop
	v_mul_hi_u32 v14, v6, s2
	s_cmp_lg_u32 s5, 0
	s_add_co_ci_u32 s16, s11, s13
	s_mov_b64 s[10:11], 0xffffffff
	v_mul_u64_e32 v[10:11], s[16:17], v[6:7]
	s_and_b64 s[10:11], s[2:3], s[10:11]
	v_mul_u64_e32 v[12:13], s[16:17], v[8:9]
	v_mul_u64_e32 v[4:5], s[10:11], v[8:9]
	s_delay_alu instid0(VALU_DEP_3) | instskip(NEXT) | instid1(VALU_DEP_1)
	v_add_nc_u64_e32 v[10:11], v[14:15], v[10:11]
	v_add_co_u32 v3, vcc_lo, v10, v4
	s_delay_alu instid0(VALU_DEP_2) | instskip(SKIP_1) | instid1(VALU_DEP_1)
	v_add_co_ci_u32_e32 v14, vcc_lo, v11, v5, vcc_lo
	v_add_co_ci_u32_e32 v13, vcc_lo, 0, v13, vcc_lo
	v_add_nc_u64_e32 v[4:5], v[14:15], v[12:13]
	s_delay_alu instid0(VALU_DEP_1) | instskip(NEXT) | instid1(VALU_DEP_1)
	v_mul_u64_e32 v[10:11], s[8:9], v[4:5]
	v_sub_nc_u32_e32 v3, v8, v11
	s_delay_alu instid0(VALU_DEP_2) | instskip(NEXT) | instid1(VALU_DEP_1)
	v_sub_co_u32 v6, vcc_lo, v6, v10
	v_sub_co_ci_u32_e64 v10, null, v8, v11, vcc_lo
	s_delay_alu instid0(VALU_DEP_3) | instskip(NEXT) | instid1(VALU_DEP_3)
	v_subrev_co_ci_u32_e64 v3, null, s9, v3, vcc_lo
	v_sub_co_u32 v7, s2, v6, s8
	s_delay_alu instid0(VALU_DEP_1) | instskip(NEXT) | instid1(VALU_DEP_2)
	v_subrev_co_ci_u32_e64 v3, null, 0, v3, s2
	v_cmp_le_u32_e32 vcc_lo, s8, v7
	v_cndmask_b32_e64 v7, 0, -1, vcc_lo
	s_delay_alu instid0(VALU_DEP_3)
	v_cmp_le_u32_e32 vcc_lo, s9, v3
	v_cndmask_b32_e64 v8, 0, -1, vcc_lo
	v_cmp_le_u32_e32 vcc_lo, s8, v6
	v_cndmask_b32_e64 v11, 0, -1, vcc_lo
	v_cmp_le_u32_e32 vcc_lo, s9, v10
	v_cndmask_b32_e64 v12, 0, -1, vcc_lo
	v_cmp_eq_u32_e32 vcc_lo, s9, v3
	v_cndmask_b32_e32 v3, v8, v7, vcc_lo
	v_cmp_eq_u32_e32 vcc_lo, s9, v10
	v_add_nc_u64_e32 v[6:7], 2, v[4:5]
	v_add_nc_u64_e32 v[8:9], 1, v[4:5]
	v_cndmask_b32_e32 v10, v12, v11, vcc_lo
	v_cmp_ne_u32_e32 vcc_lo, 0, v3
	s_delay_alu instid0(VALU_DEP_2) | instskip(NEXT) | instid1(VALU_DEP_4)
	v_cmp_ne_u32_e64 s2, 0, v10
	v_dual_cndmask_b32 v3, v9, v7, vcc_lo :: v_dual_cndmask_b32 v7, v8, v6, vcc_lo
	s_delay_alu instid0(VALU_DEP_1) | instskip(NEXT) | instid1(VALU_DEP_1)
	v_dual_cndmask_b32 v4, v4, v7, s2 :: v_dual_bitop2_b32 v6, s4, v2 bitop3:0x14
	v_dual_cndmask_b32 v3, v5, v3, s2 :: v_dual_mov_b32 v7, v6
	s_delay_alu instid0(VALU_DEP_2) | instskip(NEXT) | instid1(VALU_DEP_2)
	v_xor_b32_e32 v4, v4, v6
	v_xor_b32_e32 v5, v3, v6
	s_delay_alu instid0(VALU_DEP_1)
	v_sub_nc_u64_e32 v[4:5], v[4:5], v[6:7]
.LBB62_3:
	s_and_not1_saveexec_b32 s2, s3
	s_cbranch_execz .LBB62_5
; %bb.4:
	v_cvt_f32_u32_e32 v3, s28
	s_sub_co_i32 s3, 0, s28
	s_delay_alu instid0(VALU_DEP_1) | instskip(SKIP_1) | instid1(TRANS32_DEP_1)
	v_rcp_iflag_f32_e32 v3, v3
	v_nop
	v_mul_f32_e32 v3, 0x4f7ffffe, v3
	s_delay_alu instid0(VALU_DEP_1) | instskip(NEXT) | instid1(VALU_DEP_1)
	v_cvt_u32_f32_e32 v3, v3
	v_mul_lo_u32 v4, s3, v3
	s_delay_alu instid0(VALU_DEP_1) | instskip(NEXT) | instid1(VALU_DEP_1)
	v_mul_hi_u32 v4, v3, v4
	v_add_nc_u32_e32 v3, v3, v4
	s_delay_alu instid0(VALU_DEP_1) | instskip(NEXT) | instid1(VALU_DEP_1)
	v_mul_hi_u32 v3, v0, v3
	v_mul_lo_u32 v4, v3, s28
	s_delay_alu instid0(VALU_DEP_1) | instskip(NEXT) | instid1(VALU_DEP_1)
	v_dual_add_nc_u32 v5, 1, v3 :: v_dual_sub_nc_u32 v4, v0, v4
	v_subrev_nc_u32_e32 v6, s28, v4
	v_cmp_le_u32_e32 vcc_lo, s28, v4
	s_delay_alu instid0(VALU_DEP_2) | instskip(NEXT) | instid1(VALU_DEP_1)
	v_dual_cndmask_b32 v4, v4, v6 :: v_dual_cndmask_b32 v3, v3, v5
	v_cmp_le_u32_e32 vcc_lo, s28, v4
	s_delay_alu instid0(VALU_DEP_2) | instskip(NEXT) | instid1(VALU_DEP_1)
	v_add_nc_u32_e32 v5, 1, v3
	v_dual_cndmask_b32 v4, v3, v5 :: v_dual_mov_b32 v5, 0
.LBB62_5:
	s_or_b32 exec_lo, exec_lo, s2
	s_delay_alu instid0(VALU_DEP_1) | instskip(SKIP_1) | instid1(VALU_DEP_1)
	v_dual_mov_b32 v8, 0 :: v_dual_bitop2_b32 v9, s7, v5 bitop3:0x54
                                        ; implicit-def: $vgpr6_vgpr7
	s_mov_b32 s2, exec_lo
	v_cmpx_ne_u64_e32 0, v[8:9]
	s_xor_b32 s3, exec_lo, s2
	s_cbranch_execz .LBB62_7
; %bb.6:
	s_ashr_i32 s4, s7, 31
	s_mov_b32 s15, 0
	s_mov_b32 s5, s4
	v_dual_mov_b32 v13, v8 :: v_dual_ashrrev_i32 v6, 31, v5
	s_add_nc_u64 s[8:9], s[6:7], s[4:5]
	v_mov_b32_e32 v15, v8
	s_xor_b64 s[4:5], s[8:9], s[4:5]
	s_delay_alu instid0(VALU_DEP_2)
	v_mov_b32_e32 v7, v6
	s_cvt_f32_u32 s2, s4
	s_cvt_f32_u32 s7, s5
	s_sub_nc_u64 s[10:11], 0, s[4:5]
	v_mov_b32_e32 v21, v8
	v_add_nc_u64_e32 v[10:11], v[4:5], v[6:7]
	s_fmamk_f32 s2, s7, 0x4f800000, s2
	v_mov_b32_e32 v9, v8
	s_delay_alu instid0(SALU_CYCLE_2) | instskip(NEXT) | instid1(VALU_DEP_2)
	v_s_rcp_f32 s2, s2
	v_xor_b32_e32 v12, v10, v6
	s_delay_alu instid0(VALU_DEP_3) | instskip(NEXT) | instid1(TRANS32_DEP_1)
	v_xor_b32_e32 v14, v11, v6
	s_mul_f32 s2, s2, 0x5f7ffffc
	s_delay_alu instid0(SALU_CYCLE_3) | instskip(NEXT) | instid1(SALU_CYCLE_3)
	s_mul_f32 s7, s2, 0x2f800000
	s_trunc_f32 s7, s7
	s_delay_alu instid0(SALU_CYCLE_3) | instskip(SKIP_1) | instid1(SALU_CYCLE_2)
	s_fmamk_f32 s2, s7, 0xcf800000, s2
	s_cvt_u32_f32 s9, s7
	s_cvt_u32_f32 s8, s2
	s_delay_alu instid0(SALU_CYCLE_3) | instskip(NEXT) | instid1(SALU_CYCLE_1)
	s_mul_u64 s[12:13], s[10:11], s[8:9]
	s_mul_hi_u32 s17, s8, s13
	s_mul_i32 s16, s8, s13
	s_mul_hi_u32 s14, s8, s12
	s_mul_i32 s7, s9, s12
	s_add_nc_u64 s[16:17], s[14:15], s[16:17]
	s_mul_hi_u32 s2, s9, s12
	s_mul_hi_u32 s18, s9, s13
	s_add_co_u32 s7, s16, s7
	s_add_co_ci_u32 s14, s17, s2
	s_mul_i32 s12, s9, s13
	s_add_co_ci_u32 s13, s18, 0
	s_delay_alu instid0(SALU_CYCLE_1) | instskip(NEXT) | instid1(SALU_CYCLE_1)
	s_add_nc_u64 s[12:13], s[14:15], s[12:13]
	s_add_co_u32 s8, s8, s12
	s_cselect_b32 s2, -1, 0
	s_delay_alu instid0(SALU_CYCLE_1) | instskip(SKIP_1) | instid1(SALU_CYCLE_1)
	s_cmp_lg_u32 s2, 0
	s_add_co_ci_u32 s9, s9, s13
	s_mul_u64 s[10:11], s[10:11], s[8:9]
	s_delay_alu instid0(SALU_CYCLE_1)
	s_mul_hi_u32 s13, s8, s11
	s_mul_i32 s12, s8, s11
	s_mul_hi_u32 s14, s8, s10
	s_mul_i32 s7, s9, s10
	s_add_nc_u64 s[12:13], s[14:15], s[12:13]
	s_mul_hi_u32 s2, s9, s10
	s_mul_hi_u32 s16, s9, s11
	s_add_co_u32 s7, s12, s7
	s_add_co_ci_u32 s14, s13, s2
	s_mul_i32 s10, s9, s11
	s_add_co_ci_u32 s11, s16, 0
	s_delay_alu instid0(SALU_CYCLE_1) | instskip(NEXT) | instid1(SALU_CYCLE_1)
	s_add_nc_u64 s[10:11], s[14:15], s[10:11]
	s_add_co_u32 s2, s8, s10
	s_cselect_b32 s7, -1, 0
	v_mul_hi_u32 v20, v12, s2
	s_cmp_lg_u32 s7, 0
	s_add_co_ci_u32 s14, s9, s11
	s_mov_b64 s[8:9], 0xffffffff
	v_mul_u64_e32 v[16:17], s[14:15], v[12:13]
	s_and_b64 s[8:9], s[2:3], s[8:9]
	v_mul_u64_e32 v[18:19], s[14:15], v[14:15]
	v_mul_u64_e32 v[10:11], s[8:9], v[14:15]
	s_delay_alu instid0(VALU_DEP_3) | instskip(NEXT) | instid1(VALU_DEP_1)
	v_add_nc_u64_e32 v[16:17], v[20:21], v[16:17]
	v_add_co_u32 v3, vcc_lo, v16, v10
	s_delay_alu instid0(VALU_DEP_2) | instskip(SKIP_1) | instid1(VALU_DEP_1)
	v_add_co_ci_u32_e32 v8, vcc_lo, v17, v11, vcc_lo
	v_add_co_ci_u32_e32 v19, vcc_lo, 0, v19, vcc_lo
	v_add_nc_u64_e32 v[8:9], v[8:9], v[18:19]
	s_delay_alu instid0(VALU_DEP_1) | instskip(NEXT) | instid1(VALU_DEP_1)
	v_mul_u64_e32 v[8:9], s[4:5], v[8:9]
	v_sub_co_u32 v8, vcc_lo, v12, v8
	s_delay_alu instid0(VALU_DEP_1) | instskip(NEXT) | instid1(VALU_DEP_1)
	v_cmp_le_u32_e64 s2, s4, v8
	v_cndmask_b32_e64 v12, 0, -1, s2
	s_delay_alu instid0(VALU_DEP_4) | instskip(SKIP_1) | instid1(VALU_DEP_2)
	v_sub_nc_u32_e32 v3, v14, v9
	v_sub_co_ci_u32_e64 v9, null, v14, v9, vcc_lo
	v_subrev_co_ci_u32_e64 v3, null, s5, v3, vcc_lo
	v_sub_co_u32 v10, vcc_lo, v8, s4
	s_delay_alu instid0(VALU_DEP_1) | instskip(NEXT) | instid1(VALU_DEP_2)
	v_subrev_co_ci_u32_e64 v11, null, 0, v3, vcc_lo
	v_cmp_le_u32_e64 s2, s4, v10
	v_subrev_co_ci_u32_e64 v3, null, s5, v3, vcc_lo
	v_cmp_le_u32_e32 vcc_lo, s5, v9
	s_delay_alu instid0(VALU_DEP_3) | instskip(SKIP_3) | instid1(VALU_DEP_3)
	v_cndmask_b32_e64 v13, 0, -1, s2
	v_cmp_le_u32_e64 s2, s5, v11
	v_cndmask_b32_e64 v15, 0, -1, vcc_lo
	v_cmp_eq_u32_e32 vcc_lo, s5, v11
	v_cndmask_b32_e64 v14, 0, -1, s2
	v_cmp_eq_u32_e64 s2, s5, v9
	s_delay_alu instid0(VALU_DEP_2) | instskip(SKIP_1) | instid1(VALU_DEP_1)
	v_cndmask_b32_e32 v13, v14, v13, vcc_lo
	v_sub_co_u32 v14, vcc_lo, v10, s4
	v_subrev_co_ci_u32_e64 v3, null, 0, v3, vcc_lo
	s_delay_alu instid0(VALU_DEP_3) | instskip(SKIP_1) | instid1(VALU_DEP_3)
	v_cmp_ne_u32_e32 vcc_lo, 0, v13
	v_cndmask_b32_e64 v12, v15, v12, s2
	v_dual_cndmask_b32 v3, v11, v3 :: v_dual_cndmask_b32 v10, v10, v14
	s_delay_alu instid0(VALU_DEP_2) | instskip(NEXT) | instid1(VALU_DEP_2)
	v_cmp_ne_u32_e32 vcc_lo, 0, v12
	v_dual_cndmask_b32 v3, v9, v3 :: v_dual_cndmask_b32 v8, v8, v10
	s_delay_alu instid0(VALU_DEP_1) | instskip(NEXT) | instid1(VALU_DEP_2)
	v_xor_b32_e32 v9, v3, v6
	v_xor_b32_e32 v8, v8, v6
	s_delay_alu instid0(VALU_DEP_1)
	v_sub_nc_u64_e32 v[6:7], v[8:9], v[6:7]
.LBB62_7:
	s_or_saveexec_b32 s2, s3
	s_clause 0x1
	s_load_b64 s[34:35], s[0:1], 0xa8
	s_load_b256 s[20:27], s[0:1], 0x88
	s_xor_b32 exec_lo, exec_lo, s2
	s_cbranch_execz .LBB62_9
; %bb.8:
	v_cvt_f32_u32_e32 v3, s6
	s_sub_co_i32 s3, 0, s6
	v_mov_b32_e32 v7, 0
	s_delay_alu instid0(VALU_DEP_2) | instskip(SKIP_1) | instid1(TRANS32_DEP_1)
	v_rcp_iflag_f32_e32 v3, v3
	v_nop
	v_mul_f32_e32 v3, 0x4f7ffffe, v3
	s_delay_alu instid0(VALU_DEP_1) | instskip(NEXT) | instid1(VALU_DEP_1)
	v_cvt_u32_f32_e32 v3, v3
	v_mul_lo_u32 v6, s3, v3
	s_delay_alu instid0(VALU_DEP_1) | instskip(NEXT) | instid1(VALU_DEP_1)
	v_mul_hi_u32 v6, v3, v6
	v_add_nc_u32_e32 v3, v3, v6
	s_delay_alu instid0(VALU_DEP_1) | instskip(NEXT) | instid1(VALU_DEP_1)
	v_mul_hi_u32 v3, v4, v3
	v_mul_lo_u32 v3, v3, s6
	s_delay_alu instid0(VALU_DEP_1) | instskip(NEXT) | instid1(VALU_DEP_1)
	v_sub_nc_u32_e32 v3, v4, v3
	v_subrev_nc_u32_e32 v6, s6, v3
	v_cmp_le_u32_e32 vcc_lo, s6, v3
	s_delay_alu instid0(VALU_DEP_2) | instskip(NEXT) | instid1(VALU_DEP_1)
	v_cndmask_b32_e32 v3, v3, v6, vcc_lo
	v_subrev_nc_u32_e32 v6, s6, v3
	v_cmp_le_u32_e32 vcc_lo, s6, v3
	s_delay_alu instid0(VALU_DEP_2)
	v_cndmask_b32_e32 v6, v3, v6, vcc_lo
.LBB62_9:
	s_or_b32 exec_lo, exec_lo, s2
	v_dual_mov_b32 v10, 0 :: v_dual_bitop2_b32 v11, s31, v1 bitop3:0x54
                                        ; implicit-def: $vgpr8_vgpr9
	s_mov_b32 s2, exec_lo
	s_delay_alu instid0(VALU_DEP_1)
	v_cmpx_ne_u64_e32 0, v[10:11]
	s_xor_b32 s3, exec_lo, s2
	s_cbranch_execz .LBB62_11
; %bb.10:
	s_ashr_i32 s4, s31, 31
	s_mov_b32 s15, 0
	s_mov_b32 s5, s4
	v_dual_mov_b32 v3, v2 :: v_dual_mov_b32 v13, v10
	s_add_nc_u64 s[6:7], s[30:31], s[4:5]
	v_mov_b32_e32 v11, v10
	s_xor_b64 s[6:7], s[6:7], s[4:5]
	s_delay_alu instid0(VALU_DEP_2) | instskip(SKIP_4) | instid1(SALU_CYCLE_1)
	v_add_nc_u64_e32 v[8:9], v[0:1], v[2:3]
	s_cvt_f32_u32 s2, s6
	s_cvt_f32_u32 s5, s7
	s_sub_nc_u64 s[10:11], 0, s[6:7]
	v_dual_mov_b32 v15, v10 :: v_dual_mov_b32 v21, v10
	s_fmamk_f32 s2, s5, 0x4f800000, s2
	s_delay_alu instid0(VALU_DEP_2) | instskip(SKIP_3) | instid1(TRANS32_DEP_1)
	v_xor_b32_e32 v12, v8, v2
	v_xor_b32_e32 v14, v9, v2
	;; [unrolled: 1-line block ×3, first 2 shown]
	v_s_rcp_f32 s2, s2
	s_mul_f32 s2, s2, 0x5f7ffffc
	s_delay_alu instid0(SALU_CYCLE_3) | instskip(NEXT) | instid1(SALU_CYCLE_3)
	s_mul_f32 s5, s2, 0x2f800000
	s_trunc_f32 s5, s5
	s_delay_alu instid0(SALU_CYCLE_3) | instskip(SKIP_1) | instid1(SALU_CYCLE_2)
	s_fmamk_f32 s2, s5, 0xcf800000, s2
	s_cvt_u32_f32 s9, s5
	s_cvt_u32_f32 s8, s2
	s_delay_alu instid0(SALU_CYCLE_3) | instskip(NEXT) | instid1(SALU_CYCLE_1)
	s_mul_u64 s[12:13], s[10:11], s[8:9]
	s_mul_hi_u32 s17, s8, s13
	s_mul_i32 s16, s8, s13
	s_mul_hi_u32 s14, s8, s12
	s_mul_i32 s5, s9, s12
	s_add_nc_u64 s[16:17], s[14:15], s[16:17]
	s_mul_hi_u32 s2, s9, s12
	s_mul_hi_u32 s18, s9, s13
	s_add_co_u32 s5, s16, s5
	s_add_co_ci_u32 s14, s17, s2
	s_mul_i32 s12, s9, s13
	s_add_co_ci_u32 s13, s18, 0
	s_delay_alu instid0(SALU_CYCLE_1) | instskip(NEXT) | instid1(SALU_CYCLE_1)
	s_add_nc_u64 s[12:13], s[14:15], s[12:13]
	s_add_co_u32 s8, s8, s12
	s_cselect_b32 s2, -1, 0
	s_delay_alu instid0(SALU_CYCLE_1) | instskip(SKIP_1) | instid1(SALU_CYCLE_1)
	s_cmp_lg_u32 s2, 0
	s_add_co_ci_u32 s9, s9, s13
	s_mul_u64 s[10:11], s[10:11], s[8:9]
	s_delay_alu instid0(SALU_CYCLE_1)
	s_mul_hi_u32 s13, s8, s11
	s_mul_i32 s12, s8, s11
	s_mul_hi_u32 s14, s8, s10
	s_mul_i32 s5, s9, s10
	s_add_nc_u64 s[12:13], s[14:15], s[12:13]
	s_mul_hi_u32 s2, s9, s10
	s_mul_hi_u32 s16, s9, s11
	s_add_co_u32 s5, s12, s5
	s_add_co_ci_u32 s14, s13, s2
	s_mul_i32 s10, s9, s11
	s_add_co_ci_u32 s11, s16, 0
	s_delay_alu instid0(SALU_CYCLE_1) | instskip(NEXT) | instid1(SALU_CYCLE_1)
	s_add_nc_u64 s[10:11], s[14:15], s[10:11]
	s_add_co_u32 s2, s8, s10
	s_cselect_b32 s5, -1, 0
	v_nop
	v_mul_hi_u32 v20, v12, s2
	s_cmp_lg_u32 s5, 0
	s_add_co_ci_u32 s14, s9, s11
	s_mov_b64 s[8:9], 0xffffffff
	v_mul_u64_e32 v[16:17], s[14:15], v[12:13]
	s_and_b64 s[8:9], s[2:3], s[8:9]
	v_mul_u64_e32 v[18:19], s[14:15], v[14:15]
	v_mul_u64_e32 v[8:9], s[8:9], v[14:15]
	s_delay_alu instid0(VALU_DEP_3) | instskip(NEXT) | instid1(VALU_DEP_1)
	v_add_nc_u64_e32 v[16:17], v[20:21], v[16:17]
	v_add_co_u32 v3, vcc_lo, v16, v8
	s_delay_alu instid0(VALU_DEP_2) | instskip(SKIP_1) | instid1(VALU_DEP_1)
	v_add_co_ci_u32_e32 v10, vcc_lo, v17, v9, vcc_lo
	v_add_co_ci_u32_e32 v19, vcc_lo, 0, v19, vcc_lo
	v_add_nc_u64_e32 v[8:9], v[10:11], v[18:19]
	s_delay_alu instid0(VALU_DEP_1) | instskip(NEXT) | instid1(VALU_DEP_1)
	v_mul_u64_e32 v[10:11], s[6:7], v[8:9]
	v_sub_nc_u32_e32 v3, v14, v11
	s_delay_alu instid0(VALU_DEP_2) | instskip(NEXT) | instid1(VALU_DEP_1)
	v_sub_co_u32 v10, vcc_lo, v12, v10
	v_sub_co_ci_u32_e64 v14, null, v14, v11, vcc_lo
	s_delay_alu instid0(VALU_DEP_3) | instskip(NEXT) | instid1(VALU_DEP_3)
	v_subrev_co_ci_u32_e64 v3, null, s7, v3, vcc_lo
	v_sub_co_u32 v12, s2, v10, s6
	s_delay_alu instid0(VALU_DEP_1) | instskip(NEXT) | instid1(VALU_DEP_2)
	v_subrev_co_ci_u32_e64 v3, null, 0, v3, s2
	v_cmp_le_u32_e32 vcc_lo, s6, v12
	v_cndmask_b32_e64 v11, 0, -1, vcc_lo
	s_delay_alu instid0(VALU_DEP_3)
	v_cmp_le_u32_e32 vcc_lo, s7, v3
	v_cndmask_b32_e64 v12, 0, -1, vcc_lo
	v_cmp_le_u32_e32 vcc_lo, s6, v10
	v_cndmask_b32_e64 v15, 0, -1, vcc_lo
	;; [unrolled: 2-line block ×3, first 2 shown]
	v_cmp_eq_u32_e32 vcc_lo, s7, v3
	v_cndmask_b32_e32 v3, v12, v11, vcc_lo
	v_cmp_eq_u32_e32 vcc_lo, s7, v14
	v_add_nc_u64_e32 v[10:11], 2, v[8:9]
	v_add_nc_u64_e32 v[12:13], 1, v[8:9]
	v_cndmask_b32_e32 v14, v16, v15, vcc_lo
	v_cmp_ne_u32_e32 vcc_lo, 0, v3
	s_delay_alu instid0(VALU_DEP_2) | instskip(NEXT) | instid1(VALU_DEP_4)
	v_cmp_ne_u32_e64 s2, 0, v14
	v_dual_cndmask_b32 v10, v12, v10 :: v_dual_cndmask_b32 v3, v13, v11
	s_delay_alu instid0(VALU_DEP_1) | instskip(NEXT) | instid1(VALU_DEP_1)
	v_dual_cndmask_b32 v8, v8, v10, s2 :: v_dual_cndmask_b32 v9, v9, v3, s2
	v_dual_mov_b32 v3, v2 :: v_dual_bitop2_b32 v8, v8, v2 bitop3:0x14
	s_delay_alu instid0(VALU_DEP_2) | instskip(NEXT) | instid1(VALU_DEP_1)
	v_xor_b32_e32 v9, v9, v2
	v_sub_nc_u64_e32 v[8:9], v[8:9], v[2:3]
.LBB62_11:
	s_or_saveexec_b32 s31, s3
	s_clause 0x2
	s_load_b64 s[2:3], s[0:1], 0x58
	s_load_b64 s[44:45], s[0:1], 0x0
	s_load_b512 s[4:19], s[0:1], 0x18
	s_xor_b32 exec_lo, exec_lo, s31
	s_cbranch_execz .LBB62_13
; %bb.12:
	v_cvt_f32_u32_e32 v2, s30
	s_sub_co_i32 s36, 0, s30
	s_delay_alu instid0(VALU_DEP_1) | instskip(SKIP_1) | instid1(TRANS32_DEP_1)
	v_rcp_iflag_f32_e32 v2, v2
	v_nop
	v_mul_f32_e32 v2, 0x4f7ffffe, v2
	s_delay_alu instid0(VALU_DEP_1) | instskip(NEXT) | instid1(VALU_DEP_1)
	v_cvt_u32_f32_e32 v2, v2
	v_mul_lo_u32 v3, s36, v2
	s_delay_alu instid0(VALU_DEP_1) | instskip(NEXT) | instid1(VALU_DEP_1)
	v_mul_hi_u32 v3, v2, v3
	v_add_nc_u32_e32 v2, v2, v3
	s_delay_alu instid0(VALU_DEP_1) | instskip(NEXT) | instid1(VALU_DEP_1)
	v_mul_hi_u32 v2, v0, v2
	v_mul_lo_u32 v3, v2, s30
	s_delay_alu instid0(VALU_DEP_1) | instskip(NEXT) | instid1(VALU_DEP_1)
	v_dual_add_nc_u32 v8, 1, v2 :: v_dual_sub_nc_u32 v3, v0, v3
	v_subrev_nc_u32_e32 v9, s30, v3
	v_cmp_le_u32_e32 vcc_lo, s30, v3
	s_delay_alu instid0(VALU_DEP_2) | instskip(NEXT) | instid1(VALU_DEP_4)
	v_dual_cndmask_b32 v3, v3, v9, vcc_lo :: v_dual_mov_b32 v9, 0
	v_cndmask_b32_e32 v2, v2, v8, vcc_lo
	s_delay_alu instid0(VALU_DEP_2) | instskip(NEXT) | instid1(VALU_DEP_2)
	v_cmp_le_u32_e32 vcc_lo, s30, v3
	v_add_nc_u32_e32 v8, 1, v2
	s_delay_alu instid0(VALU_DEP_1)
	v_cndmask_b32_e32 v8, v2, v8, vcc_lo
.LBB62_13:
	s_or_b32 exec_lo, exec_lo, s31
	v_mul_u64_e32 v[2:3], s[28:29], v[4:5]
	s_load_b256 s[36:43], s[0:1], 0xb0
	s_wait_kmcnt 0x0
	v_max_i64 v[10:11], s[40:41], 0
	s_add_nc_u64 s[50:51], s[40:41], s[4:5]
	v_max_i64 v[14:15], s[38:39], 0
	v_sub_nc_u64_e64 v[16:17], v[8:9], s[50:51]
	s_add_nc_u64 s[48:49], s[38:39], s[6:7]
	s_sub_nc_u64 s[46:47], 0, s[40:41]
	v_sub_nc_u64_e64 v[12:13], v[6:7], s[48:49]
	v_max_i64 v[4:5], s[36:37], 0
	s_add_nc_u64 s[48:49], s[36:37], s[8:9]
	s_sub_nc_u64 s[30:31], 0, s[38:39]
	v_add_nc_u64_e32 v[22:23], 1, v[16:17]
	v_sub_nc_u64_e32 v[0:1], v[0:1], v[2:3]
	v_max_i64 v[2:3], s[46:47], 0
	v_not_b32_e32 v17, v17
	v_not_b32_e32 v16, v16
	v_add_nc_u64_e32 v[20:21], 1, v[12:13]
	v_not_b32_e32 v13, v13
	v_not_b32_e32 v12, v12
	v_sub_nc_u64_e64 v[24:25], v[0:1], s[48:49]
	v_max_i64 v[28:29], s[30:31], 0
	v_sub_nc_u64_e64 v[26:27], v[8:9], s[40:41]
	v_max_i64 v[16:17], v[22:23], v[16:17]
	s_sub_nc_u64 s[28:29], 0, s[36:37]
	v_max_i64 v[12:13], v[20:21], v[12:13]
	v_max_i64 v[22:23], s[28:29], 0
	v_add_nc_u64_e32 v[20:21], 1, v[24:25]
	v_sub_nc_u64_e64 v[18:19], v[6:7], s[38:39]
	v_not_b32_e32 v25, v25
	v_not_b32_e32 v24, v24
	v_sub_nc_u64_e32 v[30:31], 0, v[26:27]
	v_sub_nc_u64_e64 v[32:33], v[0:1], s[36:37]
	s_lshl_b64 s[30:31], s[40:41], 1
	v_not_b32_e32 v10, v10
	v_max_i64 v[20:21], v[20:21], v[24:25]
	v_sub_nc_u64_e32 v[24:25], 0, v[18:19]
	v_not_b32_e32 v11, v11
	v_max_i64 v[26:27], v[26:27], v[30:31]
	v_sub_nc_u64_e32 v[30:31], 0, v[32:33]
	v_not_b32_e32 v14, v14
	v_not_b32_e32 v15, v15
	v_add_nc_u64_e32 v[10:11], s[30:31], v[10:11]
	v_max_i64 v[18:19], v[18:19], v[24:25]
	s_lshl_b64 s[28:29], s[38:39], 1
	v_not_b32_e32 v4, v4
	v_not_b32_e32 v5, v5
	v_add_nc_u64_e32 v[14:15], s[28:29], v[14:15]
	v_max_i64 v[24:25], v[32:33], v[30:31]
	v_add_nc_u64_e32 v[2:3], v[10:11], v[2:3]
	s_lshl_b64 s[28:29], s[36:37], 1
	s_load_b64 s[0:1], s[0:1], 0xd0
	v_add_nc_u64_e32 v[4:5], s[28:29], v[4:5]
	s_delay_alu instid0(VALU_DEP_4) | instskip(SKIP_1) | instid1(VALU_DEP_4)
	v_add_nc_u64_e32 v[10:11], v[14:15], v[28:29]
	v_add_nc_u64_e32 v[14:15], v[8:9], v[16:17]
	;; [unrolled: 1-line block ×4, first 2 shown]
	s_bfe_u32 s4, ttmp6, 0x40014
	v_add_nc_u64_e32 v[4:5], v[4:5], v[22:23]
	s_bfe_u32 s5, ttmp6, 0x40010
	v_add_nc_u64_e32 v[10:11], s[6:7], v[10:11]
	s_lshr_b32 s6, ttmp7, 16
	v_sub_nc_u64_e32 v[2:3], v[2:3], v[14:15]
	s_add_co_i32 s4, s4, 1
	s_add_co_i32 s5, s5, 1
	v_add_nc_u64_e32 v[4:5], s[8:9], v[4:5]
	v_add_nc_u64_e32 v[14:15], v[0:1], v[20:21]
	v_sub_nc_u64_e32 v[10:11], v[10:11], v[12:13]
	s_and_b32 s8, ttmp7, 0xffff
	v_add_nc_u64_e32 v[2:3], v[2:3], v[26:27]
	s_mul_i32 s4, s6, s4
	s_bfe_u32 s7, ttmp6, 0x40008
	s_mul_i32 s5, s8, s5
	v_sub_nc_u64_e32 v[4:5], v[4:5], v[14:15]
	v_add_nc_u64_e32 v[10:11], v[10:11], v[18:19]
	s_bfe_u32 s9, ttmp6, 0x40004
	v_mul_u64_e32 v[2:3], s[14:15], v[2:3]
	s_add_co_i32 s7, s7, s4
	s_add_co_i32 s9, s9, s5
	s_cmp_eq_u32 s33, 0
	v_add_nc_u64_e32 v[4:5], v[4:5], v[24:25]
	v_mul_u64_e32 v[10:11], s[16:17], v[10:11]
	s_mov_b32 s5, 0
	s_cselect_b32 s6, s6, s7
	s_mov_b32 s7, s5
	s_cselect_b32 s4, s8, s9
	s_wait_kmcnt 0x0
	s_add_nc_u64 s[0:1], s[0:1], s[6:7]
	v_mul_u64_e32 v[4:5], s[18:19], v[4:5]
	s_mul_u64 s[6:7], s[10:11], s[0:1]
	s_add_nc_u64 s[4:5], s[42:43], s[4:5]
	s_lshl_b64 s[6:7], s[6:7], 3
	s_mul_u64 s[8:9], s[12:13], s[4:5]
	s_add_nc_u64 s[6:7], s[44:45], s[6:7]
	s_lshl_b64 s[8:9], s[8:9], 3
	v_mul_u64_e32 v[6:7], s[26:27], v[6:7]
	s_add_nc_u64 s[6:7], s[6:7], s[8:9]
	v_mul_u64_e32 v[0:1], s[34:35], v[0:1]
	s_mul_u64 s[0:1], s[20:21], s[0:1]
	s_mul_u64 s[4:5], s[22:23], s[4:5]
	s_lshl_b64 s[0:1], s[0:1], 3
	s_delay_alu instid0(SALU_CYCLE_1) | instskip(SKIP_1) | instid1(SALU_CYCLE_1)
	s_add_nc_u64 s[0:1], s[2:3], s[0:1]
	s_lshl_b64 s[2:3], s[4:5], 3
	s_add_nc_u64 s[0:1], s[0:1], s[2:3]
	v_lshl_add_u64 v[2:3], v[2:3], 3, s[6:7]
	s_delay_alu instid0(VALU_DEP_1) | instskip(NEXT) | instid1(VALU_DEP_1)
	v_lshl_add_u64 v[2:3], v[10:11], 3, v[2:3]
	v_lshl_add_u64 v[2:3], v[4:5], 3, v[2:3]
	v_mul_u64_e32 v[4:5], s[24:25], v[8:9]
	global_load_b64 v[2:3], v[2:3], off
	v_lshl_add_u64 v[4:5], v[4:5], 3, s[0:1]
	s_delay_alu instid0(VALU_DEP_1) | instskip(NEXT) | instid1(VALU_DEP_1)
	v_lshl_add_u64 v[4:5], v[6:7], 3, v[4:5]
	v_lshl_add_u64 v[0:1], v[0:1], 3, v[4:5]
	s_wait_loadcnt 0x0
	global_store_b64 v[0:1], v[2:3], off
.LBB62_14:
	s_endpgm
	.section	.rodata,"a",@progbits
	.p2align	6, 0x0
	.amdhsa_kernel _ZN2at6native12_GLOBAL__N_127reflection_pad3d_out_kernelIdEEvN5torch10headeronly6detail27GenericPackedTensorAccessorINS5_14TensorAccessorIN3c108ArrayRefIlEEKT_Lm4ENS4_16DefaultPtrTraitsElEENS_6detail16IndexBoundsCheckILm5ElEESC_Lm5ESD_lEENS6_INS7_ISA_SB_Lm4ESD_lEESH_SB_Lm5ESD_lEElllll
		.amdhsa_group_segment_fixed_size 0
		.amdhsa_private_segment_fixed_size 0
		.amdhsa_kernarg_size 472
		.amdhsa_user_sgpr_count 2
		.amdhsa_user_sgpr_dispatch_ptr 0
		.amdhsa_user_sgpr_queue_ptr 0
		.amdhsa_user_sgpr_kernarg_segment_ptr 1
		.amdhsa_user_sgpr_dispatch_id 0
		.amdhsa_user_sgpr_kernarg_preload_length 0
		.amdhsa_user_sgpr_kernarg_preload_offset 0
		.amdhsa_user_sgpr_private_segment_size 0
		.amdhsa_wavefront_size32 1
		.amdhsa_uses_dynamic_stack 0
		.amdhsa_enable_private_segment 0
		.amdhsa_system_sgpr_workgroup_id_x 1
		.amdhsa_system_sgpr_workgroup_id_y 1
		.amdhsa_system_sgpr_workgroup_id_z 1
		.amdhsa_system_sgpr_workgroup_info 0
		.amdhsa_system_vgpr_workitem_id 0
		.amdhsa_next_free_vgpr 34
		.amdhsa_next_free_sgpr 52
		.amdhsa_named_barrier_count 0
		.amdhsa_reserve_vcc 1
		.amdhsa_float_round_mode_32 0
		.amdhsa_float_round_mode_16_64 0
		.amdhsa_float_denorm_mode_32 3
		.amdhsa_float_denorm_mode_16_64 3
		.amdhsa_fp16_overflow 0
		.amdhsa_memory_ordered 1
		.amdhsa_forward_progress 1
		.amdhsa_inst_pref_size 24
		.amdhsa_round_robin_scheduling 0
		.amdhsa_exception_fp_ieee_invalid_op 0
		.amdhsa_exception_fp_denorm_src 0
		.amdhsa_exception_fp_ieee_div_zero 0
		.amdhsa_exception_fp_ieee_overflow 0
		.amdhsa_exception_fp_ieee_underflow 0
		.amdhsa_exception_fp_ieee_inexact 0
		.amdhsa_exception_int_div_zero 0
	.end_amdhsa_kernel
	.section	.text._ZN2at6native12_GLOBAL__N_127reflection_pad3d_out_kernelIdEEvN5torch10headeronly6detail27GenericPackedTensorAccessorINS5_14TensorAccessorIN3c108ArrayRefIlEEKT_Lm4ENS4_16DefaultPtrTraitsElEENS_6detail16IndexBoundsCheckILm5ElEESC_Lm5ESD_lEENS6_INS7_ISA_SB_Lm4ESD_lEESH_SB_Lm5ESD_lEElllll,"axG",@progbits,_ZN2at6native12_GLOBAL__N_127reflection_pad3d_out_kernelIdEEvN5torch10headeronly6detail27GenericPackedTensorAccessorINS5_14TensorAccessorIN3c108ArrayRefIlEEKT_Lm4ENS4_16DefaultPtrTraitsElEENS_6detail16IndexBoundsCheckILm5ElEESC_Lm5ESD_lEENS6_INS7_ISA_SB_Lm4ESD_lEESH_SB_Lm5ESD_lEElllll,comdat
.Lfunc_end62:
	.size	_ZN2at6native12_GLOBAL__N_127reflection_pad3d_out_kernelIdEEvN5torch10headeronly6detail27GenericPackedTensorAccessorINS5_14TensorAccessorIN3c108ArrayRefIlEEKT_Lm4ENS4_16DefaultPtrTraitsElEENS_6detail16IndexBoundsCheckILm5ElEESC_Lm5ESD_lEENS6_INS7_ISA_SB_Lm4ESD_lEESH_SB_Lm5ESD_lEElllll, .Lfunc_end62-_ZN2at6native12_GLOBAL__N_127reflection_pad3d_out_kernelIdEEvN5torch10headeronly6detail27GenericPackedTensorAccessorINS5_14TensorAccessorIN3c108ArrayRefIlEEKT_Lm4ENS4_16DefaultPtrTraitsElEENS_6detail16IndexBoundsCheckILm5ElEESC_Lm5ESD_lEENS6_INS7_ISA_SB_Lm4ESD_lEESH_SB_Lm5ESD_lEElllll
                                        ; -- End function
	.set _ZN2at6native12_GLOBAL__N_127reflection_pad3d_out_kernelIdEEvN5torch10headeronly6detail27GenericPackedTensorAccessorINS5_14TensorAccessorIN3c108ArrayRefIlEEKT_Lm4ENS4_16DefaultPtrTraitsElEENS_6detail16IndexBoundsCheckILm5ElEESC_Lm5ESD_lEENS6_INS7_ISA_SB_Lm4ESD_lEESH_SB_Lm5ESD_lEElllll.num_vgpr, 34
	.set _ZN2at6native12_GLOBAL__N_127reflection_pad3d_out_kernelIdEEvN5torch10headeronly6detail27GenericPackedTensorAccessorINS5_14TensorAccessorIN3c108ArrayRefIlEEKT_Lm4ENS4_16DefaultPtrTraitsElEENS_6detail16IndexBoundsCheckILm5ElEESC_Lm5ESD_lEENS6_INS7_ISA_SB_Lm4ESD_lEESH_SB_Lm5ESD_lEElllll.num_agpr, 0
	.set _ZN2at6native12_GLOBAL__N_127reflection_pad3d_out_kernelIdEEvN5torch10headeronly6detail27GenericPackedTensorAccessorINS5_14TensorAccessorIN3c108ArrayRefIlEEKT_Lm4ENS4_16DefaultPtrTraitsElEENS_6detail16IndexBoundsCheckILm5ElEESC_Lm5ESD_lEENS6_INS7_ISA_SB_Lm4ESD_lEESH_SB_Lm5ESD_lEElllll.numbered_sgpr, 52
	.set _ZN2at6native12_GLOBAL__N_127reflection_pad3d_out_kernelIdEEvN5torch10headeronly6detail27GenericPackedTensorAccessorINS5_14TensorAccessorIN3c108ArrayRefIlEEKT_Lm4ENS4_16DefaultPtrTraitsElEENS_6detail16IndexBoundsCheckILm5ElEESC_Lm5ESD_lEENS6_INS7_ISA_SB_Lm4ESD_lEESH_SB_Lm5ESD_lEElllll.num_named_barrier, 0
	.set _ZN2at6native12_GLOBAL__N_127reflection_pad3d_out_kernelIdEEvN5torch10headeronly6detail27GenericPackedTensorAccessorINS5_14TensorAccessorIN3c108ArrayRefIlEEKT_Lm4ENS4_16DefaultPtrTraitsElEENS_6detail16IndexBoundsCheckILm5ElEESC_Lm5ESD_lEENS6_INS7_ISA_SB_Lm4ESD_lEESH_SB_Lm5ESD_lEElllll.private_seg_size, 0
	.set _ZN2at6native12_GLOBAL__N_127reflection_pad3d_out_kernelIdEEvN5torch10headeronly6detail27GenericPackedTensorAccessorINS5_14TensorAccessorIN3c108ArrayRefIlEEKT_Lm4ENS4_16DefaultPtrTraitsElEENS_6detail16IndexBoundsCheckILm5ElEESC_Lm5ESD_lEENS6_INS7_ISA_SB_Lm4ESD_lEESH_SB_Lm5ESD_lEElllll.uses_vcc, 1
	.set _ZN2at6native12_GLOBAL__N_127reflection_pad3d_out_kernelIdEEvN5torch10headeronly6detail27GenericPackedTensorAccessorINS5_14TensorAccessorIN3c108ArrayRefIlEEKT_Lm4ENS4_16DefaultPtrTraitsElEENS_6detail16IndexBoundsCheckILm5ElEESC_Lm5ESD_lEENS6_INS7_ISA_SB_Lm4ESD_lEESH_SB_Lm5ESD_lEElllll.uses_flat_scratch, 0
	.set _ZN2at6native12_GLOBAL__N_127reflection_pad3d_out_kernelIdEEvN5torch10headeronly6detail27GenericPackedTensorAccessorINS5_14TensorAccessorIN3c108ArrayRefIlEEKT_Lm4ENS4_16DefaultPtrTraitsElEENS_6detail16IndexBoundsCheckILm5ElEESC_Lm5ESD_lEENS6_INS7_ISA_SB_Lm4ESD_lEESH_SB_Lm5ESD_lEElllll.has_dyn_sized_stack, 0
	.set _ZN2at6native12_GLOBAL__N_127reflection_pad3d_out_kernelIdEEvN5torch10headeronly6detail27GenericPackedTensorAccessorINS5_14TensorAccessorIN3c108ArrayRefIlEEKT_Lm4ENS4_16DefaultPtrTraitsElEENS_6detail16IndexBoundsCheckILm5ElEESC_Lm5ESD_lEENS6_INS7_ISA_SB_Lm4ESD_lEESH_SB_Lm5ESD_lEElllll.has_recursion, 0
	.set _ZN2at6native12_GLOBAL__N_127reflection_pad3d_out_kernelIdEEvN5torch10headeronly6detail27GenericPackedTensorAccessorINS5_14TensorAccessorIN3c108ArrayRefIlEEKT_Lm4ENS4_16DefaultPtrTraitsElEENS_6detail16IndexBoundsCheckILm5ElEESC_Lm5ESD_lEENS6_INS7_ISA_SB_Lm4ESD_lEESH_SB_Lm5ESD_lEElllll.has_indirect_call, 0
	.section	.AMDGPU.csdata,"",@progbits
; Kernel info:
; codeLenInByte = 3072
; TotalNumSgprs: 54
; NumVgprs: 34
; ScratchSize: 0
; MemoryBound: 0
; FloatMode: 240
; IeeeMode: 1
; LDSByteSize: 0 bytes/workgroup (compile time only)
; SGPRBlocks: 0
; VGPRBlocks: 2
; NumSGPRsForWavesPerEU: 54
; NumVGPRsForWavesPerEU: 34
; NamedBarCnt: 0
; Occupancy: 16
; WaveLimiterHint : 0
; COMPUTE_PGM_RSRC2:SCRATCH_EN: 0
; COMPUTE_PGM_RSRC2:USER_SGPR: 2
; COMPUTE_PGM_RSRC2:TRAP_HANDLER: 0
; COMPUTE_PGM_RSRC2:TGID_X_EN: 1
; COMPUTE_PGM_RSRC2:TGID_Y_EN: 1
; COMPUTE_PGM_RSRC2:TGID_Z_EN: 1
; COMPUTE_PGM_RSRC2:TIDIG_COMP_CNT: 0
	.section	.text._ZN2at6native12_GLOBAL__N_127reflection_pad3d_out_kernelIfEEvN5torch10headeronly6detail27GenericPackedTensorAccessorINS5_14TensorAccessorIN3c108ArrayRefIlEEKT_Lm4ENS4_16DefaultPtrTraitsElEENS_6detail16IndexBoundsCheckILm5ElEESC_Lm5ESD_lEENS6_INS7_ISA_SB_Lm4ESD_lEESH_SB_Lm5ESD_lEElllll,"axG",@progbits,_ZN2at6native12_GLOBAL__N_127reflection_pad3d_out_kernelIfEEvN5torch10headeronly6detail27GenericPackedTensorAccessorINS5_14TensorAccessorIN3c108ArrayRefIlEEKT_Lm4ENS4_16DefaultPtrTraitsElEENS_6detail16IndexBoundsCheckILm5ElEESC_Lm5ESD_lEENS6_INS7_ISA_SB_Lm4ESD_lEESH_SB_Lm5ESD_lEElllll,comdat
	.globl	_ZN2at6native12_GLOBAL__N_127reflection_pad3d_out_kernelIfEEvN5torch10headeronly6detail27GenericPackedTensorAccessorINS5_14TensorAccessorIN3c108ArrayRefIlEEKT_Lm4ENS4_16DefaultPtrTraitsElEENS_6detail16IndexBoundsCheckILm5ElEESC_Lm5ESD_lEENS6_INS7_ISA_SB_Lm4ESD_lEESH_SB_Lm5ESD_lEElllll ; -- Begin function _ZN2at6native12_GLOBAL__N_127reflection_pad3d_out_kernelIfEEvN5torch10headeronly6detail27GenericPackedTensorAccessorINS5_14TensorAccessorIN3c108ArrayRefIlEEKT_Lm4ENS4_16DefaultPtrTraitsElEENS_6detail16IndexBoundsCheckILm5ElEESC_Lm5ESD_lEENS6_INS7_ISA_SB_Lm4ESD_lEESH_SB_Lm5ESD_lEElllll
	.p2align	8
	.type	_ZN2at6native12_GLOBAL__N_127reflection_pad3d_out_kernelIfEEvN5torch10headeronly6detail27GenericPackedTensorAccessorINS5_14TensorAccessorIN3c108ArrayRefIlEEKT_Lm4ENS4_16DefaultPtrTraitsElEENS_6detail16IndexBoundsCheckILm5ElEESC_Lm5ESD_lEENS6_INS7_ISA_SB_Lm4ESD_lEESH_SB_Lm5ESD_lEElllll,@function
_ZN2at6native12_GLOBAL__N_127reflection_pad3d_out_kernelIfEEvN5torch10headeronly6detail27GenericPackedTensorAccessorINS5_14TensorAccessorIN3c108ArrayRefIlEEKT_Lm4ENS4_16DefaultPtrTraitsElEENS_6detail16IndexBoundsCheckILm5ElEESC_Lm5ESD_lEENS6_INS7_ISA_SB_Lm4ESD_lEESH_SB_Lm5ESD_lEElllll: ; @_ZN2at6native12_GLOBAL__N_127reflection_pad3d_out_kernelIfEEvN5torch10headeronly6detail27GenericPackedTensorAccessorINS5_14TensorAccessorIN3c108ArrayRefIlEEKT_Lm4ENS4_16DefaultPtrTraitsElEENS_6detail16IndexBoundsCheckILm5ElEESC_Lm5ESD_lEENS6_INS7_ISA_SB_Lm4ESD_lEESH_SB_Lm5ESD_lEElllll
; %bb.0:
	s_clause 0x2
	s_load_b32 s2, s[0:1], 0xe4
	s_load_b128 s[4:7], s[0:1], 0x70
	s_load_b64 s[28:29], s[0:1], 0x80
	s_bfe_u32 s3, ttmp6, 0x4000c
	v_mov_b32_e32 v2, 0
	s_add_co_i32 s3, s3, 1
	s_and_b32 s8, ttmp6, 15
	s_mul_i32 s3, ttmp9, s3
	s_getreg_b32 s33, hwreg(HW_REG_IB_STS2, 6, 4)
	v_mov_b32_e32 v1, v2
	s_add_co_i32 s8, s8, s3
	s_wait_kmcnt 0x0
	s_and_b32 s2, s2, 0xffff
	s_cmp_eq_u32 s33, 0
	s_mul_u64 s[30:31], s[28:29], s[6:7]
	s_cselect_b32 s3, ttmp9, s8
	s_delay_alu instid0(SALU_CYCLE_1)
	v_mad_nc_u64_u32 v[0:1], s2, s3, v[0:1]
	s_mul_u64 s[2:3], s[30:31], s[4:5]
	s_delay_alu instid0(VALU_DEP_1) | instid1(SALU_CYCLE_1)
	v_cmp_gt_i64_e32 vcc_lo, s[2:3], v[0:1]
	s_and_saveexec_b32 s2, vcc_lo
	s_cbranch_execz .LBB63_14
; %bb.1:
	v_or_b32_e32 v3, s29, v1
                                        ; implicit-def: $vgpr4_vgpr5
	s_delay_alu instid0(VALU_DEP_1) | instskip(SKIP_2) | instid1(SALU_CYCLE_1)
	v_cmp_ne_u64_e32 vcc_lo, 0, v[2:3]
	v_ashrrev_i32_e32 v2, 31, v1
	s_and_saveexec_b32 s2, vcc_lo
	s_xor_b32 s3, exec_lo, s2
	s_cbranch_execz .LBB63_3
; %bb.2:
	s_ashr_i32 s4, s29, 31
	s_mov_b32 s17, 0
	s_mov_b32 s5, s4
	v_dual_mov_b32 v3, v2 :: v_dual_mov_b32 v7, 0
	s_add_nc_u64 s[8:9], s[28:29], s[4:5]
	s_delay_alu instid0(SALU_CYCLE_1) | instskip(NEXT) | instid1(VALU_DEP_1)
	s_xor_b64 s[8:9], s[8:9], s[4:5]
	v_add_nc_u64_e32 v[4:5], v[0:1], v[2:3]
	s_cvt_f32_u32 s2, s8
	s_cvt_f32_u32 s5, s9
	s_sub_nc_u64 s[12:13], 0, s[8:9]
	v_dual_mov_b32 v9, v7 :: v_dual_mov_b32 v15, v7
	s_delay_alu instid0(SALU_CYCLE_1) | instskip(NEXT) | instid1(VALU_DEP_2)
	s_fmamk_f32 s2, s5, 0x4f800000, s2
	v_xor_b32_e32 v6, v4, v2
	v_xor_b32_e32 v8, v5, v2
	s_delay_alu instid0(SALU_CYCLE_1) | instskip(NEXT) | instid1(TRANS32_DEP_1)
	v_s_rcp_f32 s2, s2
	s_mul_f32 s2, s2, 0x5f7ffffc
	s_delay_alu instid0(SALU_CYCLE_3) | instskip(NEXT) | instid1(SALU_CYCLE_3)
	s_mul_f32 s5, s2, 0x2f800000
	s_trunc_f32 s5, s5
	s_delay_alu instid0(SALU_CYCLE_3) | instskip(SKIP_1) | instid1(SALU_CYCLE_2)
	s_fmamk_f32 s2, s5, 0xcf800000, s2
	s_cvt_u32_f32 s11, s5
	s_cvt_u32_f32 s10, s2
	s_delay_alu instid0(SALU_CYCLE_3) | instskip(NEXT) | instid1(SALU_CYCLE_1)
	s_mul_u64 s[14:15], s[12:13], s[10:11]
	s_mul_hi_u32 s19, s10, s15
	s_mul_i32 s18, s10, s15
	s_mul_hi_u32 s16, s10, s14
	s_mul_i32 s5, s11, s14
	s_add_nc_u64 s[18:19], s[16:17], s[18:19]
	s_mul_hi_u32 s2, s11, s14
	s_mul_hi_u32 s20, s11, s15
	s_add_co_u32 s5, s18, s5
	s_add_co_ci_u32 s16, s19, s2
	s_mul_i32 s14, s11, s15
	s_add_co_ci_u32 s15, s20, 0
	s_delay_alu instid0(SALU_CYCLE_1) | instskip(NEXT) | instid1(SALU_CYCLE_1)
	s_add_nc_u64 s[14:15], s[16:17], s[14:15]
	s_add_co_u32 s10, s10, s14
	s_cselect_b32 s2, -1, 0
	s_delay_alu instid0(SALU_CYCLE_1) | instskip(SKIP_1) | instid1(SALU_CYCLE_1)
	s_cmp_lg_u32 s2, 0
	s_add_co_ci_u32 s11, s11, s15
	s_mul_u64 s[12:13], s[12:13], s[10:11]
	s_delay_alu instid0(SALU_CYCLE_1)
	s_mul_hi_u32 s15, s10, s13
	s_mul_i32 s14, s10, s13
	s_mul_hi_u32 s16, s10, s12
	s_mul_i32 s5, s11, s12
	s_add_nc_u64 s[14:15], s[16:17], s[14:15]
	s_mul_hi_u32 s2, s11, s12
	s_mul_hi_u32 s18, s11, s13
	s_add_co_u32 s5, s14, s5
	s_add_co_ci_u32 s16, s15, s2
	s_mul_i32 s12, s11, s13
	s_add_co_ci_u32 s13, s18, 0
	s_delay_alu instid0(SALU_CYCLE_1) | instskip(NEXT) | instid1(SALU_CYCLE_1)
	s_add_nc_u64 s[12:13], s[16:17], s[12:13]
	s_add_co_u32 s2, s10, s12
	s_cselect_b32 s5, -1, 0
	v_nop
	v_mul_hi_u32 v14, v6, s2
	s_cmp_lg_u32 s5, 0
	s_add_co_ci_u32 s16, s11, s13
	s_mov_b64 s[10:11], 0xffffffff
	v_mul_u64_e32 v[10:11], s[16:17], v[6:7]
	s_and_b64 s[10:11], s[2:3], s[10:11]
	v_mul_u64_e32 v[12:13], s[16:17], v[8:9]
	v_mul_u64_e32 v[4:5], s[10:11], v[8:9]
	s_delay_alu instid0(VALU_DEP_3) | instskip(NEXT) | instid1(VALU_DEP_1)
	v_add_nc_u64_e32 v[10:11], v[14:15], v[10:11]
	v_add_co_u32 v3, vcc_lo, v10, v4
	s_delay_alu instid0(VALU_DEP_2) | instskip(SKIP_1) | instid1(VALU_DEP_1)
	v_add_co_ci_u32_e32 v14, vcc_lo, v11, v5, vcc_lo
	v_add_co_ci_u32_e32 v13, vcc_lo, 0, v13, vcc_lo
	v_add_nc_u64_e32 v[4:5], v[14:15], v[12:13]
	s_delay_alu instid0(VALU_DEP_1) | instskip(NEXT) | instid1(VALU_DEP_1)
	v_mul_u64_e32 v[10:11], s[8:9], v[4:5]
	v_sub_nc_u32_e32 v3, v8, v11
	s_delay_alu instid0(VALU_DEP_2) | instskip(NEXT) | instid1(VALU_DEP_1)
	v_sub_co_u32 v6, vcc_lo, v6, v10
	v_sub_co_ci_u32_e64 v10, null, v8, v11, vcc_lo
	s_delay_alu instid0(VALU_DEP_3) | instskip(NEXT) | instid1(VALU_DEP_3)
	v_subrev_co_ci_u32_e64 v3, null, s9, v3, vcc_lo
	v_sub_co_u32 v7, s2, v6, s8
	s_delay_alu instid0(VALU_DEP_1) | instskip(NEXT) | instid1(VALU_DEP_2)
	v_subrev_co_ci_u32_e64 v3, null, 0, v3, s2
	v_cmp_le_u32_e32 vcc_lo, s8, v7
	v_cndmask_b32_e64 v7, 0, -1, vcc_lo
	s_delay_alu instid0(VALU_DEP_3)
	v_cmp_le_u32_e32 vcc_lo, s9, v3
	v_cndmask_b32_e64 v8, 0, -1, vcc_lo
	v_cmp_le_u32_e32 vcc_lo, s8, v6
	v_cndmask_b32_e64 v11, 0, -1, vcc_lo
	v_cmp_le_u32_e32 vcc_lo, s9, v10
	v_cndmask_b32_e64 v12, 0, -1, vcc_lo
	v_cmp_eq_u32_e32 vcc_lo, s9, v3
	v_cndmask_b32_e32 v3, v8, v7, vcc_lo
	v_cmp_eq_u32_e32 vcc_lo, s9, v10
	v_add_nc_u64_e32 v[6:7], 2, v[4:5]
	v_add_nc_u64_e32 v[8:9], 1, v[4:5]
	v_cndmask_b32_e32 v10, v12, v11, vcc_lo
	v_cmp_ne_u32_e32 vcc_lo, 0, v3
	s_delay_alu instid0(VALU_DEP_2) | instskip(NEXT) | instid1(VALU_DEP_4)
	v_cmp_ne_u32_e64 s2, 0, v10
	v_dual_cndmask_b32 v3, v9, v7, vcc_lo :: v_dual_cndmask_b32 v7, v8, v6, vcc_lo
	s_delay_alu instid0(VALU_DEP_1) | instskip(NEXT) | instid1(VALU_DEP_1)
	v_dual_cndmask_b32 v4, v4, v7, s2 :: v_dual_bitop2_b32 v6, s4, v2 bitop3:0x14
	v_dual_cndmask_b32 v3, v5, v3, s2 :: v_dual_mov_b32 v7, v6
	s_delay_alu instid0(VALU_DEP_2) | instskip(NEXT) | instid1(VALU_DEP_2)
	v_xor_b32_e32 v4, v4, v6
	v_xor_b32_e32 v5, v3, v6
	s_delay_alu instid0(VALU_DEP_1)
	v_sub_nc_u64_e32 v[4:5], v[4:5], v[6:7]
.LBB63_3:
	s_and_not1_saveexec_b32 s2, s3
	s_cbranch_execz .LBB63_5
; %bb.4:
	v_cvt_f32_u32_e32 v3, s28
	s_sub_co_i32 s3, 0, s28
	s_delay_alu instid0(VALU_DEP_1) | instskip(SKIP_1) | instid1(TRANS32_DEP_1)
	v_rcp_iflag_f32_e32 v3, v3
	v_nop
	v_mul_f32_e32 v3, 0x4f7ffffe, v3
	s_delay_alu instid0(VALU_DEP_1) | instskip(NEXT) | instid1(VALU_DEP_1)
	v_cvt_u32_f32_e32 v3, v3
	v_mul_lo_u32 v4, s3, v3
	s_delay_alu instid0(VALU_DEP_1) | instskip(NEXT) | instid1(VALU_DEP_1)
	v_mul_hi_u32 v4, v3, v4
	v_add_nc_u32_e32 v3, v3, v4
	s_delay_alu instid0(VALU_DEP_1) | instskip(NEXT) | instid1(VALU_DEP_1)
	v_mul_hi_u32 v3, v0, v3
	v_mul_lo_u32 v4, v3, s28
	s_delay_alu instid0(VALU_DEP_1) | instskip(NEXT) | instid1(VALU_DEP_1)
	v_dual_add_nc_u32 v5, 1, v3 :: v_dual_sub_nc_u32 v4, v0, v4
	v_subrev_nc_u32_e32 v6, s28, v4
	v_cmp_le_u32_e32 vcc_lo, s28, v4
	s_delay_alu instid0(VALU_DEP_2) | instskip(NEXT) | instid1(VALU_DEP_1)
	v_dual_cndmask_b32 v4, v4, v6 :: v_dual_cndmask_b32 v3, v3, v5
	v_cmp_le_u32_e32 vcc_lo, s28, v4
	s_delay_alu instid0(VALU_DEP_2) | instskip(NEXT) | instid1(VALU_DEP_1)
	v_add_nc_u32_e32 v5, 1, v3
	v_dual_cndmask_b32 v4, v3, v5 :: v_dual_mov_b32 v5, 0
.LBB63_5:
	s_or_b32 exec_lo, exec_lo, s2
	s_delay_alu instid0(VALU_DEP_1) | instskip(SKIP_1) | instid1(VALU_DEP_1)
	v_dual_mov_b32 v8, 0 :: v_dual_bitop2_b32 v9, s7, v5 bitop3:0x54
                                        ; implicit-def: $vgpr6_vgpr7
	s_mov_b32 s2, exec_lo
	v_cmpx_ne_u64_e32 0, v[8:9]
	s_xor_b32 s3, exec_lo, s2
	s_cbranch_execz .LBB63_7
; %bb.6:
	s_ashr_i32 s4, s7, 31
	s_mov_b32 s15, 0
	s_mov_b32 s5, s4
	v_dual_mov_b32 v13, v8 :: v_dual_ashrrev_i32 v6, 31, v5
	s_add_nc_u64 s[8:9], s[6:7], s[4:5]
	v_mov_b32_e32 v15, v8
	s_xor_b64 s[4:5], s[8:9], s[4:5]
	s_delay_alu instid0(VALU_DEP_2)
	v_mov_b32_e32 v7, v6
	s_cvt_f32_u32 s2, s4
	s_cvt_f32_u32 s7, s5
	s_sub_nc_u64 s[10:11], 0, s[4:5]
	v_mov_b32_e32 v21, v8
	v_add_nc_u64_e32 v[10:11], v[4:5], v[6:7]
	s_fmamk_f32 s2, s7, 0x4f800000, s2
	v_mov_b32_e32 v9, v8
	s_delay_alu instid0(SALU_CYCLE_2) | instskip(NEXT) | instid1(VALU_DEP_2)
	v_s_rcp_f32 s2, s2
	v_xor_b32_e32 v12, v10, v6
	s_delay_alu instid0(VALU_DEP_3) | instskip(NEXT) | instid1(TRANS32_DEP_1)
	v_xor_b32_e32 v14, v11, v6
	s_mul_f32 s2, s2, 0x5f7ffffc
	s_delay_alu instid0(SALU_CYCLE_3) | instskip(NEXT) | instid1(SALU_CYCLE_3)
	s_mul_f32 s7, s2, 0x2f800000
	s_trunc_f32 s7, s7
	s_delay_alu instid0(SALU_CYCLE_3) | instskip(SKIP_1) | instid1(SALU_CYCLE_2)
	s_fmamk_f32 s2, s7, 0xcf800000, s2
	s_cvt_u32_f32 s9, s7
	s_cvt_u32_f32 s8, s2
	s_delay_alu instid0(SALU_CYCLE_3) | instskip(NEXT) | instid1(SALU_CYCLE_1)
	s_mul_u64 s[12:13], s[10:11], s[8:9]
	s_mul_hi_u32 s17, s8, s13
	s_mul_i32 s16, s8, s13
	s_mul_hi_u32 s14, s8, s12
	s_mul_i32 s7, s9, s12
	s_add_nc_u64 s[16:17], s[14:15], s[16:17]
	s_mul_hi_u32 s2, s9, s12
	s_mul_hi_u32 s18, s9, s13
	s_add_co_u32 s7, s16, s7
	s_add_co_ci_u32 s14, s17, s2
	s_mul_i32 s12, s9, s13
	s_add_co_ci_u32 s13, s18, 0
	s_delay_alu instid0(SALU_CYCLE_1) | instskip(NEXT) | instid1(SALU_CYCLE_1)
	s_add_nc_u64 s[12:13], s[14:15], s[12:13]
	s_add_co_u32 s8, s8, s12
	s_cselect_b32 s2, -1, 0
	s_delay_alu instid0(SALU_CYCLE_1) | instskip(SKIP_1) | instid1(SALU_CYCLE_1)
	s_cmp_lg_u32 s2, 0
	s_add_co_ci_u32 s9, s9, s13
	s_mul_u64 s[10:11], s[10:11], s[8:9]
	s_delay_alu instid0(SALU_CYCLE_1)
	s_mul_hi_u32 s13, s8, s11
	s_mul_i32 s12, s8, s11
	s_mul_hi_u32 s14, s8, s10
	s_mul_i32 s7, s9, s10
	s_add_nc_u64 s[12:13], s[14:15], s[12:13]
	s_mul_hi_u32 s2, s9, s10
	s_mul_hi_u32 s16, s9, s11
	s_add_co_u32 s7, s12, s7
	s_add_co_ci_u32 s14, s13, s2
	s_mul_i32 s10, s9, s11
	s_add_co_ci_u32 s11, s16, 0
	s_delay_alu instid0(SALU_CYCLE_1) | instskip(NEXT) | instid1(SALU_CYCLE_1)
	s_add_nc_u64 s[10:11], s[14:15], s[10:11]
	s_add_co_u32 s2, s8, s10
	s_cselect_b32 s7, -1, 0
	v_mul_hi_u32 v20, v12, s2
	s_cmp_lg_u32 s7, 0
	s_add_co_ci_u32 s14, s9, s11
	s_mov_b64 s[8:9], 0xffffffff
	v_mul_u64_e32 v[16:17], s[14:15], v[12:13]
	s_and_b64 s[8:9], s[2:3], s[8:9]
	v_mul_u64_e32 v[18:19], s[14:15], v[14:15]
	v_mul_u64_e32 v[10:11], s[8:9], v[14:15]
	s_delay_alu instid0(VALU_DEP_3) | instskip(NEXT) | instid1(VALU_DEP_1)
	v_add_nc_u64_e32 v[16:17], v[20:21], v[16:17]
	v_add_co_u32 v3, vcc_lo, v16, v10
	s_delay_alu instid0(VALU_DEP_2) | instskip(SKIP_1) | instid1(VALU_DEP_1)
	v_add_co_ci_u32_e32 v8, vcc_lo, v17, v11, vcc_lo
	v_add_co_ci_u32_e32 v19, vcc_lo, 0, v19, vcc_lo
	v_add_nc_u64_e32 v[8:9], v[8:9], v[18:19]
	s_delay_alu instid0(VALU_DEP_1) | instskip(NEXT) | instid1(VALU_DEP_1)
	v_mul_u64_e32 v[8:9], s[4:5], v[8:9]
	v_sub_co_u32 v8, vcc_lo, v12, v8
	s_delay_alu instid0(VALU_DEP_1) | instskip(NEXT) | instid1(VALU_DEP_1)
	v_cmp_le_u32_e64 s2, s4, v8
	v_cndmask_b32_e64 v12, 0, -1, s2
	s_delay_alu instid0(VALU_DEP_4) | instskip(SKIP_1) | instid1(VALU_DEP_2)
	v_sub_nc_u32_e32 v3, v14, v9
	v_sub_co_ci_u32_e64 v9, null, v14, v9, vcc_lo
	v_subrev_co_ci_u32_e64 v3, null, s5, v3, vcc_lo
	v_sub_co_u32 v10, vcc_lo, v8, s4
	s_delay_alu instid0(VALU_DEP_1) | instskip(NEXT) | instid1(VALU_DEP_2)
	v_subrev_co_ci_u32_e64 v11, null, 0, v3, vcc_lo
	v_cmp_le_u32_e64 s2, s4, v10
	v_subrev_co_ci_u32_e64 v3, null, s5, v3, vcc_lo
	v_cmp_le_u32_e32 vcc_lo, s5, v9
	s_delay_alu instid0(VALU_DEP_3) | instskip(SKIP_3) | instid1(VALU_DEP_3)
	v_cndmask_b32_e64 v13, 0, -1, s2
	v_cmp_le_u32_e64 s2, s5, v11
	v_cndmask_b32_e64 v15, 0, -1, vcc_lo
	v_cmp_eq_u32_e32 vcc_lo, s5, v11
	v_cndmask_b32_e64 v14, 0, -1, s2
	v_cmp_eq_u32_e64 s2, s5, v9
	s_delay_alu instid0(VALU_DEP_2) | instskip(SKIP_1) | instid1(VALU_DEP_1)
	v_cndmask_b32_e32 v13, v14, v13, vcc_lo
	v_sub_co_u32 v14, vcc_lo, v10, s4
	v_subrev_co_ci_u32_e64 v3, null, 0, v3, vcc_lo
	s_delay_alu instid0(VALU_DEP_3) | instskip(SKIP_1) | instid1(VALU_DEP_3)
	v_cmp_ne_u32_e32 vcc_lo, 0, v13
	v_cndmask_b32_e64 v12, v15, v12, s2
	v_dual_cndmask_b32 v3, v11, v3 :: v_dual_cndmask_b32 v10, v10, v14
	s_delay_alu instid0(VALU_DEP_2) | instskip(NEXT) | instid1(VALU_DEP_2)
	v_cmp_ne_u32_e32 vcc_lo, 0, v12
	v_dual_cndmask_b32 v3, v9, v3 :: v_dual_cndmask_b32 v8, v8, v10
	s_delay_alu instid0(VALU_DEP_1) | instskip(NEXT) | instid1(VALU_DEP_2)
	v_xor_b32_e32 v9, v3, v6
	v_xor_b32_e32 v8, v8, v6
	s_delay_alu instid0(VALU_DEP_1)
	v_sub_nc_u64_e32 v[6:7], v[8:9], v[6:7]
.LBB63_7:
	s_or_saveexec_b32 s2, s3
	s_clause 0x1
	s_load_b64 s[34:35], s[0:1], 0xa8
	s_load_b256 s[20:27], s[0:1], 0x88
	s_xor_b32 exec_lo, exec_lo, s2
	s_cbranch_execz .LBB63_9
; %bb.8:
	v_cvt_f32_u32_e32 v3, s6
	s_sub_co_i32 s3, 0, s6
	v_mov_b32_e32 v7, 0
	s_delay_alu instid0(VALU_DEP_2) | instskip(SKIP_1) | instid1(TRANS32_DEP_1)
	v_rcp_iflag_f32_e32 v3, v3
	v_nop
	v_mul_f32_e32 v3, 0x4f7ffffe, v3
	s_delay_alu instid0(VALU_DEP_1) | instskip(NEXT) | instid1(VALU_DEP_1)
	v_cvt_u32_f32_e32 v3, v3
	v_mul_lo_u32 v6, s3, v3
	s_delay_alu instid0(VALU_DEP_1) | instskip(NEXT) | instid1(VALU_DEP_1)
	v_mul_hi_u32 v6, v3, v6
	v_add_nc_u32_e32 v3, v3, v6
	s_delay_alu instid0(VALU_DEP_1) | instskip(NEXT) | instid1(VALU_DEP_1)
	v_mul_hi_u32 v3, v4, v3
	v_mul_lo_u32 v3, v3, s6
	s_delay_alu instid0(VALU_DEP_1) | instskip(NEXT) | instid1(VALU_DEP_1)
	v_sub_nc_u32_e32 v3, v4, v3
	v_subrev_nc_u32_e32 v6, s6, v3
	v_cmp_le_u32_e32 vcc_lo, s6, v3
	s_delay_alu instid0(VALU_DEP_2) | instskip(NEXT) | instid1(VALU_DEP_1)
	v_cndmask_b32_e32 v3, v3, v6, vcc_lo
	v_subrev_nc_u32_e32 v6, s6, v3
	v_cmp_le_u32_e32 vcc_lo, s6, v3
	s_delay_alu instid0(VALU_DEP_2)
	v_cndmask_b32_e32 v6, v3, v6, vcc_lo
.LBB63_9:
	s_or_b32 exec_lo, exec_lo, s2
	v_dual_mov_b32 v10, 0 :: v_dual_bitop2_b32 v11, s31, v1 bitop3:0x54
                                        ; implicit-def: $vgpr8_vgpr9
	s_mov_b32 s2, exec_lo
	s_delay_alu instid0(VALU_DEP_1)
	v_cmpx_ne_u64_e32 0, v[10:11]
	s_xor_b32 s3, exec_lo, s2
	s_cbranch_execz .LBB63_11
; %bb.10:
	s_ashr_i32 s4, s31, 31
	s_mov_b32 s15, 0
	s_mov_b32 s5, s4
	v_dual_mov_b32 v3, v2 :: v_dual_mov_b32 v13, v10
	s_add_nc_u64 s[6:7], s[30:31], s[4:5]
	v_mov_b32_e32 v11, v10
	s_xor_b64 s[6:7], s[6:7], s[4:5]
	s_delay_alu instid0(VALU_DEP_2) | instskip(SKIP_4) | instid1(SALU_CYCLE_1)
	v_add_nc_u64_e32 v[8:9], v[0:1], v[2:3]
	s_cvt_f32_u32 s2, s6
	s_cvt_f32_u32 s5, s7
	s_sub_nc_u64 s[10:11], 0, s[6:7]
	v_dual_mov_b32 v15, v10 :: v_dual_mov_b32 v21, v10
	s_fmamk_f32 s2, s5, 0x4f800000, s2
	s_delay_alu instid0(VALU_DEP_2) | instskip(SKIP_3) | instid1(TRANS32_DEP_1)
	v_xor_b32_e32 v12, v8, v2
	v_xor_b32_e32 v14, v9, v2
	;; [unrolled: 1-line block ×3, first 2 shown]
	v_s_rcp_f32 s2, s2
	s_mul_f32 s2, s2, 0x5f7ffffc
	s_delay_alu instid0(SALU_CYCLE_3) | instskip(NEXT) | instid1(SALU_CYCLE_3)
	s_mul_f32 s5, s2, 0x2f800000
	s_trunc_f32 s5, s5
	s_delay_alu instid0(SALU_CYCLE_3) | instskip(SKIP_1) | instid1(SALU_CYCLE_2)
	s_fmamk_f32 s2, s5, 0xcf800000, s2
	s_cvt_u32_f32 s9, s5
	s_cvt_u32_f32 s8, s2
	s_delay_alu instid0(SALU_CYCLE_3) | instskip(NEXT) | instid1(SALU_CYCLE_1)
	s_mul_u64 s[12:13], s[10:11], s[8:9]
	s_mul_hi_u32 s17, s8, s13
	s_mul_i32 s16, s8, s13
	s_mul_hi_u32 s14, s8, s12
	s_mul_i32 s5, s9, s12
	s_add_nc_u64 s[16:17], s[14:15], s[16:17]
	s_mul_hi_u32 s2, s9, s12
	s_mul_hi_u32 s18, s9, s13
	s_add_co_u32 s5, s16, s5
	s_add_co_ci_u32 s14, s17, s2
	s_mul_i32 s12, s9, s13
	s_add_co_ci_u32 s13, s18, 0
	s_delay_alu instid0(SALU_CYCLE_1) | instskip(NEXT) | instid1(SALU_CYCLE_1)
	s_add_nc_u64 s[12:13], s[14:15], s[12:13]
	s_add_co_u32 s8, s8, s12
	s_cselect_b32 s2, -1, 0
	s_delay_alu instid0(SALU_CYCLE_1) | instskip(SKIP_1) | instid1(SALU_CYCLE_1)
	s_cmp_lg_u32 s2, 0
	s_add_co_ci_u32 s9, s9, s13
	s_mul_u64 s[10:11], s[10:11], s[8:9]
	s_delay_alu instid0(SALU_CYCLE_1)
	s_mul_hi_u32 s13, s8, s11
	s_mul_i32 s12, s8, s11
	s_mul_hi_u32 s14, s8, s10
	s_mul_i32 s5, s9, s10
	s_add_nc_u64 s[12:13], s[14:15], s[12:13]
	s_mul_hi_u32 s2, s9, s10
	s_mul_hi_u32 s16, s9, s11
	s_add_co_u32 s5, s12, s5
	s_add_co_ci_u32 s14, s13, s2
	s_mul_i32 s10, s9, s11
	s_add_co_ci_u32 s11, s16, 0
	s_delay_alu instid0(SALU_CYCLE_1) | instskip(NEXT) | instid1(SALU_CYCLE_1)
	s_add_nc_u64 s[10:11], s[14:15], s[10:11]
	s_add_co_u32 s2, s8, s10
	s_cselect_b32 s5, -1, 0
	v_nop
	v_mul_hi_u32 v20, v12, s2
	s_cmp_lg_u32 s5, 0
	s_add_co_ci_u32 s14, s9, s11
	s_mov_b64 s[8:9], 0xffffffff
	v_mul_u64_e32 v[16:17], s[14:15], v[12:13]
	s_and_b64 s[8:9], s[2:3], s[8:9]
	v_mul_u64_e32 v[18:19], s[14:15], v[14:15]
	v_mul_u64_e32 v[8:9], s[8:9], v[14:15]
	s_delay_alu instid0(VALU_DEP_3) | instskip(NEXT) | instid1(VALU_DEP_1)
	v_add_nc_u64_e32 v[16:17], v[20:21], v[16:17]
	v_add_co_u32 v3, vcc_lo, v16, v8
	s_delay_alu instid0(VALU_DEP_2) | instskip(SKIP_1) | instid1(VALU_DEP_1)
	v_add_co_ci_u32_e32 v10, vcc_lo, v17, v9, vcc_lo
	v_add_co_ci_u32_e32 v19, vcc_lo, 0, v19, vcc_lo
	v_add_nc_u64_e32 v[8:9], v[10:11], v[18:19]
	s_delay_alu instid0(VALU_DEP_1) | instskip(NEXT) | instid1(VALU_DEP_1)
	v_mul_u64_e32 v[10:11], s[6:7], v[8:9]
	v_sub_nc_u32_e32 v3, v14, v11
	s_delay_alu instid0(VALU_DEP_2) | instskip(NEXT) | instid1(VALU_DEP_1)
	v_sub_co_u32 v10, vcc_lo, v12, v10
	v_sub_co_ci_u32_e64 v14, null, v14, v11, vcc_lo
	s_delay_alu instid0(VALU_DEP_3) | instskip(NEXT) | instid1(VALU_DEP_3)
	v_subrev_co_ci_u32_e64 v3, null, s7, v3, vcc_lo
	v_sub_co_u32 v12, s2, v10, s6
	s_delay_alu instid0(VALU_DEP_1) | instskip(NEXT) | instid1(VALU_DEP_2)
	v_subrev_co_ci_u32_e64 v3, null, 0, v3, s2
	v_cmp_le_u32_e32 vcc_lo, s6, v12
	v_cndmask_b32_e64 v11, 0, -1, vcc_lo
	s_delay_alu instid0(VALU_DEP_3)
	v_cmp_le_u32_e32 vcc_lo, s7, v3
	v_cndmask_b32_e64 v12, 0, -1, vcc_lo
	v_cmp_le_u32_e32 vcc_lo, s6, v10
	v_cndmask_b32_e64 v15, 0, -1, vcc_lo
	;; [unrolled: 2-line block ×3, first 2 shown]
	v_cmp_eq_u32_e32 vcc_lo, s7, v3
	v_cndmask_b32_e32 v3, v12, v11, vcc_lo
	v_cmp_eq_u32_e32 vcc_lo, s7, v14
	v_add_nc_u64_e32 v[10:11], 2, v[8:9]
	v_add_nc_u64_e32 v[12:13], 1, v[8:9]
	v_cndmask_b32_e32 v14, v16, v15, vcc_lo
	v_cmp_ne_u32_e32 vcc_lo, 0, v3
	s_delay_alu instid0(VALU_DEP_2) | instskip(NEXT) | instid1(VALU_DEP_4)
	v_cmp_ne_u32_e64 s2, 0, v14
	v_dual_cndmask_b32 v10, v12, v10 :: v_dual_cndmask_b32 v3, v13, v11
	s_delay_alu instid0(VALU_DEP_1) | instskip(NEXT) | instid1(VALU_DEP_1)
	v_dual_cndmask_b32 v8, v8, v10, s2 :: v_dual_cndmask_b32 v9, v9, v3, s2
	v_dual_mov_b32 v3, v2 :: v_dual_bitop2_b32 v8, v8, v2 bitop3:0x14
	s_delay_alu instid0(VALU_DEP_2) | instskip(NEXT) | instid1(VALU_DEP_1)
	v_xor_b32_e32 v9, v9, v2
	v_sub_nc_u64_e32 v[8:9], v[8:9], v[2:3]
.LBB63_11:
	s_or_saveexec_b32 s31, s3
	s_clause 0x2
	s_load_b64 s[2:3], s[0:1], 0x58
	s_load_b64 s[44:45], s[0:1], 0x0
	s_load_b512 s[4:19], s[0:1], 0x18
	s_xor_b32 exec_lo, exec_lo, s31
	s_cbranch_execz .LBB63_13
; %bb.12:
	v_cvt_f32_u32_e32 v2, s30
	s_sub_co_i32 s36, 0, s30
	s_delay_alu instid0(VALU_DEP_1) | instskip(SKIP_1) | instid1(TRANS32_DEP_1)
	v_rcp_iflag_f32_e32 v2, v2
	v_nop
	v_mul_f32_e32 v2, 0x4f7ffffe, v2
	s_delay_alu instid0(VALU_DEP_1) | instskip(NEXT) | instid1(VALU_DEP_1)
	v_cvt_u32_f32_e32 v2, v2
	v_mul_lo_u32 v3, s36, v2
	s_delay_alu instid0(VALU_DEP_1) | instskip(NEXT) | instid1(VALU_DEP_1)
	v_mul_hi_u32 v3, v2, v3
	v_add_nc_u32_e32 v2, v2, v3
	s_delay_alu instid0(VALU_DEP_1) | instskip(NEXT) | instid1(VALU_DEP_1)
	v_mul_hi_u32 v2, v0, v2
	v_mul_lo_u32 v3, v2, s30
	s_delay_alu instid0(VALU_DEP_1) | instskip(NEXT) | instid1(VALU_DEP_1)
	v_dual_add_nc_u32 v8, 1, v2 :: v_dual_sub_nc_u32 v3, v0, v3
	v_subrev_nc_u32_e32 v9, s30, v3
	v_cmp_le_u32_e32 vcc_lo, s30, v3
	s_delay_alu instid0(VALU_DEP_2) | instskip(NEXT) | instid1(VALU_DEP_4)
	v_dual_cndmask_b32 v3, v3, v9, vcc_lo :: v_dual_mov_b32 v9, 0
	v_cndmask_b32_e32 v2, v2, v8, vcc_lo
	s_delay_alu instid0(VALU_DEP_2) | instskip(NEXT) | instid1(VALU_DEP_2)
	v_cmp_le_u32_e32 vcc_lo, s30, v3
	v_add_nc_u32_e32 v8, 1, v2
	s_delay_alu instid0(VALU_DEP_1)
	v_cndmask_b32_e32 v8, v2, v8, vcc_lo
.LBB63_13:
	s_or_b32 exec_lo, exec_lo, s31
	v_mul_u64_e32 v[2:3], s[28:29], v[4:5]
	s_load_b256 s[36:43], s[0:1], 0xb0
	s_wait_kmcnt 0x0
	v_max_i64 v[10:11], s[40:41], 0
	s_add_nc_u64 s[50:51], s[40:41], s[4:5]
	v_max_i64 v[14:15], s[38:39], 0
	v_sub_nc_u64_e64 v[16:17], v[8:9], s[50:51]
	s_add_nc_u64 s[48:49], s[38:39], s[6:7]
	s_sub_nc_u64 s[46:47], 0, s[40:41]
	v_sub_nc_u64_e64 v[12:13], v[6:7], s[48:49]
	v_max_i64 v[4:5], s[36:37], 0
	s_add_nc_u64 s[48:49], s[36:37], s[8:9]
	s_sub_nc_u64 s[30:31], 0, s[38:39]
	v_add_nc_u64_e32 v[22:23], 1, v[16:17]
	v_sub_nc_u64_e32 v[0:1], v[0:1], v[2:3]
	v_max_i64 v[2:3], s[46:47], 0
	v_not_b32_e32 v17, v17
	v_not_b32_e32 v16, v16
	v_add_nc_u64_e32 v[20:21], 1, v[12:13]
	v_not_b32_e32 v13, v13
	v_not_b32_e32 v12, v12
	v_sub_nc_u64_e64 v[24:25], v[0:1], s[48:49]
	v_max_i64 v[28:29], s[30:31], 0
	v_sub_nc_u64_e64 v[26:27], v[8:9], s[40:41]
	v_max_i64 v[16:17], v[22:23], v[16:17]
	s_sub_nc_u64 s[28:29], 0, s[36:37]
	v_max_i64 v[12:13], v[20:21], v[12:13]
	v_max_i64 v[22:23], s[28:29], 0
	v_add_nc_u64_e32 v[20:21], 1, v[24:25]
	v_sub_nc_u64_e64 v[18:19], v[6:7], s[38:39]
	v_not_b32_e32 v25, v25
	v_not_b32_e32 v24, v24
	v_sub_nc_u64_e32 v[30:31], 0, v[26:27]
	v_sub_nc_u64_e64 v[32:33], v[0:1], s[36:37]
	s_lshl_b64 s[30:31], s[40:41], 1
	v_not_b32_e32 v10, v10
	v_max_i64 v[20:21], v[20:21], v[24:25]
	v_sub_nc_u64_e32 v[24:25], 0, v[18:19]
	v_not_b32_e32 v11, v11
	v_max_i64 v[26:27], v[26:27], v[30:31]
	v_sub_nc_u64_e32 v[30:31], 0, v[32:33]
	v_not_b32_e32 v14, v14
	v_not_b32_e32 v15, v15
	v_add_nc_u64_e32 v[10:11], s[30:31], v[10:11]
	v_max_i64 v[18:19], v[18:19], v[24:25]
	s_lshl_b64 s[28:29], s[38:39], 1
	v_not_b32_e32 v4, v4
	v_not_b32_e32 v5, v5
	v_add_nc_u64_e32 v[14:15], s[28:29], v[14:15]
	v_max_i64 v[24:25], v[32:33], v[30:31]
	v_add_nc_u64_e32 v[2:3], v[10:11], v[2:3]
	s_lshl_b64 s[28:29], s[36:37], 1
	s_load_b64 s[0:1], s[0:1], 0xd0
	v_add_nc_u64_e32 v[4:5], s[28:29], v[4:5]
	s_delay_alu instid0(VALU_DEP_4) | instskip(SKIP_1) | instid1(VALU_DEP_4)
	v_add_nc_u64_e32 v[10:11], v[14:15], v[28:29]
	v_add_nc_u64_e32 v[14:15], v[8:9], v[16:17]
	;; [unrolled: 1-line block ×4, first 2 shown]
	s_bfe_u32 s4, ttmp6, 0x40014
	v_add_nc_u64_e32 v[4:5], v[4:5], v[22:23]
	s_bfe_u32 s5, ttmp6, 0x40010
	v_add_nc_u64_e32 v[10:11], s[6:7], v[10:11]
	s_lshr_b32 s6, ttmp7, 16
	v_sub_nc_u64_e32 v[2:3], v[2:3], v[14:15]
	s_add_co_i32 s4, s4, 1
	s_add_co_i32 s5, s5, 1
	v_add_nc_u64_e32 v[4:5], s[8:9], v[4:5]
	v_add_nc_u64_e32 v[14:15], v[0:1], v[20:21]
	v_sub_nc_u64_e32 v[10:11], v[10:11], v[12:13]
	s_and_b32 s8, ttmp7, 0xffff
	v_add_nc_u64_e32 v[2:3], v[2:3], v[26:27]
	s_mul_i32 s4, s6, s4
	s_bfe_u32 s7, ttmp6, 0x40008
	s_mul_i32 s5, s8, s5
	v_sub_nc_u64_e32 v[4:5], v[4:5], v[14:15]
	v_add_nc_u64_e32 v[10:11], v[10:11], v[18:19]
	s_bfe_u32 s9, ttmp6, 0x40004
	v_mul_u64_e32 v[2:3], s[14:15], v[2:3]
	s_add_co_i32 s7, s7, s4
	s_add_co_i32 s9, s9, s5
	s_cmp_eq_u32 s33, 0
	v_add_nc_u64_e32 v[4:5], v[4:5], v[24:25]
	v_mul_u64_e32 v[10:11], s[16:17], v[10:11]
	s_mov_b32 s5, 0
	s_cselect_b32 s6, s6, s7
	s_mov_b32 s7, s5
	s_cselect_b32 s4, s8, s9
	s_wait_kmcnt 0x0
	s_add_nc_u64 s[0:1], s[0:1], s[6:7]
	v_mul_u64_e32 v[4:5], s[18:19], v[4:5]
	s_mul_u64 s[6:7], s[10:11], s[0:1]
	s_add_nc_u64 s[4:5], s[42:43], s[4:5]
	s_lshl_b64 s[6:7], s[6:7], 2
	s_mul_u64 s[8:9], s[12:13], s[4:5]
	s_add_nc_u64 s[6:7], s[44:45], s[6:7]
	s_lshl_b64 s[8:9], s[8:9], 2
	v_mul_u64_e32 v[0:1], s[34:35], v[0:1]
	s_add_nc_u64 s[6:7], s[6:7], s[8:9]
	s_mul_u64 s[0:1], s[20:21], s[0:1]
	s_mul_u64 s[4:5], s[22:23], s[4:5]
	s_lshl_b64 s[0:1], s[0:1], 2
	s_delay_alu instid0(SALU_CYCLE_1) | instskip(SKIP_1) | instid1(SALU_CYCLE_1)
	s_add_nc_u64 s[0:1], s[2:3], s[0:1]
	s_lshl_b64 s[2:3], s[4:5], 2
	s_add_nc_u64 s[0:1], s[0:1], s[2:3]
	v_lshl_add_u64 v[2:3], v[2:3], 2, s[6:7]
	s_delay_alu instid0(VALU_DEP_1) | instskip(NEXT) | instid1(VALU_DEP_1)
	v_lshl_add_u64 v[2:3], v[10:11], 2, v[2:3]
	v_lshl_add_u64 v[2:3], v[4:5], 2, v[2:3]
	v_mul_u64_e32 v[4:5], s[26:27], v[6:7]
	global_load_b32 v10, v[2:3], off
	s_wait_xcnt 0x0
	v_mul_u64_e32 v[2:3], s[24:25], v[8:9]
	s_delay_alu instid0(VALU_DEP_1) | instskip(NEXT) | instid1(VALU_DEP_1)
	v_lshl_add_u64 v[2:3], v[2:3], 2, s[0:1]
	v_lshl_add_u64 v[2:3], v[4:5], 2, v[2:3]
	s_delay_alu instid0(VALU_DEP_1)
	v_lshl_add_u64 v[0:1], v[0:1], 2, v[2:3]
	s_wait_loadcnt 0x0
	global_store_b32 v[0:1], v10, off
.LBB63_14:
	s_endpgm
	.section	.rodata,"a",@progbits
	.p2align	6, 0x0
	.amdhsa_kernel _ZN2at6native12_GLOBAL__N_127reflection_pad3d_out_kernelIfEEvN5torch10headeronly6detail27GenericPackedTensorAccessorINS5_14TensorAccessorIN3c108ArrayRefIlEEKT_Lm4ENS4_16DefaultPtrTraitsElEENS_6detail16IndexBoundsCheckILm5ElEESC_Lm5ESD_lEENS6_INS7_ISA_SB_Lm4ESD_lEESH_SB_Lm5ESD_lEElllll
		.amdhsa_group_segment_fixed_size 0
		.amdhsa_private_segment_fixed_size 0
		.amdhsa_kernarg_size 472
		.amdhsa_user_sgpr_count 2
		.amdhsa_user_sgpr_dispatch_ptr 0
		.amdhsa_user_sgpr_queue_ptr 0
		.amdhsa_user_sgpr_kernarg_segment_ptr 1
		.amdhsa_user_sgpr_dispatch_id 0
		.amdhsa_user_sgpr_kernarg_preload_length 0
		.amdhsa_user_sgpr_kernarg_preload_offset 0
		.amdhsa_user_sgpr_private_segment_size 0
		.amdhsa_wavefront_size32 1
		.amdhsa_uses_dynamic_stack 0
		.amdhsa_enable_private_segment 0
		.amdhsa_system_sgpr_workgroup_id_x 1
		.amdhsa_system_sgpr_workgroup_id_y 1
		.amdhsa_system_sgpr_workgroup_id_z 1
		.amdhsa_system_sgpr_workgroup_info 0
		.amdhsa_system_vgpr_workitem_id 0
		.amdhsa_next_free_vgpr 34
		.amdhsa_next_free_sgpr 52
		.amdhsa_named_barrier_count 0
		.amdhsa_reserve_vcc 1
		.amdhsa_float_round_mode_32 0
		.amdhsa_float_round_mode_16_64 0
		.amdhsa_float_denorm_mode_32 3
		.amdhsa_float_denorm_mode_16_64 3
		.amdhsa_fp16_overflow 0
		.amdhsa_memory_ordered 1
		.amdhsa_forward_progress 1
		.amdhsa_inst_pref_size 25
		.amdhsa_round_robin_scheduling 0
		.amdhsa_exception_fp_ieee_invalid_op 0
		.amdhsa_exception_fp_denorm_src 0
		.amdhsa_exception_fp_ieee_div_zero 0
		.amdhsa_exception_fp_ieee_overflow 0
		.amdhsa_exception_fp_ieee_underflow 0
		.amdhsa_exception_fp_ieee_inexact 0
		.amdhsa_exception_int_div_zero 0
	.end_amdhsa_kernel
	.section	.text._ZN2at6native12_GLOBAL__N_127reflection_pad3d_out_kernelIfEEvN5torch10headeronly6detail27GenericPackedTensorAccessorINS5_14TensorAccessorIN3c108ArrayRefIlEEKT_Lm4ENS4_16DefaultPtrTraitsElEENS_6detail16IndexBoundsCheckILm5ElEESC_Lm5ESD_lEENS6_INS7_ISA_SB_Lm4ESD_lEESH_SB_Lm5ESD_lEElllll,"axG",@progbits,_ZN2at6native12_GLOBAL__N_127reflection_pad3d_out_kernelIfEEvN5torch10headeronly6detail27GenericPackedTensorAccessorINS5_14TensorAccessorIN3c108ArrayRefIlEEKT_Lm4ENS4_16DefaultPtrTraitsElEENS_6detail16IndexBoundsCheckILm5ElEESC_Lm5ESD_lEENS6_INS7_ISA_SB_Lm4ESD_lEESH_SB_Lm5ESD_lEElllll,comdat
.Lfunc_end63:
	.size	_ZN2at6native12_GLOBAL__N_127reflection_pad3d_out_kernelIfEEvN5torch10headeronly6detail27GenericPackedTensorAccessorINS5_14TensorAccessorIN3c108ArrayRefIlEEKT_Lm4ENS4_16DefaultPtrTraitsElEENS_6detail16IndexBoundsCheckILm5ElEESC_Lm5ESD_lEENS6_INS7_ISA_SB_Lm4ESD_lEESH_SB_Lm5ESD_lEElllll, .Lfunc_end63-_ZN2at6native12_GLOBAL__N_127reflection_pad3d_out_kernelIfEEvN5torch10headeronly6detail27GenericPackedTensorAccessorINS5_14TensorAccessorIN3c108ArrayRefIlEEKT_Lm4ENS4_16DefaultPtrTraitsElEENS_6detail16IndexBoundsCheckILm5ElEESC_Lm5ESD_lEENS6_INS7_ISA_SB_Lm4ESD_lEESH_SB_Lm5ESD_lEElllll
                                        ; -- End function
	.set _ZN2at6native12_GLOBAL__N_127reflection_pad3d_out_kernelIfEEvN5torch10headeronly6detail27GenericPackedTensorAccessorINS5_14TensorAccessorIN3c108ArrayRefIlEEKT_Lm4ENS4_16DefaultPtrTraitsElEENS_6detail16IndexBoundsCheckILm5ElEESC_Lm5ESD_lEENS6_INS7_ISA_SB_Lm4ESD_lEESH_SB_Lm5ESD_lEElllll.num_vgpr, 34
	.set _ZN2at6native12_GLOBAL__N_127reflection_pad3d_out_kernelIfEEvN5torch10headeronly6detail27GenericPackedTensorAccessorINS5_14TensorAccessorIN3c108ArrayRefIlEEKT_Lm4ENS4_16DefaultPtrTraitsElEENS_6detail16IndexBoundsCheckILm5ElEESC_Lm5ESD_lEENS6_INS7_ISA_SB_Lm4ESD_lEESH_SB_Lm5ESD_lEElllll.num_agpr, 0
	.set _ZN2at6native12_GLOBAL__N_127reflection_pad3d_out_kernelIfEEvN5torch10headeronly6detail27GenericPackedTensorAccessorINS5_14TensorAccessorIN3c108ArrayRefIlEEKT_Lm4ENS4_16DefaultPtrTraitsElEENS_6detail16IndexBoundsCheckILm5ElEESC_Lm5ESD_lEENS6_INS7_ISA_SB_Lm4ESD_lEESH_SB_Lm5ESD_lEElllll.numbered_sgpr, 52
	.set _ZN2at6native12_GLOBAL__N_127reflection_pad3d_out_kernelIfEEvN5torch10headeronly6detail27GenericPackedTensorAccessorINS5_14TensorAccessorIN3c108ArrayRefIlEEKT_Lm4ENS4_16DefaultPtrTraitsElEENS_6detail16IndexBoundsCheckILm5ElEESC_Lm5ESD_lEENS6_INS7_ISA_SB_Lm4ESD_lEESH_SB_Lm5ESD_lEElllll.num_named_barrier, 0
	.set _ZN2at6native12_GLOBAL__N_127reflection_pad3d_out_kernelIfEEvN5torch10headeronly6detail27GenericPackedTensorAccessorINS5_14TensorAccessorIN3c108ArrayRefIlEEKT_Lm4ENS4_16DefaultPtrTraitsElEENS_6detail16IndexBoundsCheckILm5ElEESC_Lm5ESD_lEENS6_INS7_ISA_SB_Lm4ESD_lEESH_SB_Lm5ESD_lEElllll.private_seg_size, 0
	.set _ZN2at6native12_GLOBAL__N_127reflection_pad3d_out_kernelIfEEvN5torch10headeronly6detail27GenericPackedTensorAccessorINS5_14TensorAccessorIN3c108ArrayRefIlEEKT_Lm4ENS4_16DefaultPtrTraitsElEENS_6detail16IndexBoundsCheckILm5ElEESC_Lm5ESD_lEENS6_INS7_ISA_SB_Lm4ESD_lEESH_SB_Lm5ESD_lEElllll.uses_vcc, 1
	.set _ZN2at6native12_GLOBAL__N_127reflection_pad3d_out_kernelIfEEvN5torch10headeronly6detail27GenericPackedTensorAccessorINS5_14TensorAccessorIN3c108ArrayRefIlEEKT_Lm4ENS4_16DefaultPtrTraitsElEENS_6detail16IndexBoundsCheckILm5ElEESC_Lm5ESD_lEENS6_INS7_ISA_SB_Lm4ESD_lEESH_SB_Lm5ESD_lEElllll.uses_flat_scratch, 0
	.set _ZN2at6native12_GLOBAL__N_127reflection_pad3d_out_kernelIfEEvN5torch10headeronly6detail27GenericPackedTensorAccessorINS5_14TensorAccessorIN3c108ArrayRefIlEEKT_Lm4ENS4_16DefaultPtrTraitsElEENS_6detail16IndexBoundsCheckILm5ElEESC_Lm5ESD_lEENS6_INS7_ISA_SB_Lm4ESD_lEESH_SB_Lm5ESD_lEElllll.has_dyn_sized_stack, 0
	.set _ZN2at6native12_GLOBAL__N_127reflection_pad3d_out_kernelIfEEvN5torch10headeronly6detail27GenericPackedTensorAccessorINS5_14TensorAccessorIN3c108ArrayRefIlEEKT_Lm4ENS4_16DefaultPtrTraitsElEENS_6detail16IndexBoundsCheckILm5ElEESC_Lm5ESD_lEENS6_INS7_ISA_SB_Lm4ESD_lEESH_SB_Lm5ESD_lEElllll.has_recursion, 0
	.set _ZN2at6native12_GLOBAL__N_127reflection_pad3d_out_kernelIfEEvN5torch10headeronly6detail27GenericPackedTensorAccessorINS5_14TensorAccessorIN3c108ArrayRefIlEEKT_Lm4ENS4_16DefaultPtrTraitsElEENS_6detail16IndexBoundsCheckILm5ElEESC_Lm5ESD_lEENS6_INS7_ISA_SB_Lm4ESD_lEESH_SB_Lm5ESD_lEElllll.has_indirect_call, 0
	.section	.AMDGPU.csdata,"",@progbits
; Kernel info:
; codeLenInByte = 3080
; TotalNumSgprs: 54
; NumVgprs: 34
; ScratchSize: 0
; MemoryBound: 0
; FloatMode: 240
; IeeeMode: 1
; LDSByteSize: 0 bytes/workgroup (compile time only)
; SGPRBlocks: 0
; VGPRBlocks: 2
; NumSGPRsForWavesPerEU: 54
; NumVGPRsForWavesPerEU: 34
; NamedBarCnt: 0
; Occupancy: 16
; WaveLimiterHint : 0
; COMPUTE_PGM_RSRC2:SCRATCH_EN: 0
; COMPUTE_PGM_RSRC2:USER_SGPR: 2
; COMPUTE_PGM_RSRC2:TRAP_HANDLER: 0
; COMPUTE_PGM_RSRC2:TGID_X_EN: 1
; COMPUTE_PGM_RSRC2:TGID_Y_EN: 1
; COMPUTE_PGM_RSRC2:TGID_Z_EN: 1
; COMPUTE_PGM_RSRC2:TIDIG_COMP_CNT: 0
	.section	.text._ZN2at6native12_GLOBAL__N_127reflection_pad3d_out_kernelIN3c107complexIdEEEEvN5torch10headeronly6detail27GenericPackedTensorAccessorINS8_14TensorAccessorINS3_8ArrayRefIlEEKT_Lm4ENS7_16DefaultPtrTraitsElEENS_6detail16IndexBoundsCheckILm5ElEESE_Lm5ESF_lEENS9_INSA_ISC_SD_Lm4ESF_lEESJ_SD_Lm5ESF_lEElllll,"axG",@progbits,_ZN2at6native12_GLOBAL__N_127reflection_pad3d_out_kernelIN3c107complexIdEEEEvN5torch10headeronly6detail27GenericPackedTensorAccessorINS8_14TensorAccessorINS3_8ArrayRefIlEEKT_Lm4ENS7_16DefaultPtrTraitsElEENS_6detail16IndexBoundsCheckILm5ElEESE_Lm5ESF_lEENS9_INSA_ISC_SD_Lm4ESF_lEESJ_SD_Lm5ESF_lEElllll,comdat
	.globl	_ZN2at6native12_GLOBAL__N_127reflection_pad3d_out_kernelIN3c107complexIdEEEEvN5torch10headeronly6detail27GenericPackedTensorAccessorINS8_14TensorAccessorINS3_8ArrayRefIlEEKT_Lm4ENS7_16DefaultPtrTraitsElEENS_6detail16IndexBoundsCheckILm5ElEESE_Lm5ESF_lEENS9_INSA_ISC_SD_Lm4ESF_lEESJ_SD_Lm5ESF_lEElllll ; -- Begin function _ZN2at6native12_GLOBAL__N_127reflection_pad3d_out_kernelIN3c107complexIdEEEEvN5torch10headeronly6detail27GenericPackedTensorAccessorINS8_14TensorAccessorINS3_8ArrayRefIlEEKT_Lm4ENS7_16DefaultPtrTraitsElEENS_6detail16IndexBoundsCheckILm5ElEESE_Lm5ESF_lEENS9_INSA_ISC_SD_Lm4ESF_lEESJ_SD_Lm5ESF_lEElllll
	.p2align	8
	.type	_ZN2at6native12_GLOBAL__N_127reflection_pad3d_out_kernelIN3c107complexIdEEEEvN5torch10headeronly6detail27GenericPackedTensorAccessorINS8_14TensorAccessorINS3_8ArrayRefIlEEKT_Lm4ENS7_16DefaultPtrTraitsElEENS_6detail16IndexBoundsCheckILm5ElEESE_Lm5ESF_lEENS9_INSA_ISC_SD_Lm4ESF_lEESJ_SD_Lm5ESF_lEElllll,@function
_ZN2at6native12_GLOBAL__N_127reflection_pad3d_out_kernelIN3c107complexIdEEEEvN5torch10headeronly6detail27GenericPackedTensorAccessorINS8_14TensorAccessorINS3_8ArrayRefIlEEKT_Lm4ENS7_16DefaultPtrTraitsElEENS_6detail16IndexBoundsCheckILm5ElEESE_Lm5ESF_lEENS9_INSA_ISC_SD_Lm4ESF_lEESJ_SD_Lm5ESF_lEElllll: ; @_ZN2at6native12_GLOBAL__N_127reflection_pad3d_out_kernelIN3c107complexIdEEEEvN5torch10headeronly6detail27GenericPackedTensorAccessorINS8_14TensorAccessorINS3_8ArrayRefIlEEKT_Lm4ENS7_16DefaultPtrTraitsElEENS_6detail16IndexBoundsCheckILm5ElEESE_Lm5ESF_lEENS9_INSA_ISC_SD_Lm4ESF_lEESJ_SD_Lm5ESF_lEElllll
; %bb.0:
	s_clause 0x2
	s_load_b32 s2, s[0:1], 0xe4
	s_load_b128 s[4:7], s[0:1], 0x70
	s_load_b64 s[28:29], s[0:1], 0x80
	s_bfe_u32 s3, ttmp6, 0x4000c
	v_mov_b32_e32 v2, 0
	s_add_co_i32 s3, s3, 1
	s_and_b32 s8, ttmp6, 15
	s_mul_i32 s3, ttmp9, s3
	s_getreg_b32 s33, hwreg(HW_REG_IB_STS2, 6, 4)
	v_mov_b32_e32 v1, v2
	s_add_co_i32 s8, s8, s3
	s_wait_kmcnt 0x0
	s_and_b32 s2, s2, 0xffff
	s_cmp_eq_u32 s33, 0
	s_mul_u64 s[30:31], s[28:29], s[6:7]
	s_cselect_b32 s3, ttmp9, s8
	s_delay_alu instid0(SALU_CYCLE_1)
	v_mad_nc_u64_u32 v[0:1], s2, s3, v[0:1]
	s_mul_u64 s[2:3], s[30:31], s[4:5]
	s_delay_alu instid0(VALU_DEP_1) | instid1(SALU_CYCLE_1)
	v_cmp_gt_i64_e32 vcc_lo, s[2:3], v[0:1]
	s_and_saveexec_b32 s2, vcc_lo
	s_cbranch_execz .LBB64_14
; %bb.1:
	v_or_b32_e32 v3, s29, v1
                                        ; implicit-def: $vgpr4_vgpr5
	s_delay_alu instid0(VALU_DEP_1) | instskip(SKIP_2) | instid1(SALU_CYCLE_1)
	v_cmp_ne_u64_e32 vcc_lo, 0, v[2:3]
	v_ashrrev_i32_e32 v2, 31, v1
	s_and_saveexec_b32 s2, vcc_lo
	s_xor_b32 s3, exec_lo, s2
	s_cbranch_execz .LBB64_3
; %bb.2:
	s_ashr_i32 s4, s29, 31
	s_mov_b32 s17, 0
	s_mov_b32 s5, s4
	v_dual_mov_b32 v3, v2 :: v_dual_mov_b32 v7, 0
	s_add_nc_u64 s[8:9], s[28:29], s[4:5]
	s_delay_alu instid0(SALU_CYCLE_1) | instskip(NEXT) | instid1(VALU_DEP_1)
	s_xor_b64 s[8:9], s[8:9], s[4:5]
	v_add_nc_u64_e32 v[4:5], v[0:1], v[2:3]
	s_cvt_f32_u32 s2, s8
	s_cvt_f32_u32 s5, s9
	s_sub_nc_u64 s[12:13], 0, s[8:9]
	v_dual_mov_b32 v9, v7 :: v_dual_mov_b32 v15, v7
	s_delay_alu instid0(SALU_CYCLE_1) | instskip(NEXT) | instid1(VALU_DEP_2)
	s_fmamk_f32 s2, s5, 0x4f800000, s2
	v_xor_b32_e32 v6, v4, v2
	v_xor_b32_e32 v8, v5, v2
	s_delay_alu instid0(SALU_CYCLE_1) | instskip(NEXT) | instid1(TRANS32_DEP_1)
	v_s_rcp_f32 s2, s2
	s_mul_f32 s2, s2, 0x5f7ffffc
	s_delay_alu instid0(SALU_CYCLE_3) | instskip(NEXT) | instid1(SALU_CYCLE_3)
	s_mul_f32 s5, s2, 0x2f800000
	s_trunc_f32 s5, s5
	s_delay_alu instid0(SALU_CYCLE_3) | instskip(SKIP_1) | instid1(SALU_CYCLE_2)
	s_fmamk_f32 s2, s5, 0xcf800000, s2
	s_cvt_u32_f32 s11, s5
	s_cvt_u32_f32 s10, s2
	s_delay_alu instid0(SALU_CYCLE_3) | instskip(NEXT) | instid1(SALU_CYCLE_1)
	s_mul_u64 s[14:15], s[12:13], s[10:11]
	s_mul_hi_u32 s19, s10, s15
	s_mul_i32 s18, s10, s15
	s_mul_hi_u32 s16, s10, s14
	s_mul_i32 s5, s11, s14
	s_add_nc_u64 s[18:19], s[16:17], s[18:19]
	s_mul_hi_u32 s2, s11, s14
	s_mul_hi_u32 s20, s11, s15
	s_add_co_u32 s5, s18, s5
	s_add_co_ci_u32 s16, s19, s2
	s_mul_i32 s14, s11, s15
	s_add_co_ci_u32 s15, s20, 0
	s_delay_alu instid0(SALU_CYCLE_1) | instskip(NEXT) | instid1(SALU_CYCLE_1)
	s_add_nc_u64 s[14:15], s[16:17], s[14:15]
	s_add_co_u32 s10, s10, s14
	s_cselect_b32 s2, -1, 0
	s_delay_alu instid0(SALU_CYCLE_1) | instskip(SKIP_1) | instid1(SALU_CYCLE_1)
	s_cmp_lg_u32 s2, 0
	s_add_co_ci_u32 s11, s11, s15
	s_mul_u64 s[12:13], s[12:13], s[10:11]
	s_delay_alu instid0(SALU_CYCLE_1)
	s_mul_hi_u32 s15, s10, s13
	s_mul_i32 s14, s10, s13
	s_mul_hi_u32 s16, s10, s12
	s_mul_i32 s5, s11, s12
	s_add_nc_u64 s[14:15], s[16:17], s[14:15]
	s_mul_hi_u32 s2, s11, s12
	s_mul_hi_u32 s18, s11, s13
	s_add_co_u32 s5, s14, s5
	s_add_co_ci_u32 s16, s15, s2
	s_mul_i32 s12, s11, s13
	s_add_co_ci_u32 s13, s18, 0
	s_delay_alu instid0(SALU_CYCLE_1) | instskip(NEXT) | instid1(SALU_CYCLE_1)
	s_add_nc_u64 s[12:13], s[16:17], s[12:13]
	s_add_co_u32 s2, s10, s12
	s_cselect_b32 s5, -1, 0
	v_nop
	v_mul_hi_u32 v14, v6, s2
	s_cmp_lg_u32 s5, 0
	s_add_co_ci_u32 s16, s11, s13
	s_mov_b64 s[10:11], 0xffffffff
	v_mul_u64_e32 v[10:11], s[16:17], v[6:7]
	s_and_b64 s[10:11], s[2:3], s[10:11]
	v_mul_u64_e32 v[12:13], s[16:17], v[8:9]
	v_mul_u64_e32 v[4:5], s[10:11], v[8:9]
	s_delay_alu instid0(VALU_DEP_3) | instskip(NEXT) | instid1(VALU_DEP_1)
	v_add_nc_u64_e32 v[10:11], v[14:15], v[10:11]
	v_add_co_u32 v3, vcc_lo, v10, v4
	s_delay_alu instid0(VALU_DEP_2) | instskip(SKIP_1) | instid1(VALU_DEP_1)
	v_add_co_ci_u32_e32 v14, vcc_lo, v11, v5, vcc_lo
	v_add_co_ci_u32_e32 v13, vcc_lo, 0, v13, vcc_lo
	v_add_nc_u64_e32 v[4:5], v[14:15], v[12:13]
	s_delay_alu instid0(VALU_DEP_1) | instskip(NEXT) | instid1(VALU_DEP_1)
	v_mul_u64_e32 v[10:11], s[8:9], v[4:5]
	v_sub_nc_u32_e32 v3, v8, v11
	s_delay_alu instid0(VALU_DEP_2) | instskip(NEXT) | instid1(VALU_DEP_1)
	v_sub_co_u32 v6, vcc_lo, v6, v10
	v_sub_co_ci_u32_e64 v10, null, v8, v11, vcc_lo
	s_delay_alu instid0(VALU_DEP_3) | instskip(NEXT) | instid1(VALU_DEP_3)
	v_subrev_co_ci_u32_e64 v3, null, s9, v3, vcc_lo
	v_sub_co_u32 v7, s2, v6, s8
	s_delay_alu instid0(VALU_DEP_1) | instskip(NEXT) | instid1(VALU_DEP_2)
	v_subrev_co_ci_u32_e64 v3, null, 0, v3, s2
	v_cmp_le_u32_e32 vcc_lo, s8, v7
	v_cndmask_b32_e64 v7, 0, -1, vcc_lo
	s_delay_alu instid0(VALU_DEP_3)
	v_cmp_le_u32_e32 vcc_lo, s9, v3
	v_cndmask_b32_e64 v8, 0, -1, vcc_lo
	v_cmp_le_u32_e32 vcc_lo, s8, v6
	v_cndmask_b32_e64 v11, 0, -1, vcc_lo
	;; [unrolled: 2-line block ×3, first 2 shown]
	v_cmp_eq_u32_e32 vcc_lo, s9, v3
	v_cndmask_b32_e32 v3, v8, v7, vcc_lo
	v_cmp_eq_u32_e32 vcc_lo, s9, v10
	v_add_nc_u64_e32 v[6:7], 2, v[4:5]
	v_add_nc_u64_e32 v[8:9], 1, v[4:5]
	v_cndmask_b32_e32 v10, v12, v11, vcc_lo
	v_cmp_ne_u32_e32 vcc_lo, 0, v3
	s_delay_alu instid0(VALU_DEP_2) | instskip(NEXT) | instid1(VALU_DEP_4)
	v_cmp_ne_u32_e64 s2, 0, v10
	v_dual_cndmask_b32 v3, v9, v7, vcc_lo :: v_dual_cndmask_b32 v7, v8, v6, vcc_lo
	s_delay_alu instid0(VALU_DEP_1) | instskip(NEXT) | instid1(VALU_DEP_1)
	v_dual_cndmask_b32 v4, v4, v7, s2 :: v_dual_bitop2_b32 v6, s4, v2 bitop3:0x14
	v_dual_cndmask_b32 v3, v5, v3, s2 :: v_dual_mov_b32 v7, v6
	s_delay_alu instid0(VALU_DEP_2) | instskip(NEXT) | instid1(VALU_DEP_2)
	v_xor_b32_e32 v4, v4, v6
	v_xor_b32_e32 v5, v3, v6
	s_delay_alu instid0(VALU_DEP_1)
	v_sub_nc_u64_e32 v[4:5], v[4:5], v[6:7]
.LBB64_3:
	s_and_not1_saveexec_b32 s2, s3
	s_cbranch_execz .LBB64_5
; %bb.4:
	v_cvt_f32_u32_e32 v3, s28
	s_sub_co_i32 s3, 0, s28
	s_delay_alu instid0(VALU_DEP_1) | instskip(SKIP_1) | instid1(TRANS32_DEP_1)
	v_rcp_iflag_f32_e32 v3, v3
	v_nop
	v_mul_f32_e32 v3, 0x4f7ffffe, v3
	s_delay_alu instid0(VALU_DEP_1) | instskip(NEXT) | instid1(VALU_DEP_1)
	v_cvt_u32_f32_e32 v3, v3
	v_mul_lo_u32 v4, s3, v3
	s_delay_alu instid0(VALU_DEP_1) | instskip(NEXT) | instid1(VALU_DEP_1)
	v_mul_hi_u32 v4, v3, v4
	v_add_nc_u32_e32 v3, v3, v4
	s_delay_alu instid0(VALU_DEP_1) | instskip(NEXT) | instid1(VALU_DEP_1)
	v_mul_hi_u32 v3, v0, v3
	v_mul_lo_u32 v4, v3, s28
	s_delay_alu instid0(VALU_DEP_1) | instskip(NEXT) | instid1(VALU_DEP_1)
	v_dual_add_nc_u32 v5, 1, v3 :: v_dual_sub_nc_u32 v4, v0, v4
	v_subrev_nc_u32_e32 v6, s28, v4
	v_cmp_le_u32_e32 vcc_lo, s28, v4
	s_delay_alu instid0(VALU_DEP_2) | instskip(NEXT) | instid1(VALU_DEP_1)
	v_dual_cndmask_b32 v4, v4, v6 :: v_dual_cndmask_b32 v3, v3, v5
	v_cmp_le_u32_e32 vcc_lo, s28, v4
	s_delay_alu instid0(VALU_DEP_2) | instskip(NEXT) | instid1(VALU_DEP_1)
	v_add_nc_u32_e32 v5, 1, v3
	v_dual_cndmask_b32 v4, v3, v5 :: v_dual_mov_b32 v5, 0
.LBB64_5:
	s_or_b32 exec_lo, exec_lo, s2
	s_delay_alu instid0(VALU_DEP_1) | instskip(SKIP_1) | instid1(VALU_DEP_1)
	v_dual_mov_b32 v8, 0 :: v_dual_bitop2_b32 v9, s7, v5 bitop3:0x54
                                        ; implicit-def: $vgpr6_vgpr7
	s_mov_b32 s2, exec_lo
	v_cmpx_ne_u64_e32 0, v[8:9]
	s_xor_b32 s3, exec_lo, s2
	s_cbranch_execz .LBB64_7
; %bb.6:
	s_ashr_i32 s4, s7, 31
	s_mov_b32 s15, 0
	s_mov_b32 s5, s4
	v_dual_mov_b32 v13, v8 :: v_dual_ashrrev_i32 v6, 31, v5
	s_add_nc_u64 s[8:9], s[6:7], s[4:5]
	v_mov_b32_e32 v15, v8
	s_xor_b64 s[4:5], s[8:9], s[4:5]
	s_delay_alu instid0(VALU_DEP_2)
	v_mov_b32_e32 v7, v6
	s_cvt_f32_u32 s2, s4
	s_cvt_f32_u32 s7, s5
	s_sub_nc_u64 s[10:11], 0, s[4:5]
	v_mov_b32_e32 v21, v8
	v_add_nc_u64_e32 v[10:11], v[4:5], v[6:7]
	s_fmamk_f32 s2, s7, 0x4f800000, s2
	v_mov_b32_e32 v9, v8
	s_delay_alu instid0(SALU_CYCLE_2) | instskip(NEXT) | instid1(VALU_DEP_2)
	v_s_rcp_f32 s2, s2
	v_xor_b32_e32 v12, v10, v6
	s_delay_alu instid0(VALU_DEP_3) | instskip(NEXT) | instid1(TRANS32_DEP_1)
	v_xor_b32_e32 v14, v11, v6
	s_mul_f32 s2, s2, 0x5f7ffffc
	s_delay_alu instid0(SALU_CYCLE_3) | instskip(NEXT) | instid1(SALU_CYCLE_3)
	s_mul_f32 s7, s2, 0x2f800000
	s_trunc_f32 s7, s7
	s_delay_alu instid0(SALU_CYCLE_3) | instskip(SKIP_1) | instid1(SALU_CYCLE_2)
	s_fmamk_f32 s2, s7, 0xcf800000, s2
	s_cvt_u32_f32 s9, s7
	s_cvt_u32_f32 s8, s2
	s_delay_alu instid0(SALU_CYCLE_3) | instskip(NEXT) | instid1(SALU_CYCLE_1)
	s_mul_u64 s[12:13], s[10:11], s[8:9]
	s_mul_hi_u32 s17, s8, s13
	s_mul_i32 s16, s8, s13
	s_mul_hi_u32 s14, s8, s12
	s_mul_i32 s7, s9, s12
	s_add_nc_u64 s[16:17], s[14:15], s[16:17]
	s_mul_hi_u32 s2, s9, s12
	s_mul_hi_u32 s18, s9, s13
	s_add_co_u32 s7, s16, s7
	s_add_co_ci_u32 s14, s17, s2
	s_mul_i32 s12, s9, s13
	s_add_co_ci_u32 s13, s18, 0
	s_delay_alu instid0(SALU_CYCLE_1) | instskip(NEXT) | instid1(SALU_CYCLE_1)
	s_add_nc_u64 s[12:13], s[14:15], s[12:13]
	s_add_co_u32 s8, s8, s12
	s_cselect_b32 s2, -1, 0
	s_delay_alu instid0(SALU_CYCLE_1) | instskip(SKIP_1) | instid1(SALU_CYCLE_1)
	s_cmp_lg_u32 s2, 0
	s_add_co_ci_u32 s9, s9, s13
	s_mul_u64 s[10:11], s[10:11], s[8:9]
	s_delay_alu instid0(SALU_CYCLE_1)
	s_mul_hi_u32 s13, s8, s11
	s_mul_i32 s12, s8, s11
	s_mul_hi_u32 s14, s8, s10
	s_mul_i32 s7, s9, s10
	s_add_nc_u64 s[12:13], s[14:15], s[12:13]
	s_mul_hi_u32 s2, s9, s10
	s_mul_hi_u32 s16, s9, s11
	s_add_co_u32 s7, s12, s7
	s_add_co_ci_u32 s14, s13, s2
	s_mul_i32 s10, s9, s11
	s_add_co_ci_u32 s11, s16, 0
	s_delay_alu instid0(SALU_CYCLE_1) | instskip(NEXT) | instid1(SALU_CYCLE_1)
	s_add_nc_u64 s[10:11], s[14:15], s[10:11]
	s_add_co_u32 s2, s8, s10
	s_cselect_b32 s7, -1, 0
	v_mul_hi_u32 v20, v12, s2
	s_cmp_lg_u32 s7, 0
	s_add_co_ci_u32 s14, s9, s11
	s_mov_b64 s[8:9], 0xffffffff
	v_mul_u64_e32 v[16:17], s[14:15], v[12:13]
	s_and_b64 s[8:9], s[2:3], s[8:9]
	v_mul_u64_e32 v[18:19], s[14:15], v[14:15]
	v_mul_u64_e32 v[10:11], s[8:9], v[14:15]
	s_delay_alu instid0(VALU_DEP_3) | instskip(NEXT) | instid1(VALU_DEP_1)
	v_add_nc_u64_e32 v[16:17], v[20:21], v[16:17]
	v_add_co_u32 v3, vcc_lo, v16, v10
	s_delay_alu instid0(VALU_DEP_2) | instskip(SKIP_1) | instid1(VALU_DEP_1)
	v_add_co_ci_u32_e32 v8, vcc_lo, v17, v11, vcc_lo
	v_add_co_ci_u32_e32 v19, vcc_lo, 0, v19, vcc_lo
	v_add_nc_u64_e32 v[8:9], v[8:9], v[18:19]
	s_delay_alu instid0(VALU_DEP_1) | instskip(NEXT) | instid1(VALU_DEP_1)
	v_mul_u64_e32 v[8:9], s[4:5], v[8:9]
	v_sub_co_u32 v8, vcc_lo, v12, v8
	s_delay_alu instid0(VALU_DEP_1) | instskip(NEXT) | instid1(VALU_DEP_1)
	v_cmp_le_u32_e64 s2, s4, v8
	v_cndmask_b32_e64 v12, 0, -1, s2
	s_delay_alu instid0(VALU_DEP_4) | instskip(SKIP_1) | instid1(VALU_DEP_2)
	v_sub_nc_u32_e32 v3, v14, v9
	v_sub_co_ci_u32_e64 v9, null, v14, v9, vcc_lo
	v_subrev_co_ci_u32_e64 v3, null, s5, v3, vcc_lo
	v_sub_co_u32 v10, vcc_lo, v8, s4
	s_delay_alu instid0(VALU_DEP_1) | instskip(NEXT) | instid1(VALU_DEP_2)
	v_subrev_co_ci_u32_e64 v11, null, 0, v3, vcc_lo
	v_cmp_le_u32_e64 s2, s4, v10
	v_subrev_co_ci_u32_e64 v3, null, s5, v3, vcc_lo
	v_cmp_le_u32_e32 vcc_lo, s5, v9
	s_delay_alu instid0(VALU_DEP_3) | instskip(SKIP_3) | instid1(VALU_DEP_3)
	v_cndmask_b32_e64 v13, 0, -1, s2
	v_cmp_le_u32_e64 s2, s5, v11
	v_cndmask_b32_e64 v15, 0, -1, vcc_lo
	v_cmp_eq_u32_e32 vcc_lo, s5, v11
	v_cndmask_b32_e64 v14, 0, -1, s2
	v_cmp_eq_u32_e64 s2, s5, v9
	s_delay_alu instid0(VALU_DEP_2) | instskip(SKIP_1) | instid1(VALU_DEP_1)
	v_cndmask_b32_e32 v13, v14, v13, vcc_lo
	v_sub_co_u32 v14, vcc_lo, v10, s4
	v_subrev_co_ci_u32_e64 v3, null, 0, v3, vcc_lo
	s_delay_alu instid0(VALU_DEP_3) | instskip(SKIP_1) | instid1(VALU_DEP_3)
	v_cmp_ne_u32_e32 vcc_lo, 0, v13
	v_cndmask_b32_e64 v12, v15, v12, s2
	v_dual_cndmask_b32 v3, v11, v3 :: v_dual_cndmask_b32 v10, v10, v14
	s_delay_alu instid0(VALU_DEP_2) | instskip(NEXT) | instid1(VALU_DEP_2)
	v_cmp_ne_u32_e32 vcc_lo, 0, v12
	v_dual_cndmask_b32 v3, v9, v3 :: v_dual_cndmask_b32 v8, v8, v10
	s_delay_alu instid0(VALU_DEP_1) | instskip(NEXT) | instid1(VALU_DEP_2)
	v_xor_b32_e32 v9, v3, v6
	v_xor_b32_e32 v8, v8, v6
	s_delay_alu instid0(VALU_DEP_1)
	v_sub_nc_u64_e32 v[6:7], v[8:9], v[6:7]
.LBB64_7:
	s_or_saveexec_b32 s2, s3
	s_clause 0x1
	s_load_b64 s[34:35], s[0:1], 0xa8
	s_load_b256 s[20:27], s[0:1], 0x88
	s_xor_b32 exec_lo, exec_lo, s2
	s_cbranch_execz .LBB64_9
; %bb.8:
	v_cvt_f32_u32_e32 v3, s6
	s_sub_co_i32 s3, 0, s6
	v_mov_b32_e32 v7, 0
	s_delay_alu instid0(VALU_DEP_2) | instskip(SKIP_1) | instid1(TRANS32_DEP_1)
	v_rcp_iflag_f32_e32 v3, v3
	v_nop
	v_mul_f32_e32 v3, 0x4f7ffffe, v3
	s_delay_alu instid0(VALU_DEP_1) | instskip(NEXT) | instid1(VALU_DEP_1)
	v_cvt_u32_f32_e32 v3, v3
	v_mul_lo_u32 v6, s3, v3
	s_delay_alu instid0(VALU_DEP_1) | instskip(NEXT) | instid1(VALU_DEP_1)
	v_mul_hi_u32 v6, v3, v6
	v_add_nc_u32_e32 v3, v3, v6
	s_delay_alu instid0(VALU_DEP_1) | instskip(NEXT) | instid1(VALU_DEP_1)
	v_mul_hi_u32 v3, v4, v3
	v_mul_lo_u32 v3, v3, s6
	s_delay_alu instid0(VALU_DEP_1) | instskip(NEXT) | instid1(VALU_DEP_1)
	v_sub_nc_u32_e32 v3, v4, v3
	v_subrev_nc_u32_e32 v6, s6, v3
	v_cmp_le_u32_e32 vcc_lo, s6, v3
	s_delay_alu instid0(VALU_DEP_2) | instskip(NEXT) | instid1(VALU_DEP_1)
	v_cndmask_b32_e32 v3, v3, v6, vcc_lo
	v_subrev_nc_u32_e32 v6, s6, v3
	v_cmp_le_u32_e32 vcc_lo, s6, v3
	s_delay_alu instid0(VALU_DEP_2)
	v_cndmask_b32_e32 v6, v3, v6, vcc_lo
.LBB64_9:
	s_or_b32 exec_lo, exec_lo, s2
	v_dual_mov_b32 v10, 0 :: v_dual_bitop2_b32 v11, s31, v1 bitop3:0x54
                                        ; implicit-def: $vgpr8_vgpr9
	s_mov_b32 s2, exec_lo
	s_delay_alu instid0(VALU_DEP_1)
	v_cmpx_ne_u64_e32 0, v[10:11]
	s_xor_b32 s3, exec_lo, s2
	s_cbranch_execz .LBB64_11
; %bb.10:
	s_ashr_i32 s4, s31, 31
	s_mov_b32 s15, 0
	s_mov_b32 s5, s4
	v_dual_mov_b32 v3, v2 :: v_dual_mov_b32 v13, v10
	s_add_nc_u64 s[6:7], s[30:31], s[4:5]
	v_mov_b32_e32 v11, v10
	s_xor_b64 s[6:7], s[6:7], s[4:5]
	s_delay_alu instid0(VALU_DEP_2) | instskip(SKIP_4) | instid1(SALU_CYCLE_1)
	v_add_nc_u64_e32 v[8:9], v[0:1], v[2:3]
	s_cvt_f32_u32 s2, s6
	s_cvt_f32_u32 s5, s7
	s_sub_nc_u64 s[10:11], 0, s[6:7]
	v_dual_mov_b32 v15, v10 :: v_dual_mov_b32 v21, v10
	s_fmamk_f32 s2, s5, 0x4f800000, s2
	s_delay_alu instid0(VALU_DEP_2) | instskip(SKIP_3) | instid1(TRANS32_DEP_1)
	v_xor_b32_e32 v12, v8, v2
	v_xor_b32_e32 v14, v9, v2
	;; [unrolled: 1-line block ×3, first 2 shown]
	v_s_rcp_f32 s2, s2
	s_mul_f32 s2, s2, 0x5f7ffffc
	s_delay_alu instid0(SALU_CYCLE_3) | instskip(NEXT) | instid1(SALU_CYCLE_3)
	s_mul_f32 s5, s2, 0x2f800000
	s_trunc_f32 s5, s5
	s_delay_alu instid0(SALU_CYCLE_3) | instskip(SKIP_1) | instid1(SALU_CYCLE_2)
	s_fmamk_f32 s2, s5, 0xcf800000, s2
	s_cvt_u32_f32 s9, s5
	s_cvt_u32_f32 s8, s2
	s_delay_alu instid0(SALU_CYCLE_3) | instskip(NEXT) | instid1(SALU_CYCLE_1)
	s_mul_u64 s[12:13], s[10:11], s[8:9]
	s_mul_hi_u32 s17, s8, s13
	s_mul_i32 s16, s8, s13
	s_mul_hi_u32 s14, s8, s12
	s_mul_i32 s5, s9, s12
	s_add_nc_u64 s[16:17], s[14:15], s[16:17]
	s_mul_hi_u32 s2, s9, s12
	s_mul_hi_u32 s18, s9, s13
	s_add_co_u32 s5, s16, s5
	s_add_co_ci_u32 s14, s17, s2
	s_mul_i32 s12, s9, s13
	s_add_co_ci_u32 s13, s18, 0
	s_delay_alu instid0(SALU_CYCLE_1) | instskip(NEXT) | instid1(SALU_CYCLE_1)
	s_add_nc_u64 s[12:13], s[14:15], s[12:13]
	s_add_co_u32 s8, s8, s12
	s_cselect_b32 s2, -1, 0
	s_delay_alu instid0(SALU_CYCLE_1) | instskip(SKIP_1) | instid1(SALU_CYCLE_1)
	s_cmp_lg_u32 s2, 0
	s_add_co_ci_u32 s9, s9, s13
	s_mul_u64 s[10:11], s[10:11], s[8:9]
	s_delay_alu instid0(SALU_CYCLE_1)
	s_mul_hi_u32 s13, s8, s11
	s_mul_i32 s12, s8, s11
	s_mul_hi_u32 s14, s8, s10
	s_mul_i32 s5, s9, s10
	s_add_nc_u64 s[12:13], s[14:15], s[12:13]
	s_mul_hi_u32 s2, s9, s10
	s_mul_hi_u32 s16, s9, s11
	s_add_co_u32 s5, s12, s5
	s_add_co_ci_u32 s14, s13, s2
	s_mul_i32 s10, s9, s11
	s_add_co_ci_u32 s11, s16, 0
	s_delay_alu instid0(SALU_CYCLE_1) | instskip(NEXT) | instid1(SALU_CYCLE_1)
	s_add_nc_u64 s[10:11], s[14:15], s[10:11]
	s_add_co_u32 s2, s8, s10
	s_cselect_b32 s5, -1, 0
	v_nop
	v_mul_hi_u32 v20, v12, s2
	s_cmp_lg_u32 s5, 0
	s_add_co_ci_u32 s14, s9, s11
	s_mov_b64 s[8:9], 0xffffffff
	v_mul_u64_e32 v[16:17], s[14:15], v[12:13]
	s_and_b64 s[8:9], s[2:3], s[8:9]
	v_mul_u64_e32 v[18:19], s[14:15], v[14:15]
	v_mul_u64_e32 v[8:9], s[8:9], v[14:15]
	s_delay_alu instid0(VALU_DEP_3) | instskip(NEXT) | instid1(VALU_DEP_1)
	v_add_nc_u64_e32 v[16:17], v[20:21], v[16:17]
	v_add_co_u32 v3, vcc_lo, v16, v8
	s_delay_alu instid0(VALU_DEP_2) | instskip(SKIP_1) | instid1(VALU_DEP_1)
	v_add_co_ci_u32_e32 v10, vcc_lo, v17, v9, vcc_lo
	v_add_co_ci_u32_e32 v19, vcc_lo, 0, v19, vcc_lo
	v_add_nc_u64_e32 v[8:9], v[10:11], v[18:19]
	s_delay_alu instid0(VALU_DEP_1) | instskip(NEXT) | instid1(VALU_DEP_1)
	v_mul_u64_e32 v[10:11], s[6:7], v[8:9]
	v_sub_nc_u32_e32 v3, v14, v11
	s_delay_alu instid0(VALU_DEP_2) | instskip(NEXT) | instid1(VALU_DEP_1)
	v_sub_co_u32 v10, vcc_lo, v12, v10
	v_sub_co_ci_u32_e64 v14, null, v14, v11, vcc_lo
	s_delay_alu instid0(VALU_DEP_3) | instskip(NEXT) | instid1(VALU_DEP_3)
	v_subrev_co_ci_u32_e64 v3, null, s7, v3, vcc_lo
	v_sub_co_u32 v12, s2, v10, s6
	s_delay_alu instid0(VALU_DEP_1) | instskip(NEXT) | instid1(VALU_DEP_2)
	v_subrev_co_ci_u32_e64 v3, null, 0, v3, s2
	v_cmp_le_u32_e32 vcc_lo, s6, v12
	v_cndmask_b32_e64 v11, 0, -1, vcc_lo
	s_delay_alu instid0(VALU_DEP_3)
	v_cmp_le_u32_e32 vcc_lo, s7, v3
	v_cndmask_b32_e64 v12, 0, -1, vcc_lo
	v_cmp_le_u32_e32 vcc_lo, s6, v10
	v_cndmask_b32_e64 v15, 0, -1, vcc_lo
	;; [unrolled: 2-line block ×3, first 2 shown]
	v_cmp_eq_u32_e32 vcc_lo, s7, v3
	v_cndmask_b32_e32 v3, v12, v11, vcc_lo
	v_cmp_eq_u32_e32 vcc_lo, s7, v14
	v_add_nc_u64_e32 v[10:11], 2, v[8:9]
	v_add_nc_u64_e32 v[12:13], 1, v[8:9]
	v_cndmask_b32_e32 v14, v16, v15, vcc_lo
	v_cmp_ne_u32_e32 vcc_lo, 0, v3
	s_delay_alu instid0(VALU_DEP_2) | instskip(NEXT) | instid1(VALU_DEP_4)
	v_cmp_ne_u32_e64 s2, 0, v14
	v_dual_cndmask_b32 v10, v12, v10 :: v_dual_cndmask_b32 v3, v13, v11
	s_delay_alu instid0(VALU_DEP_1) | instskip(NEXT) | instid1(VALU_DEP_1)
	v_dual_cndmask_b32 v8, v8, v10, s2 :: v_dual_cndmask_b32 v9, v9, v3, s2
	v_dual_mov_b32 v3, v2 :: v_dual_bitop2_b32 v8, v8, v2 bitop3:0x14
	s_delay_alu instid0(VALU_DEP_2) | instskip(NEXT) | instid1(VALU_DEP_1)
	v_xor_b32_e32 v9, v9, v2
	v_sub_nc_u64_e32 v[8:9], v[8:9], v[2:3]
.LBB64_11:
	s_or_saveexec_b32 s31, s3
	s_clause 0x2
	s_load_b64 s[2:3], s[0:1], 0x58
	s_load_b64 s[44:45], s[0:1], 0x0
	s_load_b512 s[4:19], s[0:1], 0x18
	s_xor_b32 exec_lo, exec_lo, s31
	s_cbranch_execz .LBB64_13
; %bb.12:
	v_cvt_f32_u32_e32 v2, s30
	s_sub_co_i32 s36, 0, s30
	s_delay_alu instid0(VALU_DEP_1) | instskip(SKIP_1) | instid1(TRANS32_DEP_1)
	v_rcp_iflag_f32_e32 v2, v2
	v_nop
	v_mul_f32_e32 v2, 0x4f7ffffe, v2
	s_delay_alu instid0(VALU_DEP_1) | instskip(NEXT) | instid1(VALU_DEP_1)
	v_cvt_u32_f32_e32 v2, v2
	v_mul_lo_u32 v3, s36, v2
	s_delay_alu instid0(VALU_DEP_1) | instskip(NEXT) | instid1(VALU_DEP_1)
	v_mul_hi_u32 v3, v2, v3
	v_add_nc_u32_e32 v2, v2, v3
	s_delay_alu instid0(VALU_DEP_1) | instskip(NEXT) | instid1(VALU_DEP_1)
	v_mul_hi_u32 v2, v0, v2
	v_mul_lo_u32 v3, v2, s30
	s_delay_alu instid0(VALU_DEP_1) | instskip(NEXT) | instid1(VALU_DEP_1)
	v_dual_add_nc_u32 v8, 1, v2 :: v_dual_sub_nc_u32 v3, v0, v3
	v_subrev_nc_u32_e32 v9, s30, v3
	v_cmp_le_u32_e32 vcc_lo, s30, v3
	s_delay_alu instid0(VALU_DEP_2) | instskip(NEXT) | instid1(VALU_DEP_4)
	v_dual_cndmask_b32 v3, v3, v9, vcc_lo :: v_dual_mov_b32 v9, 0
	v_cndmask_b32_e32 v2, v2, v8, vcc_lo
	s_delay_alu instid0(VALU_DEP_2) | instskip(NEXT) | instid1(VALU_DEP_2)
	v_cmp_le_u32_e32 vcc_lo, s30, v3
	v_add_nc_u32_e32 v8, 1, v2
	s_delay_alu instid0(VALU_DEP_1)
	v_cndmask_b32_e32 v8, v2, v8, vcc_lo
.LBB64_13:
	s_or_b32 exec_lo, exec_lo, s31
	v_mul_u64_e32 v[2:3], s[28:29], v[4:5]
	s_load_b256 s[36:43], s[0:1], 0xb0
	s_wait_kmcnt 0x0
	v_max_i64 v[10:11], s[40:41], 0
	s_add_nc_u64 s[50:51], s[40:41], s[4:5]
	v_max_i64 v[14:15], s[38:39], 0
	v_sub_nc_u64_e64 v[16:17], v[8:9], s[50:51]
	s_add_nc_u64 s[48:49], s[38:39], s[6:7]
	s_sub_nc_u64 s[46:47], 0, s[40:41]
	v_sub_nc_u64_e64 v[12:13], v[6:7], s[48:49]
	v_max_i64 v[4:5], s[36:37], 0
	s_add_nc_u64 s[48:49], s[36:37], s[8:9]
	s_sub_nc_u64 s[30:31], 0, s[38:39]
	v_add_nc_u64_e32 v[22:23], 1, v[16:17]
	v_sub_nc_u64_e32 v[0:1], v[0:1], v[2:3]
	v_max_i64 v[2:3], s[46:47], 0
	v_not_b32_e32 v17, v17
	v_not_b32_e32 v16, v16
	v_add_nc_u64_e32 v[20:21], 1, v[12:13]
	v_not_b32_e32 v13, v13
	v_not_b32_e32 v12, v12
	v_sub_nc_u64_e64 v[24:25], v[0:1], s[48:49]
	v_max_i64 v[28:29], s[30:31], 0
	v_sub_nc_u64_e64 v[26:27], v[8:9], s[40:41]
	v_max_i64 v[16:17], v[22:23], v[16:17]
	s_sub_nc_u64 s[28:29], 0, s[36:37]
	v_max_i64 v[12:13], v[20:21], v[12:13]
	v_max_i64 v[22:23], s[28:29], 0
	v_add_nc_u64_e32 v[20:21], 1, v[24:25]
	v_sub_nc_u64_e64 v[18:19], v[6:7], s[38:39]
	v_not_b32_e32 v25, v25
	v_not_b32_e32 v24, v24
	v_sub_nc_u64_e32 v[30:31], 0, v[26:27]
	v_sub_nc_u64_e64 v[32:33], v[0:1], s[36:37]
	s_lshl_b64 s[30:31], s[40:41], 1
	v_not_b32_e32 v10, v10
	v_max_i64 v[20:21], v[20:21], v[24:25]
	v_sub_nc_u64_e32 v[24:25], 0, v[18:19]
	v_not_b32_e32 v11, v11
	v_max_i64 v[26:27], v[26:27], v[30:31]
	v_sub_nc_u64_e32 v[30:31], 0, v[32:33]
	v_not_b32_e32 v14, v14
	v_not_b32_e32 v15, v15
	v_add_nc_u64_e32 v[10:11], s[30:31], v[10:11]
	v_max_i64 v[18:19], v[18:19], v[24:25]
	s_lshl_b64 s[28:29], s[38:39], 1
	v_not_b32_e32 v4, v4
	v_not_b32_e32 v5, v5
	v_add_nc_u64_e32 v[14:15], s[28:29], v[14:15]
	v_max_i64 v[24:25], v[32:33], v[30:31]
	v_add_nc_u64_e32 v[2:3], v[10:11], v[2:3]
	s_lshl_b64 s[28:29], s[36:37], 1
	s_load_b64 s[0:1], s[0:1], 0xd0
	v_add_nc_u64_e32 v[4:5], s[28:29], v[4:5]
	s_delay_alu instid0(VALU_DEP_4) | instskip(SKIP_1) | instid1(VALU_DEP_4)
	v_add_nc_u64_e32 v[10:11], v[14:15], v[28:29]
	v_add_nc_u64_e32 v[14:15], v[8:9], v[16:17]
	v_add_nc_u64_e32 v[2:3], s[4:5], v[2:3]
	v_add_nc_u64_e32 v[12:13], v[6:7], v[12:13]
	s_bfe_u32 s4, ttmp6, 0x40014
	v_add_nc_u64_e32 v[4:5], v[4:5], v[22:23]
	s_bfe_u32 s5, ttmp6, 0x40010
	v_add_nc_u64_e32 v[10:11], s[6:7], v[10:11]
	s_lshr_b32 s6, ttmp7, 16
	v_sub_nc_u64_e32 v[2:3], v[2:3], v[14:15]
	s_add_co_i32 s4, s4, 1
	s_add_co_i32 s5, s5, 1
	v_add_nc_u64_e32 v[4:5], s[8:9], v[4:5]
	v_add_nc_u64_e32 v[14:15], v[0:1], v[20:21]
	v_sub_nc_u64_e32 v[10:11], v[10:11], v[12:13]
	s_and_b32 s8, ttmp7, 0xffff
	v_add_nc_u64_e32 v[2:3], v[2:3], v[26:27]
	s_mul_i32 s4, s6, s4
	s_bfe_u32 s7, ttmp6, 0x40008
	s_mul_i32 s5, s8, s5
	v_sub_nc_u64_e32 v[4:5], v[4:5], v[14:15]
	v_add_nc_u64_e32 v[10:11], v[10:11], v[18:19]
	s_bfe_u32 s9, ttmp6, 0x40004
	v_mul_u64_e32 v[2:3], s[14:15], v[2:3]
	s_add_co_i32 s7, s7, s4
	s_add_co_i32 s9, s9, s5
	s_cmp_eq_u32 s33, 0
	v_add_nc_u64_e32 v[4:5], v[4:5], v[24:25]
	v_mul_u64_e32 v[10:11], s[16:17], v[10:11]
	s_mov_b32 s5, 0
	s_cselect_b32 s6, s6, s7
	s_mov_b32 s7, s5
	s_cselect_b32 s4, s8, s9
	s_wait_kmcnt 0x0
	s_add_nc_u64 s[0:1], s[0:1], s[6:7]
	v_mul_u64_e32 v[4:5], s[18:19], v[4:5]
	s_mul_u64 s[6:7], s[10:11], s[0:1]
	s_add_nc_u64 s[4:5], s[42:43], s[4:5]
	s_lshl_b64 s[6:7], s[6:7], 4
	s_mul_u64 s[8:9], s[12:13], s[4:5]
	s_add_nc_u64 s[6:7], s[44:45], s[6:7]
	s_lshl_b64 s[8:9], s[8:9], 4
	v_mul_u64_e32 v[8:9], s[24:25], v[8:9]
	s_add_nc_u64 s[6:7], s[6:7], s[8:9]
	v_mul_u64_e32 v[6:7], s[26:27], v[6:7]
	v_mul_u64_e32 v[0:1], s[34:35], v[0:1]
	s_mul_u64 s[0:1], s[20:21], s[0:1]
	s_mul_u64 s[4:5], s[22:23], s[4:5]
	s_lshl_b64 s[0:1], s[0:1], 4
	s_delay_alu instid0(SALU_CYCLE_1) | instskip(SKIP_1) | instid1(SALU_CYCLE_1)
	s_add_nc_u64 s[0:1], s[2:3], s[0:1]
	s_lshl_b64 s[2:3], s[4:5], 4
	s_add_nc_u64 s[0:1], s[0:1], s[2:3]
	v_lshl_add_u64 v[2:3], v[2:3], 4, s[6:7]
	s_delay_alu instid0(VALU_DEP_1) | instskip(NEXT) | instid1(VALU_DEP_1)
	v_lshl_add_u64 v[2:3], v[10:11], 4, v[2:3]
	v_lshl_add_u64 v[2:3], v[4:5], 4, v[2:3]
	global_load_b128 v[2:5], v[2:3], off
	v_lshl_add_u64 v[8:9], v[8:9], 4, s[0:1]
	s_delay_alu instid0(VALU_DEP_1) | instskip(NEXT) | instid1(VALU_DEP_1)
	v_lshl_add_u64 v[6:7], v[6:7], 4, v[8:9]
	v_lshl_add_u64 v[0:1], v[0:1], 4, v[6:7]
	s_wait_loadcnt 0x0
	global_store_b128 v[0:1], v[2:5], off
.LBB64_14:
	s_endpgm
	.section	.rodata,"a",@progbits
	.p2align	6, 0x0
	.amdhsa_kernel _ZN2at6native12_GLOBAL__N_127reflection_pad3d_out_kernelIN3c107complexIdEEEEvN5torch10headeronly6detail27GenericPackedTensorAccessorINS8_14TensorAccessorINS3_8ArrayRefIlEEKT_Lm4ENS7_16DefaultPtrTraitsElEENS_6detail16IndexBoundsCheckILm5ElEESE_Lm5ESF_lEENS9_INSA_ISC_SD_Lm4ESF_lEESJ_SD_Lm5ESF_lEElllll
		.amdhsa_group_segment_fixed_size 0
		.amdhsa_private_segment_fixed_size 0
		.amdhsa_kernarg_size 472
		.amdhsa_user_sgpr_count 2
		.amdhsa_user_sgpr_dispatch_ptr 0
		.amdhsa_user_sgpr_queue_ptr 0
		.amdhsa_user_sgpr_kernarg_segment_ptr 1
		.amdhsa_user_sgpr_dispatch_id 0
		.amdhsa_user_sgpr_kernarg_preload_length 0
		.amdhsa_user_sgpr_kernarg_preload_offset 0
		.amdhsa_user_sgpr_private_segment_size 0
		.amdhsa_wavefront_size32 1
		.amdhsa_uses_dynamic_stack 0
		.amdhsa_enable_private_segment 0
		.amdhsa_system_sgpr_workgroup_id_x 1
		.amdhsa_system_sgpr_workgroup_id_y 1
		.amdhsa_system_sgpr_workgroup_id_z 1
		.amdhsa_system_sgpr_workgroup_info 0
		.amdhsa_system_vgpr_workitem_id 0
		.amdhsa_next_free_vgpr 34
		.amdhsa_next_free_sgpr 52
		.amdhsa_named_barrier_count 0
		.amdhsa_reserve_vcc 1
		.amdhsa_float_round_mode_32 0
		.amdhsa_float_round_mode_16_64 0
		.amdhsa_float_denorm_mode_32 3
		.amdhsa_float_denorm_mode_16_64 3
		.amdhsa_fp16_overflow 0
		.amdhsa_memory_ordered 1
		.amdhsa_forward_progress 1
		.amdhsa_inst_pref_size 24
		.amdhsa_round_robin_scheduling 0
		.amdhsa_exception_fp_ieee_invalid_op 0
		.amdhsa_exception_fp_denorm_src 0
		.amdhsa_exception_fp_ieee_div_zero 0
		.amdhsa_exception_fp_ieee_overflow 0
		.amdhsa_exception_fp_ieee_underflow 0
		.amdhsa_exception_fp_ieee_inexact 0
		.amdhsa_exception_int_div_zero 0
	.end_amdhsa_kernel
	.section	.text._ZN2at6native12_GLOBAL__N_127reflection_pad3d_out_kernelIN3c107complexIdEEEEvN5torch10headeronly6detail27GenericPackedTensorAccessorINS8_14TensorAccessorINS3_8ArrayRefIlEEKT_Lm4ENS7_16DefaultPtrTraitsElEENS_6detail16IndexBoundsCheckILm5ElEESE_Lm5ESF_lEENS9_INSA_ISC_SD_Lm4ESF_lEESJ_SD_Lm5ESF_lEElllll,"axG",@progbits,_ZN2at6native12_GLOBAL__N_127reflection_pad3d_out_kernelIN3c107complexIdEEEEvN5torch10headeronly6detail27GenericPackedTensorAccessorINS8_14TensorAccessorINS3_8ArrayRefIlEEKT_Lm4ENS7_16DefaultPtrTraitsElEENS_6detail16IndexBoundsCheckILm5ElEESE_Lm5ESF_lEENS9_INSA_ISC_SD_Lm4ESF_lEESJ_SD_Lm5ESF_lEElllll,comdat
.Lfunc_end64:
	.size	_ZN2at6native12_GLOBAL__N_127reflection_pad3d_out_kernelIN3c107complexIdEEEEvN5torch10headeronly6detail27GenericPackedTensorAccessorINS8_14TensorAccessorINS3_8ArrayRefIlEEKT_Lm4ENS7_16DefaultPtrTraitsElEENS_6detail16IndexBoundsCheckILm5ElEESE_Lm5ESF_lEENS9_INSA_ISC_SD_Lm4ESF_lEESJ_SD_Lm5ESF_lEElllll, .Lfunc_end64-_ZN2at6native12_GLOBAL__N_127reflection_pad3d_out_kernelIN3c107complexIdEEEEvN5torch10headeronly6detail27GenericPackedTensorAccessorINS8_14TensorAccessorINS3_8ArrayRefIlEEKT_Lm4ENS7_16DefaultPtrTraitsElEENS_6detail16IndexBoundsCheckILm5ElEESE_Lm5ESF_lEENS9_INSA_ISC_SD_Lm4ESF_lEESJ_SD_Lm5ESF_lEElllll
                                        ; -- End function
	.set _ZN2at6native12_GLOBAL__N_127reflection_pad3d_out_kernelIN3c107complexIdEEEEvN5torch10headeronly6detail27GenericPackedTensorAccessorINS8_14TensorAccessorINS3_8ArrayRefIlEEKT_Lm4ENS7_16DefaultPtrTraitsElEENS_6detail16IndexBoundsCheckILm5ElEESE_Lm5ESF_lEENS9_INSA_ISC_SD_Lm4ESF_lEESJ_SD_Lm5ESF_lEElllll.num_vgpr, 34
	.set _ZN2at6native12_GLOBAL__N_127reflection_pad3d_out_kernelIN3c107complexIdEEEEvN5torch10headeronly6detail27GenericPackedTensorAccessorINS8_14TensorAccessorINS3_8ArrayRefIlEEKT_Lm4ENS7_16DefaultPtrTraitsElEENS_6detail16IndexBoundsCheckILm5ElEESE_Lm5ESF_lEENS9_INSA_ISC_SD_Lm4ESF_lEESJ_SD_Lm5ESF_lEElllll.num_agpr, 0
	.set _ZN2at6native12_GLOBAL__N_127reflection_pad3d_out_kernelIN3c107complexIdEEEEvN5torch10headeronly6detail27GenericPackedTensorAccessorINS8_14TensorAccessorINS3_8ArrayRefIlEEKT_Lm4ENS7_16DefaultPtrTraitsElEENS_6detail16IndexBoundsCheckILm5ElEESE_Lm5ESF_lEENS9_INSA_ISC_SD_Lm4ESF_lEESJ_SD_Lm5ESF_lEElllll.numbered_sgpr, 52
	.set _ZN2at6native12_GLOBAL__N_127reflection_pad3d_out_kernelIN3c107complexIdEEEEvN5torch10headeronly6detail27GenericPackedTensorAccessorINS8_14TensorAccessorINS3_8ArrayRefIlEEKT_Lm4ENS7_16DefaultPtrTraitsElEENS_6detail16IndexBoundsCheckILm5ElEESE_Lm5ESF_lEENS9_INSA_ISC_SD_Lm4ESF_lEESJ_SD_Lm5ESF_lEElllll.num_named_barrier, 0
	.set _ZN2at6native12_GLOBAL__N_127reflection_pad3d_out_kernelIN3c107complexIdEEEEvN5torch10headeronly6detail27GenericPackedTensorAccessorINS8_14TensorAccessorINS3_8ArrayRefIlEEKT_Lm4ENS7_16DefaultPtrTraitsElEENS_6detail16IndexBoundsCheckILm5ElEESE_Lm5ESF_lEENS9_INSA_ISC_SD_Lm4ESF_lEESJ_SD_Lm5ESF_lEElllll.private_seg_size, 0
	.set _ZN2at6native12_GLOBAL__N_127reflection_pad3d_out_kernelIN3c107complexIdEEEEvN5torch10headeronly6detail27GenericPackedTensorAccessorINS8_14TensorAccessorINS3_8ArrayRefIlEEKT_Lm4ENS7_16DefaultPtrTraitsElEENS_6detail16IndexBoundsCheckILm5ElEESE_Lm5ESF_lEENS9_INSA_ISC_SD_Lm4ESF_lEESJ_SD_Lm5ESF_lEElllll.uses_vcc, 1
	.set _ZN2at6native12_GLOBAL__N_127reflection_pad3d_out_kernelIN3c107complexIdEEEEvN5torch10headeronly6detail27GenericPackedTensorAccessorINS8_14TensorAccessorINS3_8ArrayRefIlEEKT_Lm4ENS7_16DefaultPtrTraitsElEENS_6detail16IndexBoundsCheckILm5ElEESE_Lm5ESF_lEENS9_INSA_ISC_SD_Lm4ESF_lEESJ_SD_Lm5ESF_lEElllll.uses_flat_scratch, 0
	.set _ZN2at6native12_GLOBAL__N_127reflection_pad3d_out_kernelIN3c107complexIdEEEEvN5torch10headeronly6detail27GenericPackedTensorAccessorINS8_14TensorAccessorINS3_8ArrayRefIlEEKT_Lm4ENS7_16DefaultPtrTraitsElEENS_6detail16IndexBoundsCheckILm5ElEESE_Lm5ESF_lEENS9_INSA_ISC_SD_Lm4ESF_lEESJ_SD_Lm5ESF_lEElllll.has_dyn_sized_stack, 0
	.set _ZN2at6native12_GLOBAL__N_127reflection_pad3d_out_kernelIN3c107complexIdEEEEvN5torch10headeronly6detail27GenericPackedTensorAccessorINS8_14TensorAccessorINS3_8ArrayRefIlEEKT_Lm4ENS7_16DefaultPtrTraitsElEENS_6detail16IndexBoundsCheckILm5ElEESE_Lm5ESF_lEENS9_INSA_ISC_SD_Lm4ESF_lEESJ_SD_Lm5ESF_lEElllll.has_recursion, 0
	.set _ZN2at6native12_GLOBAL__N_127reflection_pad3d_out_kernelIN3c107complexIdEEEEvN5torch10headeronly6detail27GenericPackedTensorAccessorINS8_14TensorAccessorINS3_8ArrayRefIlEEKT_Lm4ENS7_16DefaultPtrTraitsElEENS_6detail16IndexBoundsCheckILm5ElEESE_Lm5ESF_lEENS9_INSA_ISC_SD_Lm4ESF_lEESJ_SD_Lm5ESF_lEElllll.has_indirect_call, 0
	.section	.AMDGPU.csdata,"",@progbits
; Kernel info:
; codeLenInByte = 3072
; TotalNumSgprs: 54
; NumVgprs: 34
; ScratchSize: 0
; MemoryBound: 0
; FloatMode: 240
; IeeeMode: 1
; LDSByteSize: 0 bytes/workgroup (compile time only)
; SGPRBlocks: 0
; VGPRBlocks: 2
; NumSGPRsForWavesPerEU: 54
; NumVGPRsForWavesPerEU: 34
; NamedBarCnt: 0
; Occupancy: 16
; WaveLimiterHint : 0
; COMPUTE_PGM_RSRC2:SCRATCH_EN: 0
; COMPUTE_PGM_RSRC2:USER_SGPR: 2
; COMPUTE_PGM_RSRC2:TRAP_HANDLER: 0
; COMPUTE_PGM_RSRC2:TGID_X_EN: 1
; COMPUTE_PGM_RSRC2:TGID_Y_EN: 1
; COMPUTE_PGM_RSRC2:TGID_Z_EN: 1
; COMPUTE_PGM_RSRC2:TIDIG_COMP_CNT: 0
	.section	.text._ZN2at6native12_GLOBAL__N_127reflection_pad3d_out_kernelIN3c107complexIfEEEEvN5torch10headeronly6detail27GenericPackedTensorAccessorINS8_14TensorAccessorINS3_8ArrayRefIlEEKT_Lm4ENS7_16DefaultPtrTraitsElEENS_6detail16IndexBoundsCheckILm5ElEESE_Lm5ESF_lEENS9_INSA_ISC_SD_Lm4ESF_lEESJ_SD_Lm5ESF_lEElllll,"axG",@progbits,_ZN2at6native12_GLOBAL__N_127reflection_pad3d_out_kernelIN3c107complexIfEEEEvN5torch10headeronly6detail27GenericPackedTensorAccessorINS8_14TensorAccessorINS3_8ArrayRefIlEEKT_Lm4ENS7_16DefaultPtrTraitsElEENS_6detail16IndexBoundsCheckILm5ElEESE_Lm5ESF_lEENS9_INSA_ISC_SD_Lm4ESF_lEESJ_SD_Lm5ESF_lEElllll,comdat
	.globl	_ZN2at6native12_GLOBAL__N_127reflection_pad3d_out_kernelIN3c107complexIfEEEEvN5torch10headeronly6detail27GenericPackedTensorAccessorINS8_14TensorAccessorINS3_8ArrayRefIlEEKT_Lm4ENS7_16DefaultPtrTraitsElEENS_6detail16IndexBoundsCheckILm5ElEESE_Lm5ESF_lEENS9_INSA_ISC_SD_Lm4ESF_lEESJ_SD_Lm5ESF_lEElllll ; -- Begin function _ZN2at6native12_GLOBAL__N_127reflection_pad3d_out_kernelIN3c107complexIfEEEEvN5torch10headeronly6detail27GenericPackedTensorAccessorINS8_14TensorAccessorINS3_8ArrayRefIlEEKT_Lm4ENS7_16DefaultPtrTraitsElEENS_6detail16IndexBoundsCheckILm5ElEESE_Lm5ESF_lEENS9_INSA_ISC_SD_Lm4ESF_lEESJ_SD_Lm5ESF_lEElllll
	.p2align	8
	.type	_ZN2at6native12_GLOBAL__N_127reflection_pad3d_out_kernelIN3c107complexIfEEEEvN5torch10headeronly6detail27GenericPackedTensorAccessorINS8_14TensorAccessorINS3_8ArrayRefIlEEKT_Lm4ENS7_16DefaultPtrTraitsElEENS_6detail16IndexBoundsCheckILm5ElEESE_Lm5ESF_lEENS9_INSA_ISC_SD_Lm4ESF_lEESJ_SD_Lm5ESF_lEElllll,@function
_ZN2at6native12_GLOBAL__N_127reflection_pad3d_out_kernelIN3c107complexIfEEEEvN5torch10headeronly6detail27GenericPackedTensorAccessorINS8_14TensorAccessorINS3_8ArrayRefIlEEKT_Lm4ENS7_16DefaultPtrTraitsElEENS_6detail16IndexBoundsCheckILm5ElEESE_Lm5ESF_lEENS9_INSA_ISC_SD_Lm4ESF_lEESJ_SD_Lm5ESF_lEElllll: ; @_ZN2at6native12_GLOBAL__N_127reflection_pad3d_out_kernelIN3c107complexIfEEEEvN5torch10headeronly6detail27GenericPackedTensorAccessorINS8_14TensorAccessorINS3_8ArrayRefIlEEKT_Lm4ENS7_16DefaultPtrTraitsElEENS_6detail16IndexBoundsCheckILm5ElEESE_Lm5ESF_lEENS9_INSA_ISC_SD_Lm4ESF_lEESJ_SD_Lm5ESF_lEElllll
; %bb.0:
	s_clause 0x2
	s_load_b32 s2, s[0:1], 0xe4
	s_load_b128 s[4:7], s[0:1], 0x70
	s_load_b64 s[28:29], s[0:1], 0x80
	s_bfe_u32 s3, ttmp6, 0x4000c
	v_mov_b32_e32 v2, 0
	s_add_co_i32 s3, s3, 1
	s_and_b32 s8, ttmp6, 15
	s_mul_i32 s3, ttmp9, s3
	s_getreg_b32 s33, hwreg(HW_REG_IB_STS2, 6, 4)
	v_mov_b32_e32 v1, v2
	s_add_co_i32 s8, s8, s3
	s_wait_kmcnt 0x0
	s_and_b32 s2, s2, 0xffff
	s_cmp_eq_u32 s33, 0
	s_mul_u64 s[30:31], s[28:29], s[6:7]
	s_cselect_b32 s3, ttmp9, s8
	s_delay_alu instid0(SALU_CYCLE_1)
	v_mad_nc_u64_u32 v[0:1], s2, s3, v[0:1]
	s_mul_u64 s[2:3], s[30:31], s[4:5]
	s_delay_alu instid0(VALU_DEP_1) | instid1(SALU_CYCLE_1)
	v_cmp_gt_i64_e32 vcc_lo, s[2:3], v[0:1]
	s_and_saveexec_b32 s2, vcc_lo
	s_cbranch_execz .LBB65_14
; %bb.1:
	v_or_b32_e32 v3, s29, v1
                                        ; implicit-def: $vgpr4_vgpr5
	s_delay_alu instid0(VALU_DEP_1) | instskip(SKIP_2) | instid1(SALU_CYCLE_1)
	v_cmp_ne_u64_e32 vcc_lo, 0, v[2:3]
	v_ashrrev_i32_e32 v2, 31, v1
	s_and_saveexec_b32 s2, vcc_lo
	s_xor_b32 s3, exec_lo, s2
	s_cbranch_execz .LBB65_3
; %bb.2:
	s_ashr_i32 s4, s29, 31
	s_mov_b32 s17, 0
	s_mov_b32 s5, s4
	v_dual_mov_b32 v3, v2 :: v_dual_mov_b32 v7, 0
	s_add_nc_u64 s[8:9], s[28:29], s[4:5]
	s_delay_alu instid0(SALU_CYCLE_1) | instskip(NEXT) | instid1(VALU_DEP_1)
	s_xor_b64 s[8:9], s[8:9], s[4:5]
	v_add_nc_u64_e32 v[4:5], v[0:1], v[2:3]
	s_cvt_f32_u32 s2, s8
	s_cvt_f32_u32 s5, s9
	s_sub_nc_u64 s[12:13], 0, s[8:9]
	v_dual_mov_b32 v9, v7 :: v_dual_mov_b32 v15, v7
	s_delay_alu instid0(SALU_CYCLE_1) | instskip(NEXT) | instid1(VALU_DEP_2)
	s_fmamk_f32 s2, s5, 0x4f800000, s2
	v_xor_b32_e32 v6, v4, v2
	v_xor_b32_e32 v8, v5, v2
	s_delay_alu instid0(SALU_CYCLE_1) | instskip(NEXT) | instid1(TRANS32_DEP_1)
	v_s_rcp_f32 s2, s2
	s_mul_f32 s2, s2, 0x5f7ffffc
	s_delay_alu instid0(SALU_CYCLE_3) | instskip(NEXT) | instid1(SALU_CYCLE_3)
	s_mul_f32 s5, s2, 0x2f800000
	s_trunc_f32 s5, s5
	s_delay_alu instid0(SALU_CYCLE_3) | instskip(SKIP_1) | instid1(SALU_CYCLE_2)
	s_fmamk_f32 s2, s5, 0xcf800000, s2
	s_cvt_u32_f32 s11, s5
	s_cvt_u32_f32 s10, s2
	s_delay_alu instid0(SALU_CYCLE_3) | instskip(NEXT) | instid1(SALU_CYCLE_1)
	s_mul_u64 s[14:15], s[12:13], s[10:11]
	s_mul_hi_u32 s19, s10, s15
	s_mul_i32 s18, s10, s15
	s_mul_hi_u32 s16, s10, s14
	s_mul_i32 s5, s11, s14
	s_add_nc_u64 s[18:19], s[16:17], s[18:19]
	s_mul_hi_u32 s2, s11, s14
	s_mul_hi_u32 s20, s11, s15
	s_add_co_u32 s5, s18, s5
	s_add_co_ci_u32 s16, s19, s2
	s_mul_i32 s14, s11, s15
	s_add_co_ci_u32 s15, s20, 0
	s_delay_alu instid0(SALU_CYCLE_1) | instskip(NEXT) | instid1(SALU_CYCLE_1)
	s_add_nc_u64 s[14:15], s[16:17], s[14:15]
	s_add_co_u32 s10, s10, s14
	s_cselect_b32 s2, -1, 0
	s_delay_alu instid0(SALU_CYCLE_1) | instskip(SKIP_1) | instid1(SALU_CYCLE_1)
	s_cmp_lg_u32 s2, 0
	s_add_co_ci_u32 s11, s11, s15
	s_mul_u64 s[12:13], s[12:13], s[10:11]
	s_delay_alu instid0(SALU_CYCLE_1)
	s_mul_hi_u32 s15, s10, s13
	s_mul_i32 s14, s10, s13
	s_mul_hi_u32 s16, s10, s12
	s_mul_i32 s5, s11, s12
	s_add_nc_u64 s[14:15], s[16:17], s[14:15]
	s_mul_hi_u32 s2, s11, s12
	s_mul_hi_u32 s18, s11, s13
	s_add_co_u32 s5, s14, s5
	s_add_co_ci_u32 s16, s15, s2
	s_mul_i32 s12, s11, s13
	s_add_co_ci_u32 s13, s18, 0
	s_delay_alu instid0(SALU_CYCLE_1) | instskip(NEXT) | instid1(SALU_CYCLE_1)
	s_add_nc_u64 s[12:13], s[16:17], s[12:13]
	s_add_co_u32 s2, s10, s12
	s_cselect_b32 s5, -1, 0
	v_nop
	v_mul_hi_u32 v14, v6, s2
	s_cmp_lg_u32 s5, 0
	s_add_co_ci_u32 s16, s11, s13
	s_mov_b64 s[10:11], 0xffffffff
	v_mul_u64_e32 v[10:11], s[16:17], v[6:7]
	s_and_b64 s[10:11], s[2:3], s[10:11]
	v_mul_u64_e32 v[12:13], s[16:17], v[8:9]
	v_mul_u64_e32 v[4:5], s[10:11], v[8:9]
	s_delay_alu instid0(VALU_DEP_3) | instskip(NEXT) | instid1(VALU_DEP_1)
	v_add_nc_u64_e32 v[10:11], v[14:15], v[10:11]
	v_add_co_u32 v3, vcc_lo, v10, v4
	s_delay_alu instid0(VALU_DEP_2) | instskip(SKIP_1) | instid1(VALU_DEP_1)
	v_add_co_ci_u32_e32 v14, vcc_lo, v11, v5, vcc_lo
	v_add_co_ci_u32_e32 v13, vcc_lo, 0, v13, vcc_lo
	v_add_nc_u64_e32 v[4:5], v[14:15], v[12:13]
	s_delay_alu instid0(VALU_DEP_1) | instskip(NEXT) | instid1(VALU_DEP_1)
	v_mul_u64_e32 v[10:11], s[8:9], v[4:5]
	v_sub_nc_u32_e32 v3, v8, v11
	s_delay_alu instid0(VALU_DEP_2) | instskip(NEXT) | instid1(VALU_DEP_1)
	v_sub_co_u32 v6, vcc_lo, v6, v10
	v_sub_co_ci_u32_e64 v10, null, v8, v11, vcc_lo
	s_delay_alu instid0(VALU_DEP_3) | instskip(NEXT) | instid1(VALU_DEP_3)
	v_subrev_co_ci_u32_e64 v3, null, s9, v3, vcc_lo
	v_sub_co_u32 v7, s2, v6, s8
	s_delay_alu instid0(VALU_DEP_1) | instskip(NEXT) | instid1(VALU_DEP_2)
	v_subrev_co_ci_u32_e64 v3, null, 0, v3, s2
	v_cmp_le_u32_e32 vcc_lo, s8, v7
	v_cndmask_b32_e64 v7, 0, -1, vcc_lo
	s_delay_alu instid0(VALU_DEP_3)
	v_cmp_le_u32_e32 vcc_lo, s9, v3
	v_cndmask_b32_e64 v8, 0, -1, vcc_lo
	v_cmp_le_u32_e32 vcc_lo, s8, v6
	v_cndmask_b32_e64 v11, 0, -1, vcc_lo
	;; [unrolled: 2-line block ×3, first 2 shown]
	v_cmp_eq_u32_e32 vcc_lo, s9, v3
	v_cndmask_b32_e32 v3, v8, v7, vcc_lo
	v_cmp_eq_u32_e32 vcc_lo, s9, v10
	v_add_nc_u64_e32 v[6:7], 2, v[4:5]
	v_add_nc_u64_e32 v[8:9], 1, v[4:5]
	v_cndmask_b32_e32 v10, v12, v11, vcc_lo
	v_cmp_ne_u32_e32 vcc_lo, 0, v3
	s_delay_alu instid0(VALU_DEP_2) | instskip(NEXT) | instid1(VALU_DEP_4)
	v_cmp_ne_u32_e64 s2, 0, v10
	v_dual_cndmask_b32 v3, v9, v7, vcc_lo :: v_dual_cndmask_b32 v7, v8, v6, vcc_lo
	s_delay_alu instid0(VALU_DEP_1) | instskip(NEXT) | instid1(VALU_DEP_1)
	v_dual_cndmask_b32 v4, v4, v7, s2 :: v_dual_bitop2_b32 v6, s4, v2 bitop3:0x14
	v_dual_cndmask_b32 v3, v5, v3, s2 :: v_dual_mov_b32 v7, v6
	s_delay_alu instid0(VALU_DEP_2) | instskip(NEXT) | instid1(VALU_DEP_2)
	v_xor_b32_e32 v4, v4, v6
	v_xor_b32_e32 v5, v3, v6
	s_delay_alu instid0(VALU_DEP_1)
	v_sub_nc_u64_e32 v[4:5], v[4:5], v[6:7]
.LBB65_3:
	s_and_not1_saveexec_b32 s2, s3
	s_cbranch_execz .LBB65_5
; %bb.4:
	v_cvt_f32_u32_e32 v3, s28
	s_sub_co_i32 s3, 0, s28
	s_delay_alu instid0(VALU_DEP_1) | instskip(SKIP_1) | instid1(TRANS32_DEP_1)
	v_rcp_iflag_f32_e32 v3, v3
	v_nop
	v_mul_f32_e32 v3, 0x4f7ffffe, v3
	s_delay_alu instid0(VALU_DEP_1) | instskip(NEXT) | instid1(VALU_DEP_1)
	v_cvt_u32_f32_e32 v3, v3
	v_mul_lo_u32 v4, s3, v3
	s_delay_alu instid0(VALU_DEP_1) | instskip(NEXT) | instid1(VALU_DEP_1)
	v_mul_hi_u32 v4, v3, v4
	v_add_nc_u32_e32 v3, v3, v4
	s_delay_alu instid0(VALU_DEP_1) | instskip(NEXT) | instid1(VALU_DEP_1)
	v_mul_hi_u32 v3, v0, v3
	v_mul_lo_u32 v4, v3, s28
	s_delay_alu instid0(VALU_DEP_1) | instskip(NEXT) | instid1(VALU_DEP_1)
	v_dual_add_nc_u32 v5, 1, v3 :: v_dual_sub_nc_u32 v4, v0, v4
	v_subrev_nc_u32_e32 v6, s28, v4
	v_cmp_le_u32_e32 vcc_lo, s28, v4
	s_delay_alu instid0(VALU_DEP_2) | instskip(NEXT) | instid1(VALU_DEP_1)
	v_dual_cndmask_b32 v4, v4, v6 :: v_dual_cndmask_b32 v3, v3, v5
	v_cmp_le_u32_e32 vcc_lo, s28, v4
	s_delay_alu instid0(VALU_DEP_2) | instskip(NEXT) | instid1(VALU_DEP_1)
	v_add_nc_u32_e32 v5, 1, v3
	v_dual_cndmask_b32 v4, v3, v5 :: v_dual_mov_b32 v5, 0
.LBB65_5:
	s_or_b32 exec_lo, exec_lo, s2
	s_delay_alu instid0(VALU_DEP_1) | instskip(SKIP_1) | instid1(VALU_DEP_1)
	v_dual_mov_b32 v8, 0 :: v_dual_bitop2_b32 v9, s7, v5 bitop3:0x54
                                        ; implicit-def: $vgpr6_vgpr7
	s_mov_b32 s2, exec_lo
	v_cmpx_ne_u64_e32 0, v[8:9]
	s_xor_b32 s3, exec_lo, s2
	s_cbranch_execz .LBB65_7
; %bb.6:
	s_ashr_i32 s4, s7, 31
	s_mov_b32 s15, 0
	s_mov_b32 s5, s4
	v_dual_mov_b32 v13, v8 :: v_dual_ashrrev_i32 v6, 31, v5
	s_add_nc_u64 s[8:9], s[6:7], s[4:5]
	v_mov_b32_e32 v15, v8
	s_xor_b64 s[4:5], s[8:9], s[4:5]
	s_delay_alu instid0(VALU_DEP_2)
	v_mov_b32_e32 v7, v6
	s_cvt_f32_u32 s2, s4
	s_cvt_f32_u32 s7, s5
	s_sub_nc_u64 s[10:11], 0, s[4:5]
	v_mov_b32_e32 v21, v8
	v_add_nc_u64_e32 v[10:11], v[4:5], v[6:7]
	s_fmamk_f32 s2, s7, 0x4f800000, s2
	v_mov_b32_e32 v9, v8
	s_delay_alu instid0(SALU_CYCLE_2) | instskip(NEXT) | instid1(VALU_DEP_2)
	v_s_rcp_f32 s2, s2
	v_xor_b32_e32 v12, v10, v6
	s_delay_alu instid0(VALU_DEP_3) | instskip(NEXT) | instid1(TRANS32_DEP_1)
	v_xor_b32_e32 v14, v11, v6
	s_mul_f32 s2, s2, 0x5f7ffffc
	s_delay_alu instid0(SALU_CYCLE_3) | instskip(NEXT) | instid1(SALU_CYCLE_3)
	s_mul_f32 s7, s2, 0x2f800000
	s_trunc_f32 s7, s7
	s_delay_alu instid0(SALU_CYCLE_3) | instskip(SKIP_1) | instid1(SALU_CYCLE_2)
	s_fmamk_f32 s2, s7, 0xcf800000, s2
	s_cvt_u32_f32 s9, s7
	s_cvt_u32_f32 s8, s2
	s_delay_alu instid0(SALU_CYCLE_3) | instskip(NEXT) | instid1(SALU_CYCLE_1)
	s_mul_u64 s[12:13], s[10:11], s[8:9]
	s_mul_hi_u32 s17, s8, s13
	s_mul_i32 s16, s8, s13
	s_mul_hi_u32 s14, s8, s12
	s_mul_i32 s7, s9, s12
	s_add_nc_u64 s[16:17], s[14:15], s[16:17]
	s_mul_hi_u32 s2, s9, s12
	s_mul_hi_u32 s18, s9, s13
	s_add_co_u32 s7, s16, s7
	s_add_co_ci_u32 s14, s17, s2
	s_mul_i32 s12, s9, s13
	s_add_co_ci_u32 s13, s18, 0
	s_delay_alu instid0(SALU_CYCLE_1) | instskip(NEXT) | instid1(SALU_CYCLE_1)
	s_add_nc_u64 s[12:13], s[14:15], s[12:13]
	s_add_co_u32 s8, s8, s12
	s_cselect_b32 s2, -1, 0
	s_delay_alu instid0(SALU_CYCLE_1) | instskip(SKIP_1) | instid1(SALU_CYCLE_1)
	s_cmp_lg_u32 s2, 0
	s_add_co_ci_u32 s9, s9, s13
	s_mul_u64 s[10:11], s[10:11], s[8:9]
	s_delay_alu instid0(SALU_CYCLE_1)
	s_mul_hi_u32 s13, s8, s11
	s_mul_i32 s12, s8, s11
	s_mul_hi_u32 s14, s8, s10
	s_mul_i32 s7, s9, s10
	s_add_nc_u64 s[12:13], s[14:15], s[12:13]
	s_mul_hi_u32 s2, s9, s10
	s_mul_hi_u32 s16, s9, s11
	s_add_co_u32 s7, s12, s7
	s_add_co_ci_u32 s14, s13, s2
	s_mul_i32 s10, s9, s11
	s_add_co_ci_u32 s11, s16, 0
	s_delay_alu instid0(SALU_CYCLE_1) | instskip(NEXT) | instid1(SALU_CYCLE_1)
	s_add_nc_u64 s[10:11], s[14:15], s[10:11]
	s_add_co_u32 s2, s8, s10
	s_cselect_b32 s7, -1, 0
	v_mul_hi_u32 v20, v12, s2
	s_cmp_lg_u32 s7, 0
	s_add_co_ci_u32 s14, s9, s11
	s_mov_b64 s[8:9], 0xffffffff
	v_mul_u64_e32 v[16:17], s[14:15], v[12:13]
	s_and_b64 s[8:9], s[2:3], s[8:9]
	v_mul_u64_e32 v[18:19], s[14:15], v[14:15]
	v_mul_u64_e32 v[10:11], s[8:9], v[14:15]
	s_delay_alu instid0(VALU_DEP_3) | instskip(NEXT) | instid1(VALU_DEP_1)
	v_add_nc_u64_e32 v[16:17], v[20:21], v[16:17]
	v_add_co_u32 v3, vcc_lo, v16, v10
	s_delay_alu instid0(VALU_DEP_2) | instskip(SKIP_1) | instid1(VALU_DEP_1)
	v_add_co_ci_u32_e32 v8, vcc_lo, v17, v11, vcc_lo
	v_add_co_ci_u32_e32 v19, vcc_lo, 0, v19, vcc_lo
	v_add_nc_u64_e32 v[8:9], v[8:9], v[18:19]
	s_delay_alu instid0(VALU_DEP_1) | instskip(NEXT) | instid1(VALU_DEP_1)
	v_mul_u64_e32 v[8:9], s[4:5], v[8:9]
	v_sub_co_u32 v8, vcc_lo, v12, v8
	s_delay_alu instid0(VALU_DEP_1) | instskip(NEXT) | instid1(VALU_DEP_1)
	v_cmp_le_u32_e64 s2, s4, v8
	v_cndmask_b32_e64 v12, 0, -1, s2
	s_delay_alu instid0(VALU_DEP_4) | instskip(SKIP_1) | instid1(VALU_DEP_2)
	v_sub_nc_u32_e32 v3, v14, v9
	v_sub_co_ci_u32_e64 v9, null, v14, v9, vcc_lo
	v_subrev_co_ci_u32_e64 v3, null, s5, v3, vcc_lo
	v_sub_co_u32 v10, vcc_lo, v8, s4
	s_delay_alu instid0(VALU_DEP_1) | instskip(NEXT) | instid1(VALU_DEP_2)
	v_subrev_co_ci_u32_e64 v11, null, 0, v3, vcc_lo
	v_cmp_le_u32_e64 s2, s4, v10
	v_subrev_co_ci_u32_e64 v3, null, s5, v3, vcc_lo
	v_cmp_le_u32_e32 vcc_lo, s5, v9
	s_delay_alu instid0(VALU_DEP_3) | instskip(SKIP_3) | instid1(VALU_DEP_3)
	v_cndmask_b32_e64 v13, 0, -1, s2
	v_cmp_le_u32_e64 s2, s5, v11
	v_cndmask_b32_e64 v15, 0, -1, vcc_lo
	v_cmp_eq_u32_e32 vcc_lo, s5, v11
	v_cndmask_b32_e64 v14, 0, -1, s2
	v_cmp_eq_u32_e64 s2, s5, v9
	s_delay_alu instid0(VALU_DEP_2) | instskip(SKIP_1) | instid1(VALU_DEP_1)
	v_cndmask_b32_e32 v13, v14, v13, vcc_lo
	v_sub_co_u32 v14, vcc_lo, v10, s4
	v_subrev_co_ci_u32_e64 v3, null, 0, v3, vcc_lo
	s_delay_alu instid0(VALU_DEP_3) | instskip(SKIP_1) | instid1(VALU_DEP_3)
	v_cmp_ne_u32_e32 vcc_lo, 0, v13
	v_cndmask_b32_e64 v12, v15, v12, s2
	v_dual_cndmask_b32 v3, v11, v3 :: v_dual_cndmask_b32 v10, v10, v14
	s_delay_alu instid0(VALU_DEP_2) | instskip(NEXT) | instid1(VALU_DEP_2)
	v_cmp_ne_u32_e32 vcc_lo, 0, v12
	v_dual_cndmask_b32 v3, v9, v3 :: v_dual_cndmask_b32 v8, v8, v10
	s_delay_alu instid0(VALU_DEP_1) | instskip(NEXT) | instid1(VALU_DEP_2)
	v_xor_b32_e32 v9, v3, v6
	v_xor_b32_e32 v8, v8, v6
	s_delay_alu instid0(VALU_DEP_1)
	v_sub_nc_u64_e32 v[6:7], v[8:9], v[6:7]
.LBB65_7:
	s_or_saveexec_b32 s2, s3
	s_clause 0x1
	s_load_b64 s[34:35], s[0:1], 0xa8
	s_load_b256 s[20:27], s[0:1], 0x88
	s_xor_b32 exec_lo, exec_lo, s2
	s_cbranch_execz .LBB65_9
; %bb.8:
	v_cvt_f32_u32_e32 v3, s6
	s_sub_co_i32 s3, 0, s6
	v_mov_b32_e32 v7, 0
	s_delay_alu instid0(VALU_DEP_2) | instskip(SKIP_1) | instid1(TRANS32_DEP_1)
	v_rcp_iflag_f32_e32 v3, v3
	v_nop
	v_mul_f32_e32 v3, 0x4f7ffffe, v3
	s_delay_alu instid0(VALU_DEP_1) | instskip(NEXT) | instid1(VALU_DEP_1)
	v_cvt_u32_f32_e32 v3, v3
	v_mul_lo_u32 v6, s3, v3
	s_delay_alu instid0(VALU_DEP_1) | instskip(NEXT) | instid1(VALU_DEP_1)
	v_mul_hi_u32 v6, v3, v6
	v_add_nc_u32_e32 v3, v3, v6
	s_delay_alu instid0(VALU_DEP_1) | instskip(NEXT) | instid1(VALU_DEP_1)
	v_mul_hi_u32 v3, v4, v3
	v_mul_lo_u32 v3, v3, s6
	s_delay_alu instid0(VALU_DEP_1) | instskip(NEXT) | instid1(VALU_DEP_1)
	v_sub_nc_u32_e32 v3, v4, v3
	v_subrev_nc_u32_e32 v6, s6, v3
	v_cmp_le_u32_e32 vcc_lo, s6, v3
	s_delay_alu instid0(VALU_DEP_2) | instskip(NEXT) | instid1(VALU_DEP_1)
	v_cndmask_b32_e32 v3, v3, v6, vcc_lo
	v_subrev_nc_u32_e32 v6, s6, v3
	v_cmp_le_u32_e32 vcc_lo, s6, v3
	s_delay_alu instid0(VALU_DEP_2)
	v_cndmask_b32_e32 v6, v3, v6, vcc_lo
.LBB65_9:
	s_or_b32 exec_lo, exec_lo, s2
	v_dual_mov_b32 v10, 0 :: v_dual_bitop2_b32 v11, s31, v1 bitop3:0x54
                                        ; implicit-def: $vgpr8_vgpr9
	s_mov_b32 s2, exec_lo
	s_delay_alu instid0(VALU_DEP_1)
	v_cmpx_ne_u64_e32 0, v[10:11]
	s_xor_b32 s3, exec_lo, s2
	s_cbranch_execz .LBB65_11
; %bb.10:
	s_ashr_i32 s4, s31, 31
	s_mov_b32 s15, 0
	s_mov_b32 s5, s4
	v_dual_mov_b32 v3, v2 :: v_dual_mov_b32 v13, v10
	s_add_nc_u64 s[6:7], s[30:31], s[4:5]
	v_mov_b32_e32 v11, v10
	s_xor_b64 s[6:7], s[6:7], s[4:5]
	s_delay_alu instid0(VALU_DEP_2) | instskip(SKIP_4) | instid1(SALU_CYCLE_1)
	v_add_nc_u64_e32 v[8:9], v[0:1], v[2:3]
	s_cvt_f32_u32 s2, s6
	s_cvt_f32_u32 s5, s7
	s_sub_nc_u64 s[10:11], 0, s[6:7]
	v_dual_mov_b32 v15, v10 :: v_dual_mov_b32 v21, v10
	s_fmamk_f32 s2, s5, 0x4f800000, s2
	s_delay_alu instid0(VALU_DEP_2) | instskip(SKIP_3) | instid1(TRANS32_DEP_1)
	v_xor_b32_e32 v12, v8, v2
	v_xor_b32_e32 v14, v9, v2
	;; [unrolled: 1-line block ×3, first 2 shown]
	v_s_rcp_f32 s2, s2
	s_mul_f32 s2, s2, 0x5f7ffffc
	s_delay_alu instid0(SALU_CYCLE_3) | instskip(NEXT) | instid1(SALU_CYCLE_3)
	s_mul_f32 s5, s2, 0x2f800000
	s_trunc_f32 s5, s5
	s_delay_alu instid0(SALU_CYCLE_3) | instskip(SKIP_1) | instid1(SALU_CYCLE_2)
	s_fmamk_f32 s2, s5, 0xcf800000, s2
	s_cvt_u32_f32 s9, s5
	s_cvt_u32_f32 s8, s2
	s_delay_alu instid0(SALU_CYCLE_3) | instskip(NEXT) | instid1(SALU_CYCLE_1)
	s_mul_u64 s[12:13], s[10:11], s[8:9]
	s_mul_hi_u32 s17, s8, s13
	s_mul_i32 s16, s8, s13
	s_mul_hi_u32 s14, s8, s12
	s_mul_i32 s5, s9, s12
	s_add_nc_u64 s[16:17], s[14:15], s[16:17]
	s_mul_hi_u32 s2, s9, s12
	s_mul_hi_u32 s18, s9, s13
	s_add_co_u32 s5, s16, s5
	s_add_co_ci_u32 s14, s17, s2
	s_mul_i32 s12, s9, s13
	s_add_co_ci_u32 s13, s18, 0
	s_delay_alu instid0(SALU_CYCLE_1) | instskip(NEXT) | instid1(SALU_CYCLE_1)
	s_add_nc_u64 s[12:13], s[14:15], s[12:13]
	s_add_co_u32 s8, s8, s12
	s_cselect_b32 s2, -1, 0
	s_delay_alu instid0(SALU_CYCLE_1) | instskip(SKIP_1) | instid1(SALU_CYCLE_1)
	s_cmp_lg_u32 s2, 0
	s_add_co_ci_u32 s9, s9, s13
	s_mul_u64 s[10:11], s[10:11], s[8:9]
	s_delay_alu instid0(SALU_CYCLE_1)
	s_mul_hi_u32 s13, s8, s11
	s_mul_i32 s12, s8, s11
	s_mul_hi_u32 s14, s8, s10
	s_mul_i32 s5, s9, s10
	s_add_nc_u64 s[12:13], s[14:15], s[12:13]
	s_mul_hi_u32 s2, s9, s10
	s_mul_hi_u32 s16, s9, s11
	s_add_co_u32 s5, s12, s5
	s_add_co_ci_u32 s14, s13, s2
	s_mul_i32 s10, s9, s11
	s_add_co_ci_u32 s11, s16, 0
	s_delay_alu instid0(SALU_CYCLE_1) | instskip(NEXT) | instid1(SALU_CYCLE_1)
	s_add_nc_u64 s[10:11], s[14:15], s[10:11]
	s_add_co_u32 s2, s8, s10
	s_cselect_b32 s5, -1, 0
	v_nop
	v_mul_hi_u32 v20, v12, s2
	s_cmp_lg_u32 s5, 0
	s_add_co_ci_u32 s14, s9, s11
	s_mov_b64 s[8:9], 0xffffffff
	v_mul_u64_e32 v[16:17], s[14:15], v[12:13]
	s_and_b64 s[8:9], s[2:3], s[8:9]
	v_mul_u64_e32 v[18:19], s[14:15], v[14:15]
	v_mul_u64_e32 v[8:9], s[8:9], v[14:15]
	s_delay_alu instid0(VALU_DEP_3) | instskip(NEXT) | instid1(VALU_DEP_1)
	v_add_nc_u64_e32 v[16:17], v[20:21], v[16:17]
	v_add_co_u32 v3, vcc_lo, v16, v8
	s_delay_alu instid0(VALU_DEP_2) | instskip(SKIP_1) | instid1(VALU_DEP_1)
	v_add_co_ci_u32_e32 v10, vcc_lo, v17, v9, vcc_lo
	v_add_co_ci_u32_e32 v19, vcc_lo, 0, v19, vcc_lo
	v_add_nc_u64_e32 v[8:9], v[10:11], v[18:19]
	s_delay_alu instid0(VALU_DEP_1) | instskip(NEXT) | instid1(VALU_DEP_1)
	v_mul_u64_e32 v[10:11], s[6:7], v[8:9]
	v_sub_nc_u32_e32 v3, v14, v11
	s_delay_alu instid0(VALU_DEP_2) | instskip(NEXT) | instid1(VALU_DEP_1)
	v_sub_co_u32 v10, vcc_lo, v12, v10
	v_sub_co_ci_u32_e64 v14, null, v14, v11, vcc_lo
	s_delay_alu instid0(VALU_DEP_3) | instskip(NEXT) | instid1(VALU_DEP_3)
	v_subrev_co_ci_u32_e64 v3, null, s7, v3, vcc_lo
	v_sub_co_u32 v12, s2, v10, s6
	s_delay_alu instid0(VALU_DEP_1) | instskip(NEXT) | instid1(VALU_DEP_2)
	v_subrev_co_ci_u32_e64 v3, null, 0, v3, s2
	v_cmp_le_u32_e32 vcc_lo, s6, v12
	v_cndmask_b32_e64 v11, 0, -1, vcc_lo
	s_delay_alu instid0(VALU_DEP_3)
	v_cmp_le_u32_e32 vcc_lo, s7, v3
	v_cndmask_b32_e64 v12, 0, -1, vcc_lo
	v_cmp_le_u32_e32 vcc_lo, s6, v10
	v_cndmask_b32_e64 v15, 0, -1, vcc_lo
	;; [unrolled: 2-line block ×3, first 2 shown]
	v_cmp_eq_u32_e32 vcc_lo, s7, v3
	v_cndmask_b32_e32 v3, v12, v11, vcc_lo
	v_cmp_eq_u32_e32 vcc_lo, s7, v14
	v_add_nc_u64_e32 v[10:11], 2, v[8:9]
	v_add_nc_u64_e32 v[12:13], 1, v[8:9]
	v_cndmask_b32_e32 v14, v16, v15, vcc_lo
	v_cmp_ne_u32_e32 vcc_lo, 0, v3
	s_delay_alu instid0(VALU_DEP_2) | instskip(NEXT) | instid1(VALU_DEP_4)
	v_cmp_ne_u32_e64 s2, 0, v14
	v_dual_cndmask_b32 v10, v12, v10 :: v_dual_cndmask_b32 v3, v13, v11
	s_delay_alu instid0(VALU_DEP_1) | instskip(NEXT) | instid1(VALU_DEP_1)
	v_dual_cndmask_b32 v8, v8, v10, s2 :: v_dual_cndmask_b32 v9, v9, v3, s2
	v_dual_mov_b32 v3, v2 :: v_dual_bitop2_b32 v8, v8, v2 bitop3:0x14
	s_delay_alu instid0(VALU_DEP_2) | instskip(NEXT) | instid1(VALU_DEP_1)
	v_xor_b32_e32 v9, v9, v2
	v_sub_nc_u64_e32 v[8:9], v[8:9], v[2:3]
.LBB65_11:
	s_or_saveexec_b32 s31, s3
	s_clause 0x2
	s_load_b64 s[2:3], s[0:1], 0x58
	s_load_b64 s[44:45], s[0:1], 0x0
	s_load_b512 s[4:19], s[0:1], 0x18
	s_xor_b32 exec_lo, exec_lo, s31
	s_cbranch_execz .LBB65_13
; %bb.12:
	v_cvt_f32_u32_e32 v2, s30
	s_sub_co_i32 s36, 0, s30
	s_delay_alu instid0(VALU_DEP_1) | instskip(SKIP_1) | instid1(TRANS32_DEP_1)
	v_rcp_iflag_f32_e32 v2, v2
	v_nop
	v_mul_f32_e32 v2, 0x4f7ffffe, v2
	s_delay_alu instid0(VALU_DEP_1) | instskip(NEXT) | instid1(VALU_DEP_1)
	v_cvt_u32_f32_e32 v2, v2
	v_mul_lo_u32 v3, s36, v2
	s_delay_alu instid0(VALU_DEP_1) | instskip(NEXT) | instid1(VALU_DEP_1)
	v_mul_hi_u32 v3, v2, v3
	v_add_nc_u32_e32 v2, v2, v3
	s_delay_alu instid0(VALU_DEP_1) | instskip(NEXT) | instid1(VALU_DEP_1)
	v_mul_hi_u32 v2, v0, v2
	v_mul_lo_u32 v3, v2, s30
	s_delay_alu instid0(VALU_DEP_1) | instskip(NEXT) | instid1(VALU_DEP_1)
	v_dual_add_nc_u32 v8, 1, v2 :: v_dual_sub_nc_u32 v3, v0, v3
	v_subrev_nc_u32_e32 v9, s30, v3
	v_cmp_le_u32_e32 vcc_lo, s30, v3
	s_delay_alu instid0(VALU_DEP_2) | instskip(NEXT) | instid1(VALU_DEP_4)
	v_dual_cndmask_b32 v3, v3, v9, vcc_lo :: v_dual_mov_b32 v9, 0
	v_cndmask_b32_e32 v2, v2, v8, vcc_lo
	s_delay_alu instid0(VALU_DEP_2) | instskip(NEXT) | instid1(VALU_DEP_2)
	v_cmp_le_u32_e32 vcc_lo, s30, v3
	v_add_nc_u32_e32 v8, 1, v2
	s_delay_alu instid0(VALU_DEP_1)
	v_cndmask_b32_e32 v8, v2, v8, vcc_lo
.LBB65_13:
	s_or_b32 exec_lo, exec_lo, s31
	v_mul_u64_e32 v[2:3], s[28:29], v[4:5]
	s_load_b256 s[36:43], s[0:1], 0xb0
	s_wait_kmcnt 0x0
	v_max_i64 v[10:11], s[40:41], 0
	s_add_nc_u64 s[50:51], s[40:41], s[4:5]
	v_max_i64 v[14:15], s[38:39], 0
	v_sub_nc_u64_e64 v[16:17], v[8:9], s[50:51]
	s_add_nc_u64 s[48:49], s[38:39], s[6:7]
	s_sub_nc_u64 s[46:47], 0, s[40:41]
	v_sub_nc_u64_e64 v[12:13], v[6:7], s[48:49]
	v_max_i64 v[4:5], s[36:37], 0
	s_add_nc_u64 s[48:49], s[36:37], s[8:9]
	s_sub_nc_u64 s[30:31], 0, s[38:39]
	v_add_nc_u64_e32 v[22:23], 1, v[16:17]
	v_sub_nc_u64_e32 v[0:1], v[0:1], v[2:3]
	v_max_i64 v[2:3], s[46:47], 0
	v_not_b32_e32 v17, v17
	v_not_b32_e32 v16, v16
	v_add_nc_u64_e32 v[20:21], 1, v[12:13]
	v_not_b32_e32 v13, v13
	v_not_b32_e32 v12, v12
	v_sub_nc_u64_e64 v[24:25], v[0:1], s[48:49]
	v_max_i64 v[28:29], s[30:31], 0
	v_sub_nc_u64_e64 v[26:27], v[8:9], s[40:41]
	v_max_i64 v[16:17], v[22:23], v[16:17]
	s_sub_nc_u64 s[28:29], 0, s[36:37]
	v_max_i64 v[12:13], v[20:21], v[12:13]
	v_max_i64 v[22:23], s[28:29], 0
	v_add_nc_u64_e32 v[20:21], 1, v[24:25]
	v_sub_nc_u64_e64 v[18:19], v[6:7], s[38:39]
	v_not_b32_e32 v25, v25
	v_not_b32_e32 v24, v24
	v_sub_nc_u64_e32 v[30:31], 0, v[26:27]
	v_sub_nc_u64_e64 v[32:33], v[0:1], s[36:37]
	s_lshl_b64 s[30:31], s[40:41], 1
	v_not_b32_e32 v10, v10
	v_max_i64 v[20:21], v[20:21], v[24:25]
	v_sub_nc_u64_e32 v[24:25], 0, v[18:19]
	v_not_b32_e32 v11, v11
	v_max_i64 v[26:27], v[26:27], v[30:31]
	v_sub_nc_u64_e32 v[30:31], 0, v[32:33]
	v_not_b32_e32 v14, v14
	v_not_b32_e32 v15, v15
	v_add_nc_u64_e32 v[10:11], s[30:31], v[10:11]
	v_max_i64 v[18:19], v[18:19], v[24:25]
	s_lshl_b64 s[28:29], s[38:39], 1
	v_not_b32_e32 v4, v4
	v_not_b32_e32 v5, v5
	v_add_nc_u64_e32 v[14:15], s[28:29], v[14:15]
	v_max_i64 v[24:25], v[32:33], v[30:31]
	v_add_nc_u64_e32 v[2:3], v[10:11], v[2:3]
	s_lshl_b64 s[28:29], s[36:37], 1
	s_load_b64 s[0:1], s[0:1], 0xd0
	v_add_nc_u64_e32 v[4:5], s[28:29], v[4:5]
	s_delay_alu instid0(VALU_DEP_4) | instskip(SKIP_1) | instid1(VALU_DEP_4)
	v_add_nc_u64_e32 v[10:11], v[14:15], v[28:29]
	v_add_nc_u64_e32 v[14:15], v[8:9], v[16:17]
	;; [unrolled: 1-line block ×4, first 2 shown]
	s_bfe_u32 s4, ttmp6, 0x40014
	v_add_nc_u64_e32 v[4:5], v[4:5], v[22:23]
	s_bfe_u32 s5, ttmp6, 0x40010
	v_add_nc_u64_e32 v[10:11], s[6:7], v[10:11]
	s_lshr_b32 s6, ttmp7, 16
	v_sub_nc_u64_e32 v[2:3], v[2:3], v[14:15]
	s_add_co_i32 s4, s4, 1
	s_add_co_i32 s5, s5, 1
	v_add_nc_u64_e32 v[4:5], s[8:9], v[4:5]
	v_add_nc_u64_e32 v[14:15], v[0:1], v[20:21]
	v_sub_nc_u64_e32 v[10:11], v[10:11], v[12:13]
	s_and_b32 s8, ttmp7, 0xffff
	v_add_nc_u64_e32 v[2:3], v[2:3], v[26:27]
	s_mul_i32 s4, s6, s4
	s_bfe_u32 s7, ttmp6, 0x40008
	s_mul_i32 s5, s8, s5
	v_sub_nc_u64_e32 v[4:5], v[4:5], v[14:15]
	v_add_nc_u64_e32 v[10:11], v[10:11], v[18:19]
	s_bfe_u32 s9, ttmp6, 0x40004
	v_mul_u64_e32 v[2:3], s[14:15], v[2:3]
	s_add_co_i32 s7, s7, s4
	s_add_co_i32 s9, s9, s5
	s_cmp_eq_u32 s33, 0
	v_add_nc_u64_e32 v[4:5], v[4:5], v[24:25]
	v_mul_u64_e32 v[10:11], s[16:17], v[10:11]
	s_mov_b32 s5, 0
	s_cselect_b32 s6, s6, s7
	s_mov_b32 s7, s5
	s_cselect_b32 s4, s8, s9
	s_wait_kmcnt 0x0
	s_add_nc_u64 s[0:1], s[0:1], s[6:7]
	v_mul_u64_e32 v[4:5], s[18:19], v[4:5]
	s_mul_u64 s[6:7], s[10:11], s[0:1]
	s_add_nc_u64 s[4:5], s[42:43], s[4:5]
	s_lshl_b64 s[6:7], s[6:7], 3
	s_mul_u64 s[8:9], s[12:13], s[4:5]
	s_add_nc_u64 s[6:7], s[44:45], s[6:7]
	s_lshl_b64 s[8:9], s[8:9], 3
	v_mul_u64_e32 v[6:7], s[26:27], v[6:7]
	s_add_nc_u64 s[6:7], s[6:7], s[8:9]
	v_mul_u64_e32 v[0:1], s[34:35], v[0:1]
	s_mul_u64 s[0:1], s[20:21], s[0:1]
	s_mul_u64 s[4:5], s[22:23], s[4:5]
	s_lshl_b64 s[0:1], s[0:1], 3
	s_delay_alu instid0(SALU_CYCLE_1) | instskip(SKIP_1) | instid1(SALU_CYCLE_1)
	s_add_nc_u64 s[0:1], s[2:3], s[0:1]
	s_lshl_b64 s[2:3], s[4:5], 3
	s_add_nc_u64 s[0:1], s[0:1], s[2:3]
	v_lshl_add_u64 v[2:3], v[2:3], 3, s[6:7]
	s_delay_alu instid0(VALU_DEP_1) | instskip(NEXT) | instid1(VALU_DEP_1)
	v_lshl_add_u64 v[2:3], v[10:11], 3, v[2:3]
	v_lshl_add_u64 v[2:3], v[4:5], 3, v[2:3]
	v_mul_u64_e32 v[4:5], s[24:25], v[8:9]
	global_load_b64 v[2:3], v[2:3], off
	v_lshl_add_u64 v[4:5], v[4:5], 3, s[0:1]
	s_delay_alu instid0(VALU_DEP_1) | instskip(NEXT) | instid1(VALU_DEP_1)
	v_lshl_add_u64 v[4:5], v[6:7], 3, v[4:5]
	v_lshl_add_u64 v[0:1], v[0:1], 3, v[4:5]
	s_wait_loadcnt 0x0
	global_store_b64 v[0:1], v[2:3], off
.LBB65_14:
	s_endpgm
	.section	.rodata,"a",@progbits
	.p2align	6, 0x0
	.amdhsa_kernel _ZN2at6native12_GLOBAL__N_127reflection_pad3d_out_kernelIN3c107complexIfEEEEvN5torch10headeronly6detail27GenericPackedTensorAccessorINS8_14TensorAccessorINS3_8ArrayRefIlEEKT_Lm4ENS7_16DefaultPtrTraitsElEENS_6detail16IndexBoundsCheckILm5ElEESE_Lm5ESF_lEENS9_INSA_ISC_SD_Lm4ESF_lEESJ_SD_Lm5ESF_lEElllll
		.amdhsa_group_segment_fixed_size 0
		.amdhsa_private_segment_fixed_size 0
		.amdhsa_kernarg_size 472
		.amdhsa_user_sgpr_count 2
		.amdhsa_user_sgpr_dispatch_ptr 0
		.amdhsa_user_sgpr_queue_ptr 0
		.amdhsa_user_sgpr_kernarg_segment_ptr 1
		.amdhsa_user_sgpr_dispatch_id 0
		.amdhsa_user_sgpr_kernarg_preload_length 0
		.amdhsa_user_sgpr_kernarg_preload_offset 0
		.amdhsa_user_sgpr_private_segment_size 0
		.amdhsa_wavefront_size32 1
		.amdhsa_uses_dynamic_stack 0
		.amdhsa_enable_private_segment 0
		.amdhsa_system_sgpr_workgroup_id_x 1
		.amdhsa_system_sgpr_workgroup_id_y 1
		.amdhsa_system_sgpr_workgroup_id_z 1
		.amdhsa_system_sgpr_workgroup_info 0
		.amdhsa_system_vgpr_workitem_id 0
		.amdhsa_next_free_vgpr 34
		.amdhsa_next_free_sgpr 52
		.amdhsa_named_barrier_count 0
		.amdhsa_reserve_vcc 1
		.amdhsa_float_round_mode_32 0
		.amdhsa_float_round_mode_16_64 0
		.amdhsa_float_denorm_mode_32 3
		.amdhsa_float_denorm_mode_16_64 3
		.amdhsa_fp16_overflow 0
		.amdhsa_memory_ordered 1
		.amdhsa_forward_progress 1
		.amdhsa_inst_pref_size 24
		.amdhsa_round_robin_scheduling 0
		.amdhsa_exception_fp_ieee_invalid_op 0
		.amdhsa_exception_fp_denorm_src 0
		.amdhsa_exception_fp_ieee_div_zero 0
		.amdhsa_exception_fp_ieee_overflow 0
		.amdhsa_exception_fp_ieee_underflow 0
		.amdhsa_exception_fp_ieee_inexact 0
		.amdhsa_exception_int_div_zero 0
	.end_amdhsa_kernel
	.section	.text._ZN2at6native12_GLOBAL__N_127reflection_pad3d_out_kernelIN3c107complexIfEEEEvN5torch10headeronly6detail27GenericPackedTensorAccessorINS8_14TensorAccessorINS3_8ArrayRefIlEEKT_Lm4ENS7_16DefaultPtrTraitsElEENS_6detail16IndexBoundsCheckILm5ElEESE_Lm5ESF_lEENS9_INSA_ISC_SD_Lm4ESF_lEESJ_SD_Lm5ESF_lEElllll,"axG",@progbits,_ZN2at6native12_GLOBAL__N_127reflection_pad3d_out_kernelIN3c107complexIfEEEEvN5torch10headeronly6detail27GenericPackedTensorAccessorINS8_14TensorAccessorINS3_8ArrayRefIlEEKT_Lm4ENS7_16DefaultPtrTraitsElEENS_6detail16IndexBoundsCheckILm5ElEESE_Lm5ESF_lEENS9_INSA_ISC_SD_Lm4ESF_lEESJ_SD_Lm5ESF_lEElllll,comdat
.Lfunc_end65:
	.size	_ZN2at6native12_GLOBAL__N_127reflection_pad3d_out_kernelIN3c107complexIfEEEEvN5torch10headeronly6detail27GenericPackedTensorAccessorINS8_14TensorAccessorINS3_8ArrayRefIlEEKT_Lm4ENS7_16DefaultPtrTraitsElEENS_6detail16IndexBoundsCheckILm5ElEESE_Lm5ESF_lEENS9_INSA_ISC_SD_Lm4ESF_lEESJ_SD_Lm5ESF_lEElllll, .Lfunc_end65-_ZN2at6native12_GLOBAL__N_127reflection_pad3d_out_kernelIN3c107complexIfEEEEvN5torch10headeronly6detail27GenericPackedTensorAccessorINS8_14TensorAccessorINS3_8ArrayRefIlEEKT_Lm4ENS7_16DefaultPtrTraitsElEENS_6detail16IndexBoundsCheckILm5ElEESE_Lm5ESF_lEENS9_INSA_ISC_SD_Lm4ESF_lEESJ_SD_Lm5ESF_lEElllll
                                        ; -- End function
	.set _ZN2at6native12_GLOBAL__N_127reflection_pad3d_out_kernelIN3c107complexIfEEEEvN5torch10headeronly6detail27GenericPackedTensorAccessorINS8_14TensorAccessorINS3_8ArrayRefIlEEKT_Lm4ENS7_16DefaultPtrTraitsElEENS_6detail16IndexBoundsCheckILm5ElEESE_Lm5ESF_lEENS9_INSA_ISC_SD_Lm4ESF_lEESJ_SD_Lm5ESF_lEElllll.num_vgpr, 34
	.set _ZN2at6native12_GLOBAL__N_127reflection_pad3d_out_kernelIN3c107complexIfEEEEvN5torch10headeronly6detail27GenericPackedTensorAccessorINS8_14TensorAccessorINS3_8ArrayRefIlEEKT_Lm4ENS7_16DefaultPtrTraitsElEENS_6detail16IndexBoundsCheckILm5ElEESE_Lm5ESF_lEENS9_INSA_ISC_SD_Lm4ESF_lEESJ_SD_Lm5ESF_lEElllll.num_agpr, 0
	.set _ZN2at6native12_GLOBAL__N_127reflection_pad3d_out_kernelIN3c107complexIfEEEEvN5torch10headeronly6detail27GenericPackedTensorAccessorINS8_14TensorAccessorINS3_8ArrayRefIlEEKT_Lm4ENS7_16DefaultPtrTraitsElEENS_6detail16IndexBoundsCheckILm5ElEESE_Lm5ESF_lEENS9_INSA_ISC_SD_Lm4ESF_lEESJ_SD_Lm5ESF_lEElllll.numbered_sgpr, 52
	.set _ZN2at6native12_GLOBAL__N_127reflection_pad3d_out_kernelIN3c107complexIfEEEEvN5torch10headeronly6detail27GenericPackedTensorAccessorINS8_14TensorAccessorINS3_8ArrayRefIlEEKT_Lm4ENS7_16DefaultPtrTraitsElEENS_6detail16IndexBoundsCheckILm5ElEESE_Lm5ESF_lEENS9_INSA_ISC_SD_Lm4ESF_lEESJ_SD_Lm5ESF_lEElllll.num_named_barrier, 0
	.set _ZN2at6native12_GLOBAL__N_127reflection_pad3d_out_kernelIN3c107complexIfEEEEvN5torch10headeronly6detail27GenericPackedTensorAccessorINS8_14TensorAccessorINS3_8ArrayRefIlEEKT_Lm4ENS7_16DefaultPtrTraitsElEENS_6detail16IndexBoundsCheckILm5ElEESE_Lm5ESF_lEENS9_INSA_ISC_SD_Lm4ESF_lEESJ_SD_Lm5ESF_lEElllll.private_seg_size, 0
	.set _ZN2at6native12_GLOBAL__N_127reflection_pad3d_out_kernelIN3c107complexIfEEEEvN5torch10headeronly6detail27GenericPackedTensorAccessorINS8_14TensorAccessorINS3_8ArrayRefIlEEKT_Lm4ENS7_16DefaultPtrTraitsElEENS_6detail16IndexBoundsCheckILm5ElEESE_Lm5ESF_lEENS9_INSA_ISC_SD_Lm4ESF_lEESJ_SD_Lm5ESF_lEElllll.uses_vcc, 1
	.set _ZN2at6native12_GLOBAL__N_127reflection_pad3d_out_kernelIN3c107complexIfEEEEvN5torch10headeronly6detail27GenericPackedTensorAccessorINS8_14TensorAccessorINS3_8ArrayRefIlEEKT_Lm4ENS7_16DefaultPtrTraitsElEENS_6detail16IndexBoundsCheckILm5ElEESE_Lm5ESF_lEENS9_INSA_ISC_SD_Lm4ESF_lEESJ_SD_Lm5ESF_lEElllll.uses_flat_scratch, 0
	.set _ZN2at6native12_GLOBAL__N_127reflection_pad3d_out_kernelIN3c107complexIfEEEEvN5torch10headeronly6detail27GenericPackedTensorAccessorINS8_14TensorAccessorINS3_8ArrayRefIlEEKT_Lm4ENS7_16DefaultPtrTraitsElEENS_6detail16IndexBoundsCheckILm5ElEESE_Lm5ESF_lEENS9_INSA_ISC_SD_Lm4ESF_lEESJ_SD_Lm5ESF_lEElllll.has_dyn_sized_stack, 0
	.set _ZN2at6native12_GLOBAL__N_127reflection_pad3d_out_kernelIN3c107complexIfEEEEvN5torch10headeronly6detail27GenericPackedTensorAccessorINS8_14TensorAccessorINS3_8ArrayRefIlEEKT_Lm4ENS7_16DefaultPtrTraitsElEENS_6detail16IndexBoundsCheckILm5ElEESE_Lm5ESF_lEENS9_INSA_ISC_SD_Lm4ESF_lEESJ_SD_Lm5ESF_lEElllll.has_recursion, 0
	.set _ZN2at6native12_GLOBAL__N_127reflection_pad3d_out_kernelIN3c107complexIfEEEEvN5torch10headeronly6detail27GenericPackedTensorAccessorINS8_14TensorAccessorINS3_8ArrayRefIlEEKT_Lm4ENS7_16DefaultPtrTraitsElEENS_6detail16IndexBoundsCheckILm5ElEESE_Lm5ESF_lEENS9_INSA_ISC_SD_Lm4ESF_lEESJ_SD_Lm5ESF_lEElllll.has_indirect_call, 0
	.section	.AMDGPU.csdata,"",@progbits
; Kernel info:
; codeLenInByte = 3072
; TotalNumSgprs: 54
; NumVgprs: 34
; ScratchSize: 0
; MemoryBound: 0
; FloatMode: 240
; IeeeMode: 1
; LDSByteSize: 0 bytes/workgroup (compile time only)
; SGPRBlocks: 0
; VGPRBlocks: 2
; NumSGPRsForWavesPerEU: 54
; NumVGPRsForWavesPerEU: 34
; NamedBarCnt: 0
; Occupancy: 16
; WaveLimiterHint : 0
; COMPUTE_PGM_RSRC2:SCRATCH_EN: 0
; COMPUTE_PGM_RSRC2:USER_SGPR: 2
; COMPUTE_PGM_RSRC2:TRAP_HANDLER: 0
; COMPUTE_PGM_RSRC2:TGID_X_EN: 1
; COMPUTE_PGM_RSRC2:TGID_Y_EN: 1
; COMPUTE_PGM_RSRC2:TGID_Z_EN: 1
; COMPUTE_PGM_RSRC2:TIDIG_COMP_CNT: 0
	.section	.text._ZN2at6native12_GLOBAL__N_127reflection_pad3d_out_kernelIN3c104HalfEEEvN5torch10headeronly6detail27GenericPackedTensorAccessorINS7_14TensorAccessorINS3_8ArrayRefIlEEKT_Lm4ENS6_16DefaultPtrTraitsElEENS_6detail16IndexBoundsCheckILm5ElEESD_Lm5ESE_lEENS8_INS9_ISB_SC_Lm4ESE_lEESI_SC_Lm5ESE_lEElllll,"axG",@progbits,_ZN2at6native12_GLOBAL__N_127reflection_pad3d_out_kernelIN3c104HalfEEEvN5torch10headeronly6detail27GenericPackedTensorAccessorINS7_14TensorAccessorINS3_8ArrayRefIlEEKT_Lm4ENS6_16DefaultPtrTraitsElEENS_6detail16IndexBoundsCheckILm5ElEESD_Lm5ESE_lEENS8_INS9_ISB_SC_Lm4ESE_lEESI_SC_Lm5ESE_lEElllll,comdat
	.globl	_ZN2at6native12_GLOBAL__N_127reflection_pad3d_out_kernelIN3c104HalfEEEvN5torch10headeronly6detail27GenericPackedTensorAccessorINS7_14TensorAccessorINS3_8ArrayRefIlEEKT_Lm4ENS6_16DefaultPtrTraitsElEENS_6detail16IndexBoundsCheckILm5ElEESD_Lm5ESE_lEENS8_INS9_ISB_SC_Lm4ESE_lEESI_SC_Lm5ESE_lEElllll ; -- Begin function _ZN2at6native12_GLOBAL__N_127reflection_pad3d_out_kernelIN3c104HalfEEEvN5torch10headeronly6detail27GenericPackedTensorAccessorINS7_14TensorAccessorINS3_8ArrayRefIlEEKT_Lm4ENS6_16DefaultPtrTraitsElEENS_6detail16IndexBoundsCheckILm5ElEESD_Lm5ESE_lEENS8_INS9_ISB_SC_Lm4ESE_lEESI_SC_Lm5ESE_lEElllll
	.p2align	8
	.type	_ZN2at6native12_GLOBAL__N_127reflection_pad3d_out_kernelIN3c104HalfEEEvN5torch10headeronly6detail27GenericPackedTensorAccessorINS7_14TensorAccessorINS3_8ArrayRefIlEEKT_Lm4ENS6_16DefaultPtrTraitsElEENS_6detail16IndexBoundsCheckILm5ElEESD_Lm5ESE_lEENS8_INS9_ISB_SC_Lm4ESE_lEESI_SC_Lm5ESE_lEElllll,@function
_ZN2at6native12_GLOBAL__N_127reflection_pad3d_out_kernelIN3c104HalfEEEvN5torch10headeronly6detail27GenericPackedTensorAccessorINS7_14TensorAccessorINS3_8ArrayRefIlEEKT_Lm4ENS6_16DefaultPtrTraitsElEENS_6detail16IndexBoundsCheckILm5ElEESD_Lm5ESE_lEENS8_INS9_ISB_SC_Lm4ESE_lEESI_SC_Lm5ESE_lEElllll: ; @_ZN2at6native12_GLOBAL__N_127reflection_pad3d_out_kernelIN3c104HalfEEEvN5torch10headeronly6detail27GenericPackedTensorAccessorINS7_14TensorAccessorINS3_8ArrayRefIlEEKT_Lm4ENS6_16DefaultPtrTraitsElEENS_6detail16IndexBoundsCheckILm5ElEESD_Lm5ESE_lEENS8_INS9_ISB_SC_Lm4ESE_lEESI_SC_Lm5ESE_lEElllll
; %bb.0:
	s_clause 0x2
	s_load_b32 s2, s[0:1], 0xe4
	s_load_b128 s[4:7], s[0:1], 0x70
	s_load_b64 s[28:29], s[0:1], 0x80
	s_bfe_u32 s3, ttmp6, 0x4000c
	v_mov_b32_e32 v2, 0
	s_add_co_i32 s3, s3, 1
	s_and_b32 s8, ttmp6, 15
	s_mul_i32 s3, ttmp9, s3
	s_getreg_b32 s33, hwreg(HW_REG_IB_STS2, 6, 4)
	v_mov_b32_e32 v1, v2
	s_add_co_i32 s8, s8, s3
	s_wait_kmcnt 0x0
	s_and_b32 s2, s2, 0xffff
	s_cmp_eq_u32 s33, 0
	s_mul_u64 s[30:31], s[28:29], s[6:7]
	s_cselect_b32 s3, ttmp9, s8
	s_delay_alu instid0(SALU_CYCLE_1)
	v_mad_nc_u64_u32 v[0:1], s2, s3, v[0:1]
	s_mul_u64 s[2:3], s[30:31], s[4:5]
	s_delay_alu instid0(VALU_DEP_1) | instid1(SALU_CYCLE_1)
	v_cmp_gt_i64_e32 vcc_lo, s[2:3], v[0:1]
	s_and_saveexec_b32 s2, vcc_lo
	s_cbranch_execz .LBB66_14
; %bb.1:
	v_or_b32_e32 v3, s29, v1
                                        ; implicit-def: $vgpr4_vgpr5
	s_delay_alu instid0(VALU_DEP_1) | instskip(SKIP_2) | instid1(SALU_CYCLE_1)
	v_cmp_ne_u64_e32 vcc_lo, 0, v[2:3]
	v_ashrrev_i32_e32 v2, 31, v1
	s_and_saveexec_b32 s2, vcc_lo
	s_xor_b32 s3, exec_lo, s2
	s_cbranch_execz .LBB66_3
; %bb.2:
	s_ashr_i32 s4, s29, 31
	s_mov_b32 s17, 0
	s_mov_b32 s5, s4
	v_dual_mov_b32 v3, v2 :: v_dual_mov_b32 v7, 0
	s_add_nc_u64 s[8:9], s[28:29], s[4:5]
	s_delay_alu instid0(SALU_CYCLE_1) | instskip(NEXT) | instid1(VALU_DEP_1)
	s_xor_b64 s[8:9], s[8:9], s[4:5]
	v_add_nc_u64_e32 v[4:5], v[0:1], v[2:3]
	s_cvt_f32_u32 s2, s8
	s_cvt_f32_u32 s5, s9
	s_sub_nc_u64 s[12:13], 0, s[8:9]
	v_dual_mov_b32 v9, v7 :: v_dual_mov_b32 v15, v7
	s_delay_alu instid0(SALU_CYCLE_1) | instskip(NEXT) | instid1(VALU_DEP_2)
	s_fmamk_f32 s2, s5, 0x4f800000, s2
	v_xor_b32_e32 v6, v4, v2
	v_xor_b32_e32 v8, v5, v2
	s_delay_alu instid0(SALU_CYCLE_1) | instskip(NEXT) | instid1(TRANS32_DEP_1)
	v_s_rcp_f32 s2, s2
	s_mul_f32 s2, s2, 0x5f7ffffc
	s_delay_alu instid0(SALU_CYCLE_3) | instskip(NEXT) | instid1(SALU_CYCLE_3)
	s_mul_f32 s5, s2, 0x2f800000
	s_trunc_f32 s5, s5
	s_delay_alu instid0(SALU_CYCLE_3) | instskip(SKIP_1) | instid1(SALU_CYCLE_2)
	s_fmamk_f32 s2, s5, 0xcf800000, s2
	s_cvt_u32_f32 s11, s5
	s_cvt_u32_f32 s10, s2
	s_delay_alu instid0(SALU_CYCLE_3) | instskip(NEXT) | instid1(SALU_CYCLE_1)
	s_mul_u64 s[14:15], s[12:13], s[10:11]
	s_mul_hi_u32 s19, s10, s15
	s_mul_i32 s18, s10, s15
	s_mul_hi_u32 s16, s10, s14
	s_mul_i32 s5, s11, s14
	s_add_nc_u64 s[18:19], s[16:17], s[18:19]
	s_mul_hi_u32 s2, s11, s14
	s_mul_hi_u32 s20, s11, s15
	s_add_co_u32 s5, s18, s5
	s_add_co_ci_u32 s16, s19, s2
	s_mul_i32 s14, s11, s15
	s_add_co_ci_u32 s15, s20, 0
	s_delay_alu instid0(SALU_CYCLE_1) | instskip(NEXT) | instid1(SALU_CYCLE_1)
	s_add_nc_u64 s[14:15], s[16:17], s[14:15]
	s_add_co_u32 s10, s10, s14
	s_cselect_b32 s2, -1, 0
	s_delay_alu instid0(SALU_CYCLE_1) | instskip(SKIP_1) | instid1(SALU_CYCLE_1)
	s_cmp_lg_u32 s2, 0
	s_add_co_ci_u32 s11, s11, s15
	s_mul_u64 s[12:13], s[12:13], s[10:11]
	s_delay_alu instid0(SALU_CYCLE_1)
	s_mul_hi_u32 s15, s10, s13
	s_mul_i32 s14, s10, s13
	s_mul_hi_u32 s16, s10, s12
	s_mul_i32 s5, s11, s12
	s_add_nc_u64 s[14:15], s[16:17], s[14:15]
	s_mul_hi_u32 s2, s11, s12
	s_mul_hi_u32 s18, s11, s13
	s_add_co_u32 s5, s14, s5
	s_add_co_ci_u32 s16, s15, s2
	s_mul_i32 s12, s11, s13
	s_add_co_ci_u32 s13, s18, 0
	s_delay_alu instid0(SALU_CYCLE_1) | instskip(NEXT) | instid1(SALU_CYCLE_1)
	s_add_nc_u64 s[12:13], s[16:17], s[12:13]
	s_add_co_u32 s2, s10, s12
	s_cselect_b32 s5, -1, 0
	v_nop
	v_mul_hi_u32 v14, v6, s2
	s_cmp_lg_u32 s5, 0
	s_add_co_ci_u32 s16, s11, s13
	s_mov_b64 s[10:11], 0xffffffff
	v_mul_u64_e32 v[10:11], s[16:17], v[6:7]
	s_and_b64 s[10:11], s[2:3], s[10:11]
	v_mul_u64_e32 v[12:13], s[16:17], v[8:9]
	v_mul_u64_e32 v[4:5], s[10:11], v[8:9]
	s_delay_alu instid0(VALU_DEP_3) | instskip(NEXT) | instid1(VALU_DEP_1)
	v_add_nc_u64_e32 v[10:11], v[14:15], v[10:11]
	v_add_co_u32 v3, vcc_lo, v10, v4
	s_delay_alu instid0(VALU_DEP_2) | instskip(SKIP_1) | instid1(VALU_DEP_1)
	v_add_co_ci_u32_e32 v14, vcc_lo, v11, v5, vcc_lo
	v_add_co_ci_u32_e32 v13, vcc_lo, 0, v13, vcc_lo
	v_add_nc_u64_e32 v[4:5], v[14:15], v[12:13]
	s_delay_alu instid0(VALU_DEP_1) | instskip(NEXT) | instid1(VALU_DEP_1)
	v_mul_u64_e32 v[10:11], s[8:9], v[4:5]
	v_sub_nc_u32_e32 v3, v8, v11
	s_delay_alu instid0(VALU_DEP_2) | instskip(NEXT) | instid1(VALU_DEP_1)
	v_sub_co_u32 v6, vcc_lo, v6, v10
	v_sub_co_ci_u32_e64 v10, null, v8, v11, vcc_lo
	s_delay_alu instid0(VALU_DEP_3) | instskip(NEXT) | instid1(VALU_DEP_3)
	v_subrev_co_ci_u32_e64 v3, null, s9, v3, vcc_lo
	v_sub_co_u32 v7, s2, v6, s8
	s_delay_alu instid0(VALU_DEP_1) | instskip(NEXT) | instid1(VALU_DEP_2)
	v_subrev_co_ci_u32_e64 v3, null, 0, v3, s2
	v_cmp_le_u32_e32 vcc_lo, s8, v7
	v_cndmask_b32_e64 v7, 0, -1, vcc_lo
	s_delay_alu instid0(VALU_DEP_3)
	v_cmp_le_u32_e32 vcc_lo, s9, v3
	v_cndmask_b32_e64 v8, 0, -1, vcc_lo
	v_cmp_le_u32_e32 vcc_lo, s8, v6
	v_cndmask_b32_e64 v11, 0, -1, vcc_lo
	;; [unrolled: 2-line block ×3, first 2 shown]
	v_cmp_eq_u32_e32 vcc_lo, s9, v3
	v_cndmask_b32_e32 v3, v8, v7, vcc_lo
	v_cmp_eq_u32_e32 vcc_lo, s9, v10
	v_add_nc_u64_e32 v[6:7], 2, v[4:5]
	v_add_nc_u64_e32 v[8:9], 1, v[4:5]
	v_cndmask_b32_e32 v10, v12, v11, vcc_lo
	v_cmp_ne_u32_e32 vcc_lo, 0, v3
	s_delay_alu instid0(VALU_DEP_2) | instskip(NEXT) | instid1(VALU_DEP_4)
	v_cmp_ne_u32_e64 s2, 0, v10
	v_dual_cndmask_b32 v3, v9, v7, vcc_lo :: v_dual_cndmask_b32 v7, v8, v6, vcc_lo
	s_delay_alu instid0(VALU_DEP_1) | instskip(NEXT) | instid1(VALU_DEP_1)
	v_dual_cndmask_b32 v4, v4, v7, s2 :: v_dual_bitop2_b32 v6, s4, v2 bitop3:0x14
	v_dual_cndmask_b32 v3, v5, v3, s2 :: v_dual_mov_b32 v7, v6
	s_delay_alu instid0(VALU_DEP_2) | instskip(NEXT) | instid1(VALU_DEP_2)
	v_xor_b32_e32 v4, v4, v6
	v_xor_b32_e32 v5, v3, v6
	s_delay_alu instid0(VALU_DEP_1)
	v_sub_nc_u64_e32 v[4:5], v[4:5], v[6:7]
.LBB66_3:
	s_and_not1_saveexec_b32 s2, s3
	s_cbranch_execz .LBB66_5
; %bb.4:
	v_cvt_f32_u32_e32 v3, s28
	s_sub_co_i32 s3, 0, s28
	s_delay_alu instid0(VALU_DEP_1) | instskip(SKIP_1) | instid1(TRANS32_DEP_1)
	v_rcp_iflag_f32_e32 v3, v3
	v_nop
	v_mul_f32_e32 v3, 0x4f7ffffe, v3
	s_delay_alu instid0(VALU_DEP_1) | instskip(NEXT) | instid1(VALU_DEP_1)
	v_cvt_u32_f32_e32 v3, v3
	v_mul_lo_u32 v4, s3, v3
	s_delay_alu instid0(VALU_DEP_1) | instskip(NEXT) | instid1(VALU_DEP_1)
	v_mul_hi_u32 v4, v3, v4
	v_add_nc_u32_e32 v3, v3, v4
	s_delay_alu instid0(VALU_DEP_1) | instskip(NEXT) | instid1(VALU_DEP_1)
	v_mul_hi_u32 v3, v0, v3
	v_mul_lo_u32 v4, v3, s28
	s_delay_alu instid0(VALU_DEP_1) | instskip(NEXT) | instid1(VALU_DEP_1)
	v_dual_add_nc_u32 v5, 1, v3 :: v_dual_sub_nc_u32 v4, v0, v4
	v_subrev_nc_u32_e32 v6, s28, v4
	v_cmp_le_u32_e32 vcc_lo, s28, v4
	s_delay_alu instid0(VALU_DEP_2) | instskip(NEXT) | instid1(VALU_DEP_1)
	v_dual_cndmask_b32 v4, v4, v6 :: v_dual_cndmask_b32 v3, v3, v5
	v_cmp_le_u32_e32 vcc_lo, s28, v4
	s_delay_alu instid0(VALU_DEP_2) | instskip(NEXT) | instid1(VALU_DEP_1)
	v_add_nc_u32_e32 v5, 1, v3
	v_dual_cndmask_b32 v4, v3, v5 :: v_dual_mov_b32 v5, 0
.LBB66_5:
	s_or_b32 exec_lo, exec_lo, s2
	s_delay_alu instid0(VALU_DEP_1) | instskip(SKIP_1) | instid1(VALU_DEP_1)
	v_dual_mov_b32 v8, 0 :: v_dual_bitop2_b32 v9, s7, v5 bitop3:0x54
                                        ; implicit-def: $vgpr6_vgpr7
	s_mov_b32 s2, exec_lo
	v_cmpx_ne_u64_e32 0, v[8:9]
	s_xor_b32 s3, exec_lo, s2
	s_cbranch_execz .LBB66_7
; %bb.6:
	s_ashr_i32 s4, s7, 31
	s_mov_b32 s15, 0
	s_mov_b32 s5, s4
	v_dual_mov_b32 v13, v8 :: v_dual_ashrrev_i32 v6, 31, v5
	s_add_nc_u64 s[8:9], s[6:7], s[4:5]
	v_mov_b32_e32 v15, v8
	s_xor_b64 s[4:5], s[8:9], s[4:5]
	s_delay_alu instid0(VALU_DEP_2)
	v_mov_b32_e32 v7, v6
	s_cvt_f32_u32 s2, s4
	s_cvt_f32_u32 s7, s5
	s_sub_nc_u64 s[10:11], 0, s[4:5]
	v_mov_b32_e32 v21, v8
	v_add_nc_u64_e32 v[10:11], v[4:5], v[6:7]
	s_fmamk_f32 s2, s7, 0x4f800000, s2
	v_mov_b32_e32 v9, v8
	s_delay_alu instid0(SALU_CYCLE_2) | instskip(NEXT) | instid1(VALU_DEP_2)
	v_s_rcp_f32 s2, s2
	v_xor_b32_e32 v12, v10, v6
	s_delay_alu instid0(VALU_DEP_3) | instskip(NEXT) | instid1(TRANS32_DEP_1)
	v_xor_b32_e32 v14, v11, v6
	s_mul_f32 s2, s2, 0x5f7ffffc
	s_delay_alu instid0(SALU_CYCLE_3) | instskip(NEXT) | instid1(SALU_CYCLE_3)
	s_mul_f32 s7, s2, 0x2f800000
	s_trunc_f32 s7, s7
	s_delay_alu instid0(SALU_CYCLE_3) | instskip(SKIP_1) | instid1(SALU_CYCLE_2)
	s_fmamk_f32 s2, s7, 0xcf800000, s2
	s_cvt_u32_f32 s9, s7
	s_cvt_u32_f32 s8, s2
	s_delay_alu instid0(SALU_CYCLE_3) | instskip(NEXT) | instid1(SALU_CYCLE_1)
	s_mul_u64 s[12:13], s[10:11], s[8:9]
	s_mul_hi_u32 s17, s8, s13
	s_mul_i32 s16, s8, s13
	s_mul_hi_u32 s14, s8, s12
	s_mul_i32 s7, s9, s12
	s_add_nc_u64 s[16:17], s[14:15], s[16:17]
	s_mul_hi_u32 s2, s9, s12
	s_mul_hi_u32 s18, s9, s13
	s_add_co_u32 s7, s16, s7
	s_add_co_ci_u32 s14, s17, s2
	s_mul_i32 s12, s9, s13
	s_add_co_ci_u32 s13, s18, 0
	s_delay_alu instid0(SALU_CYCLE_1) | instskip(NEXT) | instid1(SALU_CYCLE_1)
	s_add_nc_u64 s[12:13], s[14:15], s[12:13]
	s_add_co_u32 s8, s8, s12
	s_cselect_b32 s2, -1, 0
	s_delay_alu instid0(SALU_CYCLE_1) | instskip(SKIP_1) | instid1(SALU_CYCLE_1)
	s_cmp_lg_u32 s2, 0
	s_add_co_ci_u32 s9, s9, s13
	s_mul_u64 s[10:11], s[10:11], s[8:9]
	s_delay_alu instid0(SALU_CYCLE_1)
	s_mul_hi_u32 s13, s8, s11
	s_mul_i32 s12, s8, s11
	s_mul_hi_u32 s14, s8, s10
	s_mul_i32 s7, s9, s10
	s_add_nc_u64 s[12:13], s[14:15], s[12:13]
	s_mul_hi_u32 s2, s9, s10
	s_mul_hi_u32 s16, s9, s11
	s_add_co_u32 s7, s12, s7
	s_add_co_ci_u32 s14, s13, s2
	s_mul_i32 s10, s9, s11
	s_add_co_ci_u32 s11, s16, 0
	s_delay_alu instid0(SALU_CYCLE_1) | instskip(NEXT) | instid1(SALU_CYCLE_1)
	s_add_nc_u64 s[10:11], s[14:15], s[10:11]
	s_add_co_u32 s2, s8, s10
	s_cselect_b32 s7, -1, 0
	v_mul_hi_u32 v20, v12, s2
	s_cmp_lg_u32 s7, 0
	s_add_co_ci_u32 s14, s9, s11
	s_mov_b64 s[8:9], 0xffffffff
	v_mul_u64_e32 v[16:17], s[14:15], v[12:13]
	s_and_b64 s[8:9], s[2:3], s[8:9]
	v_mul_u64_e32 v[18:19], s[14:15], v[14:15]
	v_mul_u64_e32 v[10:11], s[8:9], v[14:15]
	s_delay_alu instid0(VALU_DEP_3) | instskip(NEXT) | instid1(VALU_DEP_1)
	v_add_nc_u64_e32 v[16:17], v[20:21], v[16:17]
	v_add_co_u32 v3, vcc_lo, v16, v10
	s_delay_alu instid0(VALU_DEP_2) | instskip(SKIP_1) | instid1(VALU_DEP_1)
	v_add_co_ci_u32_e32 v8, vcc_lo, v17, v11, vcc_lo
	v_add_co_ci_u32_e32 v19, vcc_lo, 0, v19, vcc_lo
	v_add_nc_u64_e32 v[8:9], v[8:9], v[18:19]
	s_delay_alu instid0(VALU_DEP_1) | instskip(NEXT) | instid1(VALU_DEP_1)
	v_mul_u64_e32 v[8:9], s[4:5], v[8:9]
	v_sub_co_u32 v8, vcc_lo, v12, v8
	s_delay_alu instid0(VALU_DEP_1) | instskip(NEXT) | instid1(VALU_DEP_1)
	v_cmp_le_u32_e64 s2, s4, v8
	v_cndmask_b32_e64 v12, 0, -1, s2
	s_delay_alu instid0(VALU_DEP_4) | instskip(SKIP_1) | instid1(VALU_DEP_2)
	v_sub_nc_u32_e32 v3, v14, v9
	v_sub_co_ci_u32_e64 v9, null, v14, v9, vcc_lo
	v_subrev_co_ci_u32_e64 v3, null, s5, v3, vcc_lo
	v_sub_co_u32 v10, vcc_lo, v8, s4
	s_delay_alu instid0(VALU_DEP_1) | instskip(NEXT) | instid1(VALU_DEP_2)
	v_subrev_co_ci_u32_e64 v11, null, 0, v3, vcc_lo
	v_cmp_le_u32_e64 s2, s4, v10
	v_subrev_co_ci_u32_e64 v3, null, s5, v3, vcc_lo
	v_cmp_le_u32_e32 vcc_lo, s5, v9
	s_delay_alu instid0(VALU_DEP_3) | instskip(SKIP_3) | instid1(VALU_DEP_3)
	v_cndmask_b32_e64 v13, 0, -1, s2
	v_cmp_le_u32_e64 s2, s5, v11
	v_cndmask_b32_e64 v15, 0, -1, vcc_lo
	v_cmp_eq_u32_e32 vcc_lo, s5, v11
	v_cndmask_b32_e64 v14, 0, -1, s2
	v_cmp_eq_u32_e64 s2, s5, v9
	s_delay_alu instid0(VALU_DEP_2) | instskip(SKIP_1) | instid1(VALU_DEP_1)
	v_cndmask_b32_e32 v13, v14, v13, vcc_lo
	v_sub_co_u32 v14, vcc_lo, v10, s4
	v_subrev_co_ci_u32_e64 v3, null, 0, v3, vcc_lo
	s_delay_alu instid0(VALU_DEP_3) | instskip(SKIP_1) | instid1(VALU_DEP_3)
	v_cmp_ne_u32_e32 vcc_lo, 0, v13
	v_cndmask_b32_e64 v12, v15, v12, s2
	v_dual_cndmask_b32 v3, v11, v3 :: v_dual_cndmask_b32 v10, v10, v14
	s_delay_alu instid0(VALU_DEP_2) | instskip(NEXT) | instid1(VALU_DEP_2)
	v_cmp_ne_u32_e32 vcc_lo, 0, v12
	v_dual_cndmask_b32 v3, v9, v3 :: v_dual_cndmask_b32 v8, v8, v10
	s_delay_alu instid0(VALU_DEP_1) | instskip(NEXT) | instid1(VALU_DEP_2)
	v_xor_b32_e32 v9, v3, v6
	v_xor_b32_e32 v8, v8, v6
	s_delay_alu instid0(VALU_DEP_1)
	v_sub_nc_u64_e32 v[6:7], v[8:9], v[6:7]
.LBB66_7:
	s_or_saveexec_b32 s2, s3
	s_clause 0x1
	s_load_b64 s[34:35], s[0:1], 0xa8
	s_load_b256 s[20:27], s[0:1], 0x88
	s_xor_b32 exec_lo, exec_lo, s2
	s_cbranch_execz .LBB66_9
; %bb.8:
	v_cvt_f32_u32_e32 v3, s6
	s_sub_co_i32 s3, 0, s6
	v_mov_b32_e32 v7, 0
	s_delay_alu instid0(VALU_DEP_2) | instskip(SKIP_1) | instid1(TRANS32_DEP_1)
	v_rcp_iflag_f32_e32 v3, v3
	v_nop
	v_mul_f32_e32 v3, 0x4f7ffffe, v3
	s_delay_alu instid0(VALU_DEP_1) | instskip(NEXT) | instid1(VALU_DEP_1)
	v_cvt_u32_f32_e32 v3, v3
	v_mul_lo_u32 v6, s3, v3
	s_delay_alu instid0(VALU_DEP_1) | instskip(NEXT) | instid1(VALU_DEP_1)
	v_mul_hi_u32 v6, v3, v6
	v_add_nc_u32_e32 v3, v3, v6
	s_delay_alu instid0(VALU_DEP_1) | instskip(NEXT) | instid1(VALU_DEP_1)
	v_mul_hi_u32 v3, v4, v3
	v_mul_lo_u32 v3, v3, s6
	s_delay_alu instid0(VALU_DEP_1) | instskip(NEXT) | instid1(VALU_DEP_1)
	v_sub_nc_u32_e32 v3, v4, v3
	v_subrev_nc_u32_e32 v6, s6, v3
	v_cmp_le_u32_e32 vcc_lo, s6, v3
	s_delay_alu instid0(VALU_DEP_2) | instskip(NEXT) | instid1(VALU_DEP_1)
	v_cndmask_b32_e32 v3, v3, v6, vcc_lo
	v_subrev_nc_u32_e32 v6, s6, v3
	v_cmp_le_u32_e32 vcc_lo, s6, v3
	s_delay_alu instid0(VALU_DEP_2)
	v_cndmask_b32_e32 v6, v3, v6, vcc_lo
.LBB66_9:
	s_or_b32 exec_lo, exec_lo, s2
	v_dual_mov_b32 v10, 0 :: v_dual_bitop2_b32 v11, s31, v1 bitop3:0x54
                                        ; implicit-def: $vgpr8_vgpr9
	s_mov_b32 s2, exec_lo
	s_delay_alu instid0(VALU_DEP_1)
	v_cmpx_ne_u64_e32 0, v[10:11]
	s_xor_b32 s3, exec_lo, s2
	s_cbranch_execz .LBB66_11
; %bb.10:
	s_ashr_i32 s4, s31, 31
	s_mov_b32 s15, 0
	s_mov_b32 s5, s4
	v_dual_mov_b32 v3, v2 :: v_dual_mov_b32 v13, v10
	s_add_nc_u64 s[6:7], s[30:31], s[4:5]
	v_mov_b32_e32 v11, v10
	s_xor_b64 s[6:7], s[6:7], s[4:5]
	s_delay_alu instid0(VALU_DEP_2) | instskip(SKIP_4) | instid1(SALU_CYCLE_1)
	v_add_nc_u64_e32 v[8:9], v[0:1], v[2:3]
	s_cvt_f32_u32 s2, s6
	s_cvt_f32_u32 s5, s7
	s_sub_nc_u64 s[10:11], 0, s[6:7]
	v_dual_mov_b32 v15, v10 :: v_dual_mov_b32 v21, v10
	s_fmamk_f32 s2, s5, 0x4f800000, s2
	s_delay_alu instid0(VALU_DEP_2) | instskip(SKIP_3) | instid1(TRANS32_DEP_1)
	v_xor_b32_e32 v12, v8, v2
	v_xor_b32_e32 v14, v9, v2
	;; [unrolled: 1-line block ×3, first 2 shown]
	v_s_rcp_f32 s2, s2
	s_mul_f32 s2, s2, 0x5f7ffffc
	s_delay_alu instid0(SALU_CYCLE_3) | instskip(NEXT) | instid1(SALU_CYCLE_3)
	s_mul_f32 s5, s2, 0x2f800000
	s_trunc_f32 s5, s5
	s_delay_alu instid0(SALU_CYCLE_3) | instskip(SKIP_1) | instid1(SALU_CYCLE_2)
	s_fmamk_f32 s2, s5, 0xcf800000, s2
	s_cvt_u32_f32 s9, s5
	s_cvt_u32_f32 s8, s2
	s_delay_alu instid0(SALU_CYCLE_3) | instskip(NEXT) | instid1(SALU_CYCLE_1)
	s_mul_u64 s[12:13], s[10:11], s[8:9]
	s_mul_hi_u32 s17, s8, s13
	s_mul_i32 s16, s8, s13
	s_mul_hi_u32 s14, s8, s12
	s_mul_i32 s5, s9, s12
	s_add_nc_u64 s[16:17], s[14:15], s[16:17]
	s_mul_hi_u32 s2, s9, s12
	s_mul_hi_u32 s18, s9, s13
	s_add_co_u32 s5, s16, s5
	s_add_co_ci_u32 s14, s17, s2
	s_mul_i32 s12, s9, s13
	s_add_co_ci_u32 s13, s18, 0
	s_delay_alu instid0(SALU_CYCLE_1) | instskip(NEXT) | instid1(SALU_CYCLE_1)
	s_add_nc_u64 s[12:13], s[14:15], s[12:13]
	s_add_co_u32 s8, s8, s12
	s_cselect_b32 s2, -1, 0
	s_delay_alu instid0(SALU_CYCLE_1) | instskip(SKIP_1) | instid1(SALU_CYCLE_1)
	s_cmp_lg_u32 s2, 0
	s_add_co_ci_u32 s9, s9, s13
	s_mul_u64 s[10:11], s[10:11], s[8:9]
	s_delay_alu instid0(SALU_CYCLE_1)
	s_mul_hi_u32 s13, s8, s11
	s_mul_i32 s12, s8, s11
	s_mul_hi_u32 s14, s8, s10
	s_mul_i32 s5, s9, s10
	s_add_nc_u64 s[12:13], s[14:15], s[12:13]
	s_mul_hi_u32 s2, s9, s10
	s_mul_hi_u32 s16, s9, s11
	s_add_co_u32 s5, s12, s5
	s_add_co_ci_u32 s14, s13, s2
	s_mul_i32 s10, s9, s11
	s_add_co_ci_u32 s11, s16, 0
	s_delay_alu instid0(SALU_CYCLE_1) | instskip(NEXT) | instid1(SALU_CYCLE_1)
	s_add_nc_u64 s[10:11], s[14:15], s[10:11]
	s_add_co_u32 s2, s8, s10
	s_cselect_b32 s5, -1, 0
	v_nop
	v_mul_hi_u32 v20, v12, s2
	s_cmp_lg_u32 s5, 0
	s_add_co_ci_u32 s14, s9, s11
	s_mov_b64 s[8:9], 0xffffffff
	v_mul_u64_e32 v[16:17], s[14:15], v[12:13]
	s_and_b64 s[8:9], s[2:3], s[8:9]
	v_mul_u64_e32 v[18:19], s[14:15], v[14:15]
	v_mul_u64_e32 v[8:9], s[8:9], v[14:15]
	s_delay_alu instid0(VALU_DEP_3) | instskip(NEXT) | instid1(VALU_DEP_1)
	v_add_nc_u64_e32 v[16:17], v[20:21], v[16:17]
	v_add_co_u32 v3, vcc_lo, v16, v8
	s_delay_alu instid0(VALU_DEP_2) | instskip(SKIP_1) | instid1(VALU_DEP_1)
	v_add_co_ci_u32_e32 v10, vcc_lo, v17, v9, vcc_lo
	v_add_co_ci_u32_e32 v19, vcc_lo, 0, v19, vcc_lo
	v_add_nc_u64_e32 v[8:9], v[10:11], v[18:19]
	s_delay_alu instid0(VALU_DEP_1) | instskip(NEXT) | instid1(VALU_DEP_1)
	v_mul_u64_e32 v[10:11], s[6:7], v[8:9]
	v_sub_nc_u32_e32 v3, v14, v11
	s_delay_alu instid0(VALU_DEP_2) | instskip(NEXT) | instid1(VALU_DEP_1)
	v_sub_co_u32 v10, vcc_lo, v12, v10
	v_sub_co_ci_u32_e64 v14, null, v14, v11, vcc_lo
	s_delay_alu instid0(VALU_DEP_3) | instskip(NEXT) | instid1(VALU_DEP_3)
	v_subrev_co_ci_u32_e64 v3, null, s7, v3, vcc_lo
	v_sub_co_u32 v12, s2, v10, s6
	s_delay_alu instid0(VALU_DEP_1) | instskip(NEXT) | instid1(VALU_DEP_2)
	v_subrev_co_ci_u32_e64 v3, null, 0, v3, s2
	v_cmp_le_u32_e32 vcc_lo, s6, v12
	v_cndmask_b32_e64 v11, 0, -1, vcc_lo
	s_delay_alu instid0(VALU_DEP_3)
	v_cmp_le_u32_e32 vcc_lo, s7, v3
	v_cndmask_b32_e64 v12, 0, -1, vcc_lo
	v_cmp_le_u32_e32 vcc_lo, s6, v10
	v_cndmask_b32_e64 v15, 0, -1, vcc_lo
	v_cmp_le_u32_e32 vcc_lo, s7, v14
	v_cndmask_b32_e64 v16, 0, -1, vcc_lo
	v_cmp_eq_u32_e32 vcc_lo, s7, v3
	v_cndmask_b32_e32 v3, v12, v11, vcc_lo
	v_cmp_eq_u32_e32 vcc_lo, s7, v14
	v_add_nc_u64_e32 v[10:11], 2, v[8:9]
	v_add_nc_u64_e32 v[12:13], 1, v[8:9]
	v_cndmask_b32_e32 v14, v16, v15, vcc_lo
	v_cmp_ne_u32_e32 vcc_lo, 0, v3
	s_delay_alu instid0(VALU_DEP_2) | instskip(NEXT) | instid1(VALU_DEP_4)
	v_cmp_ne_u32_e64 s2, 0, v14
	v_dual_cndmask_b32 v10, v12, v10 :: v_dual_cndmask_b32 v3, v13, v11
	s_delay_alu instid0(VALU_DEP_1) | instskip(NEXT) | instid1(VALU_DEP_1)
	v_dual_cndmask_b32 v8, v8, v10, s2 :: v_dual_cndmask_b32 v9, v9, v3, s2
	v_dual_mov_b32 v3, v2 :: v_dual_bitop2_b32 v8, v8, v2 bitop3:0x14
	s_delay_alu instid0(VALU_DEP_2) | instskip(NEXT) | instid1(VALU_DEP_1)
	v_xor_b32_e32 v9, v9, v2
	v_sub_nc_u64_e32 v[8:9], v[8:9], v[2:3]
.LBB66_11:
	s_or_saveexec_b32 s31, s3
	s_clause 0x2
	s_load_b64 s[2:3], s[0:1], 0x58
	s_load_b64 s[44:45], s[0:1], 0x0
	s_load_b512 s[4:19], s[0:1], 0x18
	s_xor_b32 exec_lo, exec_lo, s31
	s_cbranch_execz .LBB66_13
; %bb.12:
	v_cvt_f32_u32_e32 v2, s30
	s_sub_co_i32 s36, 0, s30
	s_delay_alu instid0(VALU_DEP_1) | instskip(SKIP_1) | instid1(TRANS32_DEP_1)
	v_rcp_iflag_f32_e32 v2, v2
	v_nop
	v_mul_f32_e32 v2, 0x4f7ffffe, v2
	s_delay_alu instid0(VALU_DEP_1) | instskip(NEXT) | instid1(VALU_DEP_1)
	v_cvt_u32_f32_e32 v2, v2
	v_mul_lo_u32 v3, s36, v2
	s_delay_alu instid0(VALU_DEP_1) | instskip(NEXT) | instid1(VALU_DEP_1)
	v_mul_hi_u32 v3, v2, v3
	v_add_nc_u32_e32 v2, v2, v3
	s_delay_alu instid0(VALU_DEP_1) | instskip(NEXT) | instid1(VALU_DEP_1)
	v_mul_hi_u32 v2, v0, v2
	v_mul_lo_u32 v3, v2, s30
	s_delay_alu instid0(VALU_DEP_1) | instskip(NEXT) | instid1(VALU_DEP_1)
	v_dual_add_nc_u32 v8, 1, v2 :: v_dual_sub_nc_u32 v3, v0, v3
	v_subrev_nc_u32_e32 v9, s30, v3
	v_cmp_le_u32_e32 vcc_lo, s30, v3
	s_delay_alu instid0(VALU_DEP_2) | instskip(NEXT) | instid1(VALU_DEP_4)
	v_dual_cndmask_b32 v3, v3, v9, vcc_lo :: v_dual_mov_b32 v9, 0
	v_cndmask_b32_e32 v2, v2, v8, vcc_lo
	s_delay_alu instid0(VALU_DEP_2) | instskip(NEXT) | instid1(VALU_DEP_2)
	v_cmp_le_u32_e32 vcc_lo, s30, v3
	v_add_nc_u32_e32 v8, 1, v2
	s_delay_alu instid0(VALU_DEP_1)
	v_cndmask_b32_e32 v8, v2, v8, vcc_lo
.LBB66_13:
	s_or_b32 exec_lo, exec_lo, s31
	v_mul_u64_e32 v[2:3], s[28:29], v[4:5]
	s_load_b256 s[36:43], s[0:1], 0xb0
	s_wait_kmcnt 0x0
	v_max_i64 v[10:11], s[40:41], 0
	s_add_nc_u64 s[50:51], s[40:41], s[4:5]
	v_max_i64 v[14:15], s[38:39], 0
	v_sub_nc_u64_e64 v[16:17], v[8:9], s[50:51]
	s_add_nc_u64 s[48:49], s[38:39], s[6:7]
	s_sub_nc_u64 s[46:47], 0, s[40:41]
	v_sub_nc_u64_e64 v[12:13], v[6:7], s[48:49]
	v_max_i64 v[4:5], s[36:37], 0
	s_add_nc_u64 s[48:49], s[36:37], s[8:9]
	s_sub_nc_u64 s[30:31], 0, s[38:39]
	v_add_nc_u64_e32 v[22:23], 1, v[16:17]
	v_sub_nc_u64_e32 v[0:1], v[0:1], v[2:3]
	v_max_i64 v[2:3], s[46:47], 0
	v_not_b32_e32 v17, v17
	v_not_b32_e32 v16, v16
	v_add_nc_u64_e32 v[20:21], 1, v[12:13]
	v_not_b32_e32 v13, v13
	v_not_b32_e32 v12, v12
	v_sub_nc_u64_e64 v[24:25], v[0:1], s[48:49]
	v_max_i64 v[28:29], s[30:31], 0
	v_sub_nc_u64_e64 v[26:27], v[8:9], s[40:41]
	v_max_i64 v[16:17], v[22:23], v[16:17]
	s_sub_nc_u64 s[28:29], 0, s[36:37]
	v_max_i64 v[12:13], v[20:21], v[12:13]
	v_max_i64 v[22:23], s[28:29], 0
	v_add_nc_u64_e32 v[20:21], 1, v[24:25]
	v_sub_nc_u64_e64 v[18:19], v[6:7], s[38:39]
	v_not_b32_e32 v25, v25
	v_not_b32_e32 v24, v24
	v_sub_nc_u64_e32 v[30:31], 0, v[26:27]
	v_sub_nc_u64_e64 v[32:33], v[0:1], s[36:37]
	s_lshl_b64 s[30:31], s[40:41], 1
	v_not_b32_e32 v10, v10
	v_max_i64 v[20:21], v[20:21], v[24:25]
	v_sub_nc_u64_e32 v[24:25], 0, v[18:19]
	v_not_b32_e32 v11, v11
	v_max_i64 v[26:27], v[26:27], v[30:31]
	v_sub_nc_u64_e32 v[30:31], 0, v[32:33]
	v_not_b32_e32 v14, v14
	v_not_b32_e32 v15, v15
	v_add_nc_u64_e32 v[10:11], s[30:31], v[10:11]
	v_max_i64 v[18:19], v[18:19], v[24:25]
	s_lshl_b64 s[28:29], s[38:39], 1
	v_not_b32_e32 v4, v4
	v_not_b32_e32 v5, v5
	v_add_nc_u64_e32 v[14:15], s[28:29], v[14:15]
	v_max_i64 v[24:25], v[32:33], v[30:31]
	v_add_nc_u64_e32 v[2:3], v[10:11], v[2:3]
	s_lshl_b64 s[28:29], s[36:37], 1
	s_load_b64 s[0:1], s[0:1], 0xd0
	v_add_nc_u64_e32 v[4:5], s[28:29], v[4:5]
	s_delay_alu instid0(VALU_DEP_4) | instskip(SKIP_1) | instid1(VALU_DEP_4)
	v_add_nc_u64_e32 v[10:11], v[14:15], v[28:29]
	v_add_nc_u64_e32 v[14:15], v[8:9], v[16:17]
	v_add_nc_u64_e32 v[2:3], s[4:5], v[2:3]
	v_add_nc_u64_e32 v[12:13], v[6:7], v[12:13]
	s_bfe_u32 s4, ttmp6, 0x40014
	v_add_nc_u64_e32 v[4:5], v[4:5], v[22:23]
	s_bfe_u32 s5, ttmp6, 0x40010
	v_add_nc_u64_e32 v[10:11], s[6:7], v[10:11]
	s_lshr_b32 s6, ttmp7, 16
	v_sub_nc_u64_e32 v[2:3], v[2:3], v[14:15]
	s_add_co_i32 s4, s4, 1
	s_add_co_i32 s5, s5, 1
	v_add_nc_u64_e32 v[4:5], s[8:9], v[4:5]
	v_add_nc_u64_e32 v[14:15], v[0:1], v[20:21]
	v_sub_nc_u64_e32 v[10:11], v[10:11], v[12:13]
	s_and_b32 s8, ttmp7, 0xffff
	v_add_nc_u64_e32 v[2:3], v[2:3], v[26:27]
	s_mul_i32 s4, s6, s4
	s_bfe_u32 s7, ttmp6, 0x40008
	s_mul_i32 s5, s8, s5
	v_sub_nc_u64_e32 v[4:5], v[4:5], v[14:15]
	v_add_nc_u64_e32 v[10:11], v[10:11], v[18:19]
	s_bfe_u32 s9, ttmp6, 0x40004
	v_mul_u64_e32 v[2:3], s[14:15], v[2:3]
	s_add_co_i32 s7, s7, s4
	s_add_co_i32 s9, s9, s5
	s_cmp_eq_u32 s33, 0
	v_add_nc_u64_e32 v[4:5], v[4:5], v[24:25]
	v_mul_u64_e32 v[10:11], s[16:17], v[10:11]
	s_mov_b32 s5, 0
	s_cselect_b32 s6, s6, s7
	s_mov_b32 s7, s5
	s_cselect_b32 s4, s8, s9
	s_wait_kmcnt 0x0
	s_add_nc_u64 s[0:1], s[0:1], s[6:7]
	v_mul_u64_e32 v[4:5], s[18:19], v[4:5]
	s_mul_u64 s[6:7], s[10:11], s[0:1]
	s_add_nc_u64 s[4:5], s[42:43], s[4:5]
	s_lshl_b64 s[6:7], s[6:7], 1
	s_mul_u64 s[8:9], s[12:13], s[4:5]
	s_add_nc_u64 s[6:7], s[44:45], s[6:7]
	s_lshl_b64 s[8:9], s[8:9], 1
	v_mul_u64_e32 v[0:1], s[34:35], v[0:1]
	s_add_nc_u64 s[6:7], s[6:7], s[8:9]
	s_mul_u64 s[0:1], s[20:21], s[0:1]
	s_mul_u64 s[4:5], s[22:23], s[4:5]
	s_lshl_b64 s[0:1], s[0:1], 1
	s_delay_alu instid0(SALU_CYCLE_1) | instskip(SKIP_1) | instid1(SALU_CYCLE_1)
	s_add_nc_u64 s[0:1], s[2:3], s[0:1]
	s_lshl_b64 s[2:3], s[4:5], 1
	s_add_nc_u64 s[0:1], s[0:1], s[2:3]
	v_lshl_add_u64 v[2:3], v[2:3], 1, s[6:7]
	s_delay_alu instid0(VALU_DEP_1) | instskip(NEXT) | instid1(VALU_DEP_1)
	v_lshl_add_u64 v[2:3], v[10:11], 1, v[2:3]
	v_lshl_add_u64 v[2:3], v[4:5], 1, v[2:3]
	v_mul_u64_e32 v[4:5], s[26:27], v[6:7]
	global_load_u16 v10, v[2:3], off
	s_wait_xcnt 0x0
	v_mul_u64_e32 v[2:3], s[24:25], v[8:9]
	s_delay_alu instid0(VALU_DEP_1) | instskip(NEXT) | instid1(VALU_DEP_1)
	v_lshl_add_u64 v[2:3], v[2:3], 1, s[0:1]
	v_lshl_add_u64 v[2:3], v[4:5], 1, v[2:3]
	s_delay_alu instid0(VALU_DEP_1)
	v_lshl_add_u64 v[0:1], v[0:1], 1, v[2:3]
	s_wait_loadcnt 0x0
	global_store_b16 v[0:1], v10, off
.LBB66_14:
	s_endpgm
	.section	.rodata,"a",@progbits
	.p2align	6, 0x0
	.amdhsa_kernel _ZN2at6native12_GLOBAL__N_127reflection_pad3d_out_kernelIN3c104HalfEEEvN5torch10headeronly6detail27GenericPackedTensorAccessorINS7_14TensorAccessorINS3_8ArrayRefIlEEKT_Lm4ENS6_16DefaultPtrTraitsElEENS_6detail16IndexBoundsCheckILm5ElEESD_Lm5ESE_lEENS8_INS9_ISB_SC_Lm4ESE_lEESI_SC_Lm5ESE_lEElllll
		.amdhsa_group_segment_fixed_size 0
		.amdhsa_private_segment_fixed_size 0
		.amdhsa_kernarg_size 472
		.amdhsa_user_sgpr_count 2
		.amdhsa_user_sgpr_dispatch_ptr 0
		.amdhsa_user_sgpr_queue_ptr 0
		.amdhsa_user_sgpr_kernarg_segment_ptr 1
		.amdhsa_user_sgpr_dispatch_id 0
		.amdhsa_user_sgpr_kernarg_preload_length 0
		.amdhsa_user_sgpr_kernarg_preload_offset 0
		.amdhsa_user_sgpr_private_segment_size 0
		.amdhsa_wavefront_size32 1
		.amdhsa_uses_dynamic_stack 0
		.amdhsa_enable_private_segment 0
		.amdhsa_system_sgpr_workgroup_id_x 1
		.amdhsa_system_sgpr_workgroup_id_y 1
		.amdhsa_system_sgpr_workgroup_id_z 1
		.amdhsa_system_sgpr_workgroup_info 0
		.amdhsa_system_vgpr_workitem_id 0
		.amdhsa_next_free_vgpr 34
		.amdhsa_next_free_sgpr 52
		.amdhsa_named_barrier_count 0
		.amdhsa_reserve_vcc 1
		.amdhsa_float_round_mode_32 0
		.amdhsa_float_round_mode_16_64 0
		.amdhsa_float_denorm_mode_32 3
		.amdhsa_float_denorm_mode_16_64 3
		.amdhsa_fp16_overflow 0
		.amdhsa_memory_ordered 1
		.amdhsa_forward_progress 1
		.amdhsa_inst_pref_size 25
		.amdhsa_round_robin_scheduling 0
		.amdhsa_exception_fp_ieee_invalid_op 0
		.amdhsa_exception_fp_denorm_src 0
		.amdhsa_exception_fp_ieee_div_zero 0
		.amdhsa_exception_fp_ieee_overflow 0
		.amdhsa_exception_fp_ieee_underflow 0
		.amdhsa_exception_fp_ieee_inexact 0
		.amdhsa_exception_int_div_zero 0
	.end_amdhsa_kernel
	.section	.text._ZN2at6native12_GLOBAL__N_127reflection_pad3d_out_kernelIN3c104HalfEEEvN5torch10headeronly6detail27GenericPackedTensorAccessorINS7_14TensorAccessorINS3_8ArrayRefIlEEKT_Lm4ENS6_16DefaultPtrTraitsElEENS_6detail16IndexBoundsCheckILm5ElEESD_Lm5ESE_lEENS8_INS9_ISB_SC_Lm4ESE_lEESI_SC_Lm5ESE_lEElllll,"axG",@progbits,_ZN2at6native12_GLOBAL__N_127reflection_pad3d_out_kernelIN3c104HalfEEEvN5torch10headeronly6detail27GenericPackedTensorAccessorINS7_14TensorAccessorINS3_8ArrayRefIlEEKT_Lm4ENS6_16DefaultPtrTraitsElEENS_6detail16IndexBoundsCheckILm5ElEESD_Lm5ESE_lEENS8_INS9_ISB_SC_Lm4ESE_lEESI_SC_Lm5ESE_lEElllll,comdat
.Lfunc_end66:
	.size	_ZN2at6native12_GLOBAL__N_127reflection_pad3d_out_kernelIN3c104HalfEEEvN5torch10headeronly6detail27GenericPackedTensorAccessorINS7_14TensorAccessorINS3_8ArrayRefIlEEKT_Lm4ENS6_16DefaultPtrTraitsElEENS_6detail16IndexBoundsCheckILm5ElEESD_Lm5ESE_lEENS8_INS9_ISB_SC_Lm4ESE_lEESI_SC_Lm5ESE_lEElllll, .Lfunc_end66-_ZN2at6native12_GLOBAL__N_127reflection_pad3d_out_kernelIN3c104HalfEEEvN5torch10headeronly6detail27GenericPackedTensorAccessorINS7_14TensorAccessorINS3_8ArrayRefIlEEKT_Lm4ENS6_16DefaultPtrTraitsElEENS_6detail16IndexBoundsCheckILm5ElEESD_Lm5ESE_lEENS8_INS9_ISB_SC_Lm4ESE_lEESI_SC_Lm5ESE_lEElllll
                                        ; -- End function
	.set _ZN2at6native12_GLOBAL__N_127reflection_pad3d_out_kernelIN3c104HalfEEEvN5torch10headeronly6detail27GenericPackedTensorAccessorINS7_14TensorAccessorINS3_8ArrayRefIlEEKT_Lm4ENS6_16DefaultPtrTraitsElEENS_6detail16IndexBoundsCheckILm5ElEESD_Lm5ESE_lEENS8_INS9_ISB_SC_Lm4ESE_lEESI_SC_Lm5ESE_lEElllll.num_vgpr, 34
	.set _ZN2at6native12_GLOBAL__N_127reflection_pad3d_out_kernelIN3c104HalfEEEvN5torch10headeronly6detail27GenericPackedTensorAccessorINS7_14TensorAccessorINS3_8ArrayRefIlEEKT_Lm4ENS6_16DefaultPtrTraitsElEENS_6detail16IndexBoundsCheckILm5ElEESD_Lm5ESE_lEENS8_INS9_ISB_SC_Lm4ESE_lEESI_SC_Lm5ESE_lEElllll.num_agpr, 0
	.set _ZN2at6native12_GLOBAL__N_127reflection_pad3d_out_kernelIN3c104HalfEEEvN5torch10headeronly6detail27GenericPackedTensorAccessorINS7_14TensorAccessorINS3_8ArrayRefIlEEKT_Lm4ENS6_16DefaultPtrTraitsElEENS_6detail16IndexBoundsCheckILm5ElEESD_Lm5ESE_lEENS8_INS9_ISB_SC_Lm4ESE_lEESI_SC_Lm5ESE_lEElllll.numbered_sgpr, 52
	.set _ZN2at6native12_GLOBAL__N_127reflection_pad3d_out_kernelIN3c104HalfEEEvN5torch10headeronly6detail27GenericPackedTensorAccessorINS7_14TensorAccessorINS3_8ArrayRefIlEEKT_Lm4ENS6_16DefaultPtrTraitsElEENS_6detail16IndexBoundsCheckILm5ElEESD_Lm5ESE_lEENS8_INS9_ISB_SC_Lm4ESE_lEESI_SC_Lm5ESE_lEElllll.num_named_barrier, 0
	.set _ZN2at6native12_GLOBAL__N_127reflection_pad3d_out_kernelIN3c104HalfEEEvN5torch10headeronly6detail27GenericPackedTensorAccessorINS7_14TensorAccessorINS3_8ArrayRefIlEEKT_Lm4ENS6_16DefaultPtrTraitsElEENS_6detail16IndexBoundsCheckILm5ElEESD_Lm5ESE_lEENS8_INS9_ISB_SC_Lm4ESE_lEESI_SC_Lm5ESE_lEElllll.private_seg_size, 0
	.set _ZN2at6native12_GLOBAL__N_127reflection_pad3d_out_kernelIN3c104HalfEEEvN5torch10headeronly6detail27GenericPackedTensorAccessorINS7_14TensorAccessorINS3_8ArrayRefIlEEKT_Lm4ENS6_16DefaultPtrTraitsElEENS_6detail16IndexBoundsCheckILm5ElEESD_Lm5ESE_lEENS8_INS9_ISB_SC_Lm4ESE_lEESI_SC_Lm5ESE_lEElllll.uses_vcc, 1
	.set _ZN2at6native12_GLOBAL__N_127reflection_pad3d_out_kernelIN3c104HalfEEEvN5torch10headeronly6detail27GenericPackedTensorAccessorINS7_14TensorAccessorINS3_8ArrayRefIlEEKT_Lm4ENS6_16DefaultPtrTraitsElEENS_6detail16IndexBoundsCheckILm5ElEESD_Lm5ESE_lEENS8_INS9_ISB_SC_Lm4ESE_lEESI_SC_Lm5ESE_lEElllll.uses_flat_scratch, 0
	.set _ZN2at6native12_GLOBAL__N_127reflection_pad3d_out_kernelIN3c104HalfEEEvN5torch10headeronly6detail27GenericPackedTensorAccessorINS7_14TensorAccessorINS3_8ArrayRefIlEEKT_Lm4ENS6_16DefaultPtrTraitsElEENS_6detail16IndexBoundsCheckILm5ElEESD_Lm5ESE_lEENS8_INS9_ISB_SC_Lm4ESE_lEESI_SC_Lm5ESE_lEElllll.has_dyn_sized_stack, 0
	.set _ZN2at6native12_GLOBAL__N_127reflection_pad3d_out_kernelIN3c104HalfEEEvN5torch10headeronly6detail27GenericPackedTensorAccessorINS7_14TensorAccessorINS3_8ArrayRefIlEEKT_Lm4ENS6_16DefaultPtrTraitsElEENS_6detail16IndexBoundsCheckILm5ElEESD_Lm5ESE_lEENS8_INS9_ISB_SC_Lm4ESE_lEESI_SC_Lm5ESE_lEElllll.has_recursion, 0
	.set _ZN2at6native12_GLOBAL__N_127reflection_pad3d_out_kernelIN3c104HalfEEEvN5torch10headeronly6detail27GenericPackedTensorAccessorINS7_14TensorAccessorINS3_8ArrayRefIlEEKT_Lm4ENS6_16DefaultPtrTraitsElEENS_6detail16IndexBoundsCheckILm5ElEESD_Lm5ESE_lEENS8_INS9_ISB_SC_Lm4ESE_lEESI_SC_Lm5ESE_lEElllll.has_indirect_call, 0
	.section	.AMDGPU.csdata,"",@progbits
; Kernel info:
; codeLenInByte = 3080
; TotalNumSgprs: 54
; NumVgprs: 34
; ScratchSize: 0
; MemoryBound: 0
; FloatMode: 240
; IeeeMode: 1
; LDSByteSize: 0 bytes/workgroup (compile time only)
; SGPRBlocks: 0
; VGPRBlocks: 2
; NumSGPRsForWavesPerEU: 54
; NumVGPRsForWavesPerEU: 34
; NamedBarCnt: 0
; Occupancy: 16
; WaveLimiterHint : 0
; COMPUTE_PGM_RSRC2:SCRATCH_EN: 0
; COMPUTE_PGM_RSRC2:USER_SGPR: 2
; COMPUTE_PGM_RSRC2:TRAP_HANDLER: 0
; COMPUTE_PGM_RSRC2:TGID_X_EN: 1
; COMPUTE_PGM_RSRC2:TGID_Y_EN: 1
; COMPUTE_PGM_RSRC2:TGID_Z_EN: 1
; COMPUTE_PGM_RSRC2:TIDIG_COMP_CNT: 0
	.section	.text._ZN2at6native12_GLOBAL__N_127reflection_pad3d_out_kernelIN3c108BFloat16EEEvN5torch10headeronly6detail27GenericPackedTensorAccessorINS7_14TensorAccessorINS3_8ArrayRefIlEEKT_Lm4ENS6_16DefaultPtrTraitsElEENS_6detail16IndexBoundsCheckILm5ElEESD_Lm5ESE_lEENS8_INS9_ISB_SC_Lm4ESE_lEESI_SC_Lm5ESE_lEElllll,"axG",@progbits,_ZN2at6native12_GLOBAL__N_127reflection_pad3d_out_kernelIN3c108BFloat16EEEvN5torch10headeronly6detail27GenericPackedTensorAccessorINS7_14TensorAccessorINS3_8ArrayRefIlEEKT_Lm4ENS6_16DefaultPtrTraitsElEENS_6detail16IndexBoundsCheckILm5ElEESD_Lm5ESE_lEENS8_INS9_ISB_SC_Lm4ESE_lEESI_SC_Lm5ESE_lEElllll,comdat
	.globl	_ZN2at6native12_GLOBAL__N_127reflection_pad3d_out_kernelIN3c108BFloat16EEEvN5torch10headeronly6detail27GenericPackedTensorAccessorINS7_14TensorAccessorINS3_8ArrayRefIlEEKT_Lm4ENS6_16DefaultPtrTraitsElEENS_6detail16IndexBoundsCheckILm5ElEESD_Lm5ESE_lEENS8_INS9_ISB_SC_Lm4ESE_lEESI_SC_Lm5ESE_lEElllll ; -- Begin function _ZN2at6native12_GLOBAL__N_127reflection_pad3d_out_kernelIN3c108BFloat16EEEvN5torch10headeronly6detail27GenericPackedTensorAccessorINS7_14TensorAccessorINS3_8ArrayRefIlEEKT_Lm4ENS6_16DefaultPtrTraitsElEENS_6detail16IndexBoundsCheckILm5ElEESD_Lm5ESE_lEENS8_INS9_ISB_SC_Lm4ESE_lEESI_SC_Lm5ESE_lEElllll
	.p2align	8
	.type	_ZN2at6native12_GLOBAL__N_127reflection_pad3d_out_kernelIN3c108BFloat16EEEvN5torch10headeronly6detail27GenericPackedTensorAccessorINS7_14TensorAccessorINS3_8ArrayRefIlEEKT_Lm4ENS6_16DefaultPtrTraitsElEENS_6detail16IndexBoundsCheckILm5ElEESD_Lm5ESE_lEENS8_INS9_ISB_SC_Lm4ESE_lEESI_SC_Lm5ESE_lEElllll,@function
_ZN2at6native12_GLOBAL__N_127reflection_pad3d_out_kernelIN3c108BFloat16EEEvN5torch10headeronly6detail27GenericPackedTensorAccessorINS7_14TensorAccessorINS3_8ArrayRefIlEEKT_Lm4ENS6_16DefaultPtrTraitsElEENS_6detail16IndexBoundsCheckILm5ElEESD_Lm5ESE_lEENS8_INS9_ISB_SC_Lm4ESE_lEESI_SC_Lm5ESE_lEElllll: ; @_ZN2at6native12_GLOBAL__N_127reflection_pad3d_out_kernelIN3c108BFloat16EEEvN5torch10headeronly6detail27GenericPackedTensorAccessorINS7_14TensorAccessorINS3_8ArrayRefIlEEKT_Lm4ENS6_16DefaultPtrTraitsElEENS_6detail16IndexBoundsCheckILm5ElEESD_Lm5ESE_lEENS8_INS9_ISB_SC_Lm4ESE_lEESI_SC_Lm5ESE_lEElllll
; %bb.0:
	s_clause 0x2
	s_load_b32 s2, s[0:1], 0xe4
	s_load_b128 s[4:7], s[0:1], 0x70
	s_load_b64 s[28:29], s[0:1], 0x80
	s_bfe_u32 s3, ttmp6, 0x4000c
	v_mov_b32_e32 v2, 0
	s_add_co_i32 s3, s3, 1
	s_and_b32 s8, ttmp6, 15
	s_mul_i32 s3, ttmp9, s3
	s_getreg_b32 s33, hwreg(HW_REG_IB_STS2, 6, 4)
	v_mov_b32_e32 v1, v2
	s_add_co_i32 s8, s8, s3
	s_wait_kmcnt 0x0
	s_and_b32 s2, s2, 0xffff
	s_cmp_eq_u32 s33, 0
	s_mul_u64 s[30:31], s[28:29], s[6:7]
	s_cselect_b32 s3, ttmp9, s8
	s_delay_alu instid0(SALU_CYCLE_1)
	v_mad_nc_u64_u32 v[0:1], s2, s3, v[0:1]
	s_mul_u64 s[2:3], s[30:31], s[4:5]
	s_delay_alu instid0(VALU_DEP_1) | instid1(SALU_CYCLE_1)
	v_cmp_gt_i64_e32 vcc_lo, s[2:3], v[0:1]
	s_and_saveexec_b32 s2, vcc_lo
	s_cbranch_execz .LBB67_14
; %bb.1:
	v_or_b32_e32 v3, s29, v1
                                        ; implicit-def: $vgpr4_vgpr5
	s_delay_alu instid0(VALU_DEP_1) | instskip(SKIP_2) | instid1(SALU_CYCLE_1)
	v_cmp_ne_u64_e32 vcc_lo, 0, v[2:3]
	v_ashrrev_i32_e32 v2, 31, v1
	s_and_saveexec_b32 s2, vcc_lo
	s_xor_b32 s3, exec_lo, s2
	s_cbranch_execz .LBB67_3
; %bb.2:
	s_ashr_i32 s4, s29, 31
	s_mov_b32 s17, 0
	s_mov_b32 s5, s4
	v_dual_mov_b32 v3, v2 :: v_dual_mov_b32 v7, 0
	s_add_nc_u64 s[8:9], s[28:29], s[4:5]
	s_delay_alu instid0(SALU_CYCLE_1) | instskip(NEXT) | instid1(VALU_DEP_1)
	s_xor_b64 s[8:9], s[8:9], s[4:5]
	v_add_nc_u64_e32 v[4:5], v[0:1], v[2:3]
	s_cvt_f32_u32 s2, s8
	s_cvt_f32_u32 s5, s9
	s_sub_nc_u64 s[12:13], 0, s[8:9]
	v_dual_mov_b32 v9, v7 :: v_dual_mov_b32 v15, v7
	s_delay_alu instid0(SALU_CYCLE_1) | instskip(NEXT) | instid1(VALU_DEP_2)
	s_fmamk_f32 s2, s5, 0x4f800000, s2
	v_xor_b32_e32 v6, v4, v2
	v_xor_b32_e32 v8, v5, v2
	s_delay_alu instid0(SALU_CYCLE_1) | instskip(NEXT) | instid1(TRANS32_DEP_1)
	v_s_rcp_f32 s2, s2
	s_mul_f32 s2, s2, 0x5f7ffffc
	s_delay_alu instid0(SALU_CYCLE_3) | instskip(NEXT) | instid1(SALU_CYCLE_3)
	s_mul_f32 s5, s2, 0x2f800000
	s_trunc_f32 s5, s5
	s_delay_alu instid0(SALU_CYCLE_3) | instskip(SKIP_1) | instid1(SALU_CYCLE_2)
	s_fmamk_f32 s2, s5, 0xcf800000, s2
	s_cvt_u32_f32 s11, s5
	s_cvt_u32_f32 s10, s2
	s_delay_alu instid0(SALU_CYCLE_3) | instskip(NEXT) | instid1(SALU_CYCLE_1)
	s_mul_u64 s[14:15], s[12:13], s[10:11]
	s_mul_hi_u32 s19, s10, s15
	s_mul_i32 s18, s10, s15
	s_mul_hi_u32 s16, s10, s14
	s_mul_i32 s5, s11, s14
	s_add_nc_u64 s[18:19], s[16:17], s[18:19]
	s_mul_hi_u32 s2, s11, s14
	s_mul_hi_u32 s20, s11, s15
	s_add_co_u32 s5, s18, s5
	s_add_co_ci_u32 s16, s19, s2
	s_mul_i32 s14, s11, s15
	s_add_co_ci_u32 s15, s20, 0
	s_delay_alu instid0(SALU_CYCLE_1) | instskip(NEXT) | instid1(SALU_CYCLE_1)
	s_add_nc_u64 s[14:15], s[16:17], s[14:15]
	s_add_co_u32 s10, s10, s14
	s_cselect_b32 s2, -1, 0
	s_delay_alu instid0(SALU_CYCLE_1) | instskip(SKIP_1) | instid1(SALU_CYCLE_1)
	s_cmp_lg_u32 s2, 0
	s_add_co_ci_u32 s11, s11, s15
	s_mul_u64 s[12:13], s[12:13], s[10:11]
	s_delay_alu instid0(SALU_CYCLE_1)
	s_mul_hi_u32 s15, s10, s13
	s_mul_i32 s14, s10, s13
	s_mul_hi_u32 s16, s10, s12
	s_mul_i32 s5, s11, s12
	s_add_nc_u64 s[14:15], s[16:17], s[14:15]
	s_mul_hi_u32 s2, s11, s12
	s_mul_hi_u32 s18, s11, s13
	s_add_co_u32 s5, s14, s5
	s_add_co_ci_u32 s16, s15, s2
	s_mul_i32 s12, s11, s13
	s_add_co_ci_u32 s13, s18, 0
	s_delay_alu instid0(SALU_CYCLE_1) | instskip(NEXT) | instid1(SALU_CYCLE_1)
	s_add_nc_u64 s[12:13], s[16:17], s[12:13]
	s_add_co_u32 s2, s10, s12
	s_cselect_b32 s5, -1, 0
	v_nop
	v_mul_hi_u32 v14, v6, s2
	s_cmp_lg_u32 s5, 0
	s_add_co_ci_u32 s16, s11, s13
	s_mov_b64 s[10:11], 0xffffffff
	v_mul_u64_e32 v[10:11], s[16:17], v[6:7]
	s_and_b64 s[10:11], s[2:3], s[10:11]
	v_mul_u64_e32 v[12:13], s[16:17], v[8:9]
	v_mul_u64_e32 v[4:5], s[10:11], v[8:9]
	s_delay_alu instid0(VALU_DEP_3) | instskip(NEXT) | instid1(VALU_DEP_1)
	v_add_nc_u64_e32 v[10:11], v[14:15], v[10:11]
	v_add_co_u32 v3, vcc_lo, v10, v4
	s_delay_alu instid0(VALU_DEP_2) | instskip(SKIP_1) | instid1(VALU_DEP_1)
	v_add_co_ci_u32_e32 v14, vcc_lo, v11, v5, vcc_lo
	v_add_co_ci_u32_e32 v13, vcc_lo, 0, v13, vcc_lo
	v_add_nc_u64_e32 v[4:5], v[14:15], v[12:13]
	s_delay_alu instid0(VALU_DEP_1) | instskip(NEXT) | instid1(VALU_DEP_1)
	v_mul_u64_e32 v[10:11], s[8:9], v[4:5]
	v_sub_nc_u32_e32 v3, v8, v11
	s_delay_alu instid0(VALU_DEP_2) | instskip(NEXT) | instid1(VALU_DEP_1)
	v_sub_co_u32 v6, vcc_lo, v6, v10
	v_sub_co_ci_u32_e64 v10, null, v8, v11, vcc_lo
	s_delay_alu instid0(VALU_DEP_3) | instskip(NEXT) | instid1(VALU_DEP_3)
	v_subrev_co_ci_u32_e64 v3, null, s9, v3, vcc_lo
	v_sub_co_u32 v7, s2, v6, s8
	s_delay_alu instid0(VALU_DEP_1) | instskip(NEXT) | instid1(VALU_DEP_2)
	v_subrev_co_ci_u32_e64 v3, null, 0, v3, s2
	v_cmp_le_u32_e32 vcc_lo, s8, v7
	v_cndmask_b32_e64 v7, 0, -1, vcc_lo
	s_delay_alu instid0(VALU_DEP_3)
	v_cmp_le_u32_e32 vcc_lo, s9, v3
	v_cndmask_b32_e64 v8, 0, -1, vcc_lo
	v_cmp_le_u32_e32 vcc_lo, s8, v6
	v_cndmask_b32_e64 v11, 0, -1, vcc_lo
	;; [unrolled: 2-line block ×3, first 2 shown]
	v_cmp_eq_u32_e32 vcc_lo, s9, v3
	v_cndmask_b32_e32 v3, v8, v7, vcc_lo
	v_cmp_eq_u32_e32 vcc_lo, s9, v10
	v_add_nc_u64_e32 v[6:7], 2, v[4:5]
	v_add_nc_u64_e32 v[8:9], 1, v[4:5]
	v_cndmask_b32_e32 v10, v12, v11, vcc_lo
	v_cmp_ne_u32_e32 vcc_lo, 0, v3
	s_delay_alu instid0(VALU_DEP_2) | instskip(NEXT) | instid1(VALU_DEP_4)
	v_cmp_ne_u32_e64 s2, 0, v10
	v_dual_cndmask_b32 v3, v9, v7, vcc_lo :: v_dual_cndmask_b32 v7, v8, v6, vcc_lo
	s_delay_alu instid0(VALU_DEP_1) | instskip(NEXT) | instid1(VALU_DEP_1)
	v_dual_cndmask_b32 v4, v4, v7, s2 :: v_dual_bitop2_b32 v6, s4, v2 bitop3:0x14
	v_dual_cndmask_b32 v3, v5, v3, s2 :: v_dual_mov_b32 v7, v6
	s_delay_alu instid0(VALU_DEP_2) | instskip(NEXT) | instid1(VALU_DEP_2)
	v_xor_b32_e32 v4, v4, v6
	v_xor_b32_e32 v5, v3, v6
	s_delay_alu instid0(VALU_DEP_1)
	v_sub_nc_u64_e32 v[4:5], v[4:5], v[6:7]
.LBB67_3:
	s_and_not1_saveexec_b32 s2, s3
	s_cbranch_execz .LBB67_5
; %bb.4:
	v_cvt_f32_u32_e32 v3, s28
	s_sub_co_i32 s3, 0, s28
	s_delay_alu instid0(VALU_DEP_1) | instskip(SKIP_1) | instid1(TRANS32_DEP_1)
	v_rcp_iflag_f32_e32 v3, v3
	v_nop
	v_mul_f32_e32 v3, 0x4f7ffffe, v3
	s_delay_alu instid0(VALU_DEP_1) | instskip(NEXT) | instid1(VALU_DEP_1)
	v_cvt_u32_f32_e32 v3, v3
	v_mul_lo_u32 v4, s3, v3
	s_delay_alu instid0(VALU_DEP_1) | instskip(NEXT) | instid1(VALU_DEP_1)
	v_mul_hi_u32 v4, v3, v4
	v_add_nc_u32_e32 v3, v3, v4
	s_delay_alu instid0(VALU_DEP_1) | instskip(NEXT) | instid1(VALU_DEP_1)
	v_mul_hi_u32 v3, v0, v3
	v_mul_lo_u32 v4, v3, s28
	s_delay_alu instid0(VALU_DEP_1) | instskip(NEXT) | instid1(VALU_DEP_1)
	v_dual_add_nc_u32 v5, 1, v3 :: v_dual_sub_nc_u32 v4, v0, v4
	v_subrev_nc_u32_e32 v6, s28, v4
	v_cmp_le_u32_e32 vcc_lo, s28, v4
	s_delay_alu instid0(VALU_DEP_2) | instskip(NEXT) | instid1(VALU_DEP_1)
	v_dual_cndmask_b32 v4, v4, v6 :: v_dual_cndmask_b32 v3, v3, v5
	v_cmp_le_u32_e32 vcc_lo, s28, v4
	s_delay_alu instid0(VALU_DEP_2) | instskip(NEXT) | instid1(VALU_DEP_1)
	v_add_nc_u32_e32 v5, 1, v3
	v_dual_cndmask_b32 v4, v3, v5 :: v_dual_mov_b32 v5, 0
.LBB67_5:
	s_or_b32 exec_lo, exec_lo, s2
	s_delay_alu instid0(VALU_DEP_1) | instskip(SKIP_1) | instid1(VALU_DEP_1)
	v_dual_mov_b32 v8, 0 :: v_dual_bitop2_b32 v9, s7, v5 bitop3:0x54
                                        ; implicit-def: $vgpr6_vgpr7
	s_mov_b32 s2, exec_lo
	v_cmpx_ne_u64_e32 0, v[8:9]
	s_xor_b32 s3, exec_lo, s2
	s_cbranch_execz .LBB67_7
; %bb.6:
	s_ashr_i32 s4, s7, 31
	s_mov_b32 s15, 0
	s_mov_b32 s5, s4
	v_dual_mov_b32 v13, v8 :: v_dual_ashrrev_i32 v6, 31, v5
	s_add_nc_u64 s[8:9], s[6:7], s[4:5]
	v_mov_b32_e32 v15, v8
	s_xor_b64 s[4:5], s[8:9], s[4:5]
	s_delay_alu instid0(VALU_DEP_2)
	v_mov_b32_e32 v7, v6
	s_cvt_f32_u32 s2, s4
	s_cvt_f32_u32 s7, s5
	s_sub_nc_u64 s[10:11], 0, s[4:5]
	v_mov_b32_e32 v21, v8
	v_add_nc_u64_e32 v[10:11], v[4:5], v[6:7]
	s_fmamk_f32 s2, s7, 0x4f800000, s2
	v_mov_b32_e32 v9, v8
	s_delay_alu instid0(SALU_CYCLE_2) | instskip(NEXT) | instid1(VALU_DEP_2)
	v_s_rcp_f32 s2, s2
	v_xor_b32_e32 v12, v10, v6
	s_delay_alu instid0(VALU_DEP_3) | instskip(NEXT) | instid1(TRANS32_DEP_1)
	v_xor_b32_e32 v14, v11, v6
	s_mul_f32 s2, s2, 0x5f7ffffc
	s_delay_alu instid0(SALU_CYCLE_3) | instskip(NEXT) | instid1(SALU_CYCLE_3)
	s_mul_f32 s7, s2, 0x2f800000
	s_trunc_f32 s7, s7
	s_delay_alu instid0(SALU_CYCLE_3) | instskip(SKIP_1) | instid1(SALU_CYCLE_2)
	s_fmamk_f32 s2, s7, 0xcf800000, s2
	s_cvt_u32_f32 s9, s7
	s_cvt_u32_f32 s8, s2
	s_delay_alu instid0(SALU_CYCLE_3) | instskip(NEXT) | instid1(SALU_CYCLE_1)
	s_mul_u64 s[12:13], s[10:11], s[8:9]
	s_mul_hi_u32 s17, s8, s13
	s_mul_i32 s16, s8, s13
	s_mul_hi_u32 s14, s8, s12
	s_mul_i32 s7, s9, s12
	s_add_nc_u64 s[16:17], s[14:15], s[16:17]
	s_mul_hi_u32 s2, s9, s12
	s_mul_hi_u32 s18, s9, s13
	s_add_co_u32 s7, s16, s7
	s_add_co_ci_u32 s14, s17, s2
	s_mul_i32 s12, s9, s13
	s_add_co_ci_u32 s13, s18, 0
	s_delay_alu instid0(SALU_CYCLE_1) | instskip(NEXT) | instid1(SALU_CYCLE_1)
	s_add_nc_u64 s[12:13], s[14:15], s[12:13]
	s_add_co_u32 s8, s8, s12
	s_cselect_b32 s2, -1, 0
	s_delay_alu instid0(SALU_CYCLE_1) | instskip(SKIP_1) | instid1(SALU_CYCLE_1)
	s_cmp_lg_u32 s2, 0
	s_add_co_ci_u32 s9, s9, s13
	s_mul_u64 s[10:11], s[10:11], s[8:9]
	s_delay_alu instid0(SALU_CYCLE_1)
	s_mul_hi_u32 s13, s8, s11
	s_mul_i32 s12, s8, s11
	s_mul_hi_u32 s14, s8, s10
	s_mul_i32 s7, s9, s10
	s_add_nc_u64 s[12:13], s[14:15], s[12:13]
	s_mul_hi_u32 s2, s9, s10
	s_mul_hi_u32 s16, s9, s11
	s_add_co_u32 s7, s12, s7
	s_add_co_ci_u32 s14, s13, s2
	s_mul_i32 s10, s9, s11
	s_add_co_ci_u32 s11, s16, 0
	s_delay_alu instid0(SALU_CYCLE_1) | instskip(NEXT) | instid1(SALU_CYCLE_1)
	s_add_nc_u64 s[10:11], s[14:15], s[10:11]
	s_add_co_u32 s2, s8, s10
	s_cselect_b32 s7, -1, 0
	v_mul_hi_u32 v20, v12, s2
	s_cmp_lg_u32 s7, 0
	s_add_co_ci_u32 s14, s9, s11
	s_mov_b64 s[8:9], 0xffffffff
	v_mul_u64_e32 v[16:17], s[14:15], v[12:13]
	s_and_b64 s[8:9], s[2:3], s[8:9]
	v_mul_u64_e32 v[18:19], s[14:15], v[14:15]
	v_mul_u64_e32 v[10:11], s[8:9], v[14:15]
	s_delay_alu instid0(VALU_DEP_3) | instskip(NEXT) | instid1(VALU_DEP_1)
	v_add_nc_u64_e32 v[16:17], v[20:21], v[16:17]
	v_add_co_u32 v3, vcc_lo, v16, v10
	s_delay_alu instid0(VALU_DEP_2) | instskip(SKIP_1) | instid1(VALU_DEP_1)
	v_add_co_ci_u32_e32 v8, vcc_lo, v17, v11, vcc_lo
	v_add_co_ci_u32_e32 v19, vcc_lo, 0, v19, vcc_lo
	v_add_nc_u64_e32 v[8:9], v[8:9], v[18:19]
	s_delay_alu instid0(VALU_DEP_1) | instskip(NEXT) | instid1(VALU_DEP_1)
	v_mul_u64_e32 v[8:9], s[4:5], v[8:9]
	v_sub_co_u32 v8, vcc_lo, v12, v8
	s_delay_alu instid0(VALU_DEP_1) | instskip(NEXT) | instid1(VALU_DEP_1)
	v_cmp_le_u32_e64 s2, s4, v8
	v_cndmask_b32_e64 v12, 0, -1, s2
	s_delay_alu instid0(VALU_DEP_4) | instskip(SKIP_1) | instid1(VALU_DEP_2)
	v_sub_nc_u32_e32 v3, v14, v9
	v_sub_co_ci_u32_e64 v9, null, v14, v9, vcc_lo
	v_subrev_co_ci_u32_e64 v3, null, s5, v3, vcc_lo
	v_sub_co_u32 v10, vcc_lo, v8, s4
	s_delay_alu instid0(VALU_DEP_1) | instskip(NEXT) | instid1(VALU_DEP_2)
	v_subrev_co_ci_u32_e64 v11, null, 0, v3, vcc_lo
	v_cmp_le_u32_e64 s2, s4, v10
	v_subrev_co_ci_u32_e64 v3, null, s5, v3, vcc_lo
	v_cmp_le_u32_e32 vcc_lo, s5, v9
	s_delay_alu instid0(VALU_DEP_3) | instskip(SKIP_3) | instid1(VALU_DEP_3)
	v_cndmask_b32_e64 v13, 0, -1, s2
	v_cmp_le_u32_e64 s2, s5, v11
	v_cndmask_b32_e64 v15, 0, -1, vcc_lo
	v_cmp_eq_u32_e32 vcc_lo, s5, v11
	v_cndmask_b32_e64 v14, 0, -1, s2
	v_cmp_eq_u32_e64 s2, s5, v9
	s_delay_alu instid0(VALU_DEP_2) | instskip(SKIP_1) | instid1(VALU_DEP_1)
	v_cndmask_b32_e32 v13, v14, v13, vcc_lo
	v_sub_co_u32 v14, vcc_lo, v10, s4
	v_subrev_co_ci_u32_e64 v3, null, 0, v3, vcc_lo
	s_delay_alu instid0(VALU_DEP_3) | instskip(SKIP_1) | instid1(VALU_DEP_3)
	v_cmp_ne_u32_e32 vcc_lo, 0, v13
	v_cndmask_b32_e64 v12, v15, v12, s2
	v_dual_cndmask_b32 v3, v11, v3 :: v_dual_cndmask_b32 v10, v10, v14
	s_delay_alu instid0(VALU_DEP_2) | instskip(NEXT) | instid1(VALU_DEP_2)
	v_cmp_ne_u32_e32 vcc_lo, 0, v12
	v_dual_cndmask_b32 v3, v9, v3 :: v_dual_cndmask_b32 v8, v8, v10
	s_delay_alu instid0(VALU_DEP_1) | instskip(NEXT) | instid1(VALU_DEP_2)
	v_xor_b32_e32 v9, v3, v6
	v_xor_b32_e32 v8, v8, v6
	s_delay_alu instid0(VALU_DEP_1)
	v_sub_nc_u64_e32 v[6:7], v[8:9], v[6:7]
.LBB67_7:
	s_or_saveexec_b32 s2, s3
	s_clause 0x1
	s_load_b64 s[34:35], s[0:1], 0xa8
	s_load_b256 s[20:27], s[0:1], 0x88
	s_xor_b32 exec_lo, exec_lo, s2
	s_cbranch_execz .LBB67_9
; %bb.8:
	v_cvt_f32_u32_e32 v3, s6
	s_sub_co_i32 s3, 0, s6
	v_mov_b32_e32 v7, 0
	s_delay_alu instid0(VALU_DEP_2) | instskip(SKIP_1) | instid1(TRANS32_DEP_1)
	v_rcp_iflag_f32_e32 v3, v3
	v_nop
	v_mul_f32_e32 v3, 0x4f7ffffe, v3
	s_delay_alu instid0(VALU_DEP_1) | instskip(NEXT) | instid1(VALU_DEP_1)
	v_cvt_u32_f32_e32 v3, v3
	v_mul_lo_u32 v6, s3, v3
	s_delay_alu instid0(VALU_DEP_1) | instskip(NEXT) | instid1(VALU_DEP_1)
	v_mul_hi_u32 v6, v3, v6
	v_add_nc_u32_e32 v3, v3, v6
	s_delay_alu instid0(VALU_DEP_1) | instskip(NEXT) | instid1(VALU_DEP_1)
	v_mul_hi_u32 v3, v4, v3
	v_mul_lo_u32 v3, v3, s6
	s_delay_alu instid0(VALU_DEP_1) | instskip(NEXT) | instid1(VALU_DEP_1)
	v_sub_nc_u32_e32 v3, v4, v3
	v_subrev_nc_u32_e32 v6, s6, v3
	v_cmp_le_u32_e32 vcc_lo, s6, v3
	s_delay_alu instid0(VALU_DEP_2) | instskip(NEXT) | instid1(VALU_DEP_1)
	v_cndmask_b32_e32 v3, v3, v6, vcc_lo
	v_subrev_nc_u32_e32 v6, s6, v3
	v_cmp_le_u32_e32 vcc_lo, s6, v3
	s_delay_alu instid0(VALU_DEP_2)
	v_cndmask_b32_e32 v6, v3, v6, vcc_lo
.LBB67_9:
	s_or_b32 exec_lo, exec_lo, s2
	v_dual_mov_b32 v10, 0 :: v_dual_bitop2_b32 v11, s31, v1 bitop3:0x54
                                        ; implicit-def: $vgpr8_vgpr9
	s_mov_b32 s2, exec_lo
	s_delay_alu instid0(VALU_DEP_1)
	v_cmpx_ne_u64_e32 0, v[10:11]
	s_xor_b32 s3, exec_lo, s2
	s_cbranch_execz .LBB67_11
; %bb.10:
	s_ashr_i32 s4, s31, 31
	s_mov_b32 s15, 0
	s_mov_b32 s5, s4
	v_dual_mov_b32 v3, v2 :: v_dual_mov_b32 v13, v10
	s_add_nc_u64 s[6:7], s[30:31], s[4:5]
	v_mov_b32_e32 v11, v10
	s_xor_b64 s[6:7], s[6:7], s[4:5]
	s_delay_alu instid0(VALU_DEP_2) | instskip(SKIP_4) | instid1(SALU_CYCLE_1)
	v_add_nc_u64_e32 v[8:9], v[0:1], v[2:3]
	s_cvt_f32_u32 s2, s6
	s_cvt_f32_u32 s5, s7
	s_sub_nc_u64 s[10:11], 0, s[6:7]
	v_dual_mov_b32 v15, v10 :: v_dual_mov_b32 v21, v10
	s_fmamk_f32 s2, s5, 0x4f800000, s2
	s_delay_alu instid0(VALU_DEP_2) | instskip(SKIP_3) | instid1(TRANS32_DEP_1)
	v_xor_b32_e32 v12, v8, v2
	v_xor_b32_e32 v14, v9, v2
	v_xor_b32_e32 v2, s4, v2
	v_s_rcp_f32 s2, s2
	s_mul_f32 s2, s2, 0x5f7ffffc
	s_delay_alu instid0(SALU_CYCLE_3) | instskip(NEXT) | instid1(SALU_CYCLE_3)
	s_mul_f32 s5, s2, 0x2f800000
	s_trunc_f32 s5, s5
	s_delay_alu instid0(SALU_CYCLE_3) | instskip(SKIP_1) | instid1(SALU_CYCLE_2)
	s_fmamk_f32 s2, s5, 0xcf800000, s2
	s_cvt_u32_f32 s9, s5
	s_cvt_u32_f32 s8, s2
	s_delay_alu instid0(SALU_CYCLE_3) | instskip(NEXT) | instid1(SALU_CYCLE_1)
	s_mul_u64 s[12:13], s[10:11], s[8:9]
	s_mul_hi_u32 s17, s8, s13
	s_mul_i32 s16, s8, s13
	s_mul_hi_u32 s14, s8, s12
	s_mul_i32 s5, s9, s12
	s_add_nc_u64 s[16:17], s[14:15], s[16:17]
	s_mul_hi_u32 s2, s9, s12
	s_mul_hi_u32 s18, s9, s13
	s_add_co_u32 s5, s16, s5
	s_add_co_ci_u32 s14, s17, s2
	s_mul_i32 s12, s9, s13
	s_add_co_ci_u32 s13, s18, 0
	s_delay_alu instid0(SALU_CYCLE_1) | instskip(NEXT) | instid1(SALU_CYCLE_1)
	s_add_nc_u64 s[12:13], s[14:15], s[12:13]
	s_add_co_u32 s8, s8, s12
	s_cselect_b32 s2, -1, 0
	s_delay_alu instid0(SALU_CYCLE_1) | instskip(SKIP_1) | instid1(SALU_CYCLE_1)
	s_cmp_lg_u32 s2, 0
	s_add_co_ci_u32 s9, s9, s13
	s_mul_u64 s[10:11], s[10:11], s[8:9]
	s_delay_alu instid0(SALU_CYCLE_1)
	s_mul_hi_u32 s13, s8, s11
	s_mul_i32 s12, s8, s11
	s_mul_hi_u32 s14, s8, s10
	s_mul_i32 s5, s9, s10
	s_add_nc_u64 s[12:13], s[14:15], s[12:13]
	s_mul_hi_u32 s2, s9, s10
	s_mul_hi_u32 s16, s9, s11
	s_add_co_u32 s5, s12, s5
	s_add_co_ci_u32 s14, s13, s2
	s_mul_i32 s10, s9, s11
	s_add_co_ci_u32 s11, s16, 0
	s_delay_alu instid0(SALU_CYCLE_1) | instskip(NEXT) | instid1(SALU_CYCLE_1)
	s_add_nc_u64 s[10:11], s[14:15], s[10:11]
	s_add_co_u32 s2, s8, s10
	s_cselect_b32 s5, -1, 0
	v_nop
	v_mul_hi_u32 v20, v12, s2
	s_cmp_lg_u32 s5, 0
	s_add_co_ci_u32 s14, s9, s11
	s_mov_b64 s[8:9], 0xffffffff
	v_mul_u64_e32 v[16:17], s[14:15], v[12:13]
	s_and_b64 s[8:9], s[2:3], s[8:9]
	v_mul_u64_e32 v[18:19], s[14:15], v[14:15]
	v_mul_u64_e32 v[8:9], s[8:9], v[14:15]
	s_delay_alu instid0(VALU_DEP_3) | instskip(NEXT) | instid1(VALU_DEP_1)
	v_add_nc_u64_e32 v[16:17], v[20:21], v[16:17]
	v_add_co_u32 v3, vcc_lo, v16, v8
	s_delay_alu instid0(VALU_DEP_2) | instskip(SKIP_1) | instid1(VALU_DEP_1)
	v_add_co_ci_u32_e32 v10, vcc_lo, v17, v9, vcc_lo
	v_add_co_ci_u32_e32 v19, vcc_lo, 0, v19, vcc_lo
	v_add_nc_u64_e32 v[8:9], v[10:11], v[18:19]
	s_delay_alu instid0(VALU_DEP_1) | instskip(NEXT) | instid1(VALU_DEP_1)
	v_mul_u64_e32 v[10:11], s[6:7], v[8:9]
	v_sub_nc_u32_e32 v3, v14, v11
	s_delay_alu instid0(VALU_DEP_2) | instskip(NEXT) | instid1(VALU_DEP_1)
	v_sub_co_u32 v10, vcc_lo, v12, v10
	v_sub_co_ci_u32_e64 v14, null, v14, v11, vcc_lo
	s_delay_alu instid0(VALU_DEP_3) | instskip(NEXT) | instid1(VALU_DEP_3)
	v_subrev_co_ci_u32_e64 v3, null, s7, v3, vcc_lo
	v_sub_co_u32 v12, s2, v10, s6
	s_delay_alu instid0(VALU_DEP_1) | instskip(NEXT) | instid1(VALU_DEP_2)
	v_subrev_co_ci_u32_e64 v3, null, 0, v3, s2
	v_cmp_le_u32_e32 vcc_lo, s6, v12
	v_cndmask_b32_e64 v11, 0, -1, vcc_lo
	s_delay_alu instid0(VALU_DEP_3)
	v_cmp_le_u32_e32 vcc_lo, s7, v3
	v_cndmask_b32_e64 v12, 0, -1, vcc_lo
	v_cmp_le_u32_e32 vcc_lo, s6, v10
	v_cndmask_b32_e64 v15, 0, -1, vcc_lo
	v_cmp_le_u32_e32 vcc_lo, s7, v14
	v_cndmask_b32_e64 v16, 0, -1, vcc_lo
	v_cmp_eq_u32_e32 vcc_lo, s7, v3
	v_cndmask_b32_e32 v3, v12, v11, vcc_lo
	v_cmp_eq_u32_e32 vcc_lo, s7, v14
	v_add_nc_u64_e32 v[10:11], 2, v[8:9]
	v_add_nc_u64_e32 v[12:13], 1, v[8:9]
	v_cndmask_b32_e32 v14, v16, v15, vcc_lo
	v_cmp_ne_u32_e32 vcc_lo, 0, v3
	s_delay_alu instid0(VALU_DEP_2) | instskip(NEXT) | instid1(VALU_DEP_4)
	v_cmp_ne_u32_e64 s2, 0, v14
	v_dual_cndmask_b32 v10, v12, v10 :: v_dual_cndmask_b32 v3, v13, v11
	s_delay_alu instid0(VALU_DEP_1) | instskip(NEXT) | instid1(VALU_DEP_1)
	v_dual_cndmask_b32 v8, v8, v10, s2 :: v_dual_cndmask_b32 v9, v9, v3, s2
	v_dual_mov_b32 v3, v2 :: v_dual_bitop2_b32 v8, v8, v2 bitop3:0x14
	s_delay_alu instid0(VALU_DEP_2) | instskip(NEXT) | instid1(VALU_DEP_1)
	v_xor_b32_e32 v9, v9, v2
	v_sub_nc_u64_e32 v[8:9], v[8:9], v[2:3]
.LBB67_11:
	s_or_saveexec_b32 s31, s3
	s_clause 0x2
	s_load_b64 s[2:3], s[0:1], 0x58
	s_load_b64 s[44:45], s[0:1], 0x0
	s_load_b512 s[4:19], s[0:1], 0x18
	s_xor_b32 exec_lo, exec_lo, s31
	s_cbranch_execz .LBB67_13
; %bb.12:
	v_cvt_f32_u32_e32 v2, s30
	s_sub_co_i32 s36, 0, s30
	s_delay_alu instid0(VALU_DEP_1) | instskip(SKIP_1) | instid1(TRANS32_DEP_1)
	v_rcp_iflag_f32_e32 v2, v2
	v_nop
	v_mul_f32_e32 v2, 0x4f7ffffe, v2
	s_delay_alu instid0(VALU_DEP_1) | instskip(NEXT) | instid1(VALU_DEP_1)
	v_cvt_u32_f32_e32 v2, v2
	v_mul_lo_u32 v3, s36, v2
	s_delay_alu instid0(VALU_DEP_1) | instskip(NEXT) | instid1(VALU_DEP_1)
	v_mul_hi_u32 v3, v2, v3
	v_add_nc_u32_e32 v2, v2, v3
	s_delay_alu instid0(VALU_DEP_1) | instskip(NEXT) | instid1(VALU_DEP_1)
	v_mul_hi_u32 v2, v0, v2
	v_mul_lo_u32 v3, v2, s30
	s_delay_alu instid0(VALU_DEP_1) | instskip(NEXT) | instid1(VALU_DEP_1)
	v_dual_add_nc_u32 v8, 1, v2 :: v_dual_sub_nc_u32 v3, v0, v3
	v_subrev_nc_u32_e32 v9, s30, v3
	v_cmp_le_u32_e32 vcc_lo, s30, v3
	s_delay_alu instid0(VALU_DEP_2) | instskip(NEXT) | instid1(VALU_DEP_4)
	v_dual_cndmask_b32 v3, v3, v9, vcc_lo :: v_dual_mov_b32 v9, 0
	v_cndmask_b32_e32 v2, v2, v8, vcc_lo
	s_delay_alu instid0(VALU_DEP_2) | instskip(NEXT) | instid1(VALU_DEP_2)
	v_cmp_le_u32_e32 vcc_lo, s30, v3
	v_add_nc_u32_e32 v8, 1, v2
	s_delay_alu instid0(VALU_DEP_1)
	v_cndmask_b32_e32 v8, v2, v8, vcc_lo
.LBB67_13:
	s_or_b32 exec_lo, exec_lo, s31
	v_mul_u64_e32 v[2:3], s[28:29], v[4:5]
	s_load_b256 s[36:43], s[0:1], 0xb0
	s_wait_kmcnt 0x0
	v_max_i64 v[10:11], s[40:41], 0
	s_add_nc_u64 s[50:51], s[40:41], s[4:5]
	v_max_i64 v[14:15], s[38:39], 0
	v_sub_nc_u64_e64 v[16:17], v[8:9], s[50:51]
	s_add_nc_u64 s[48:49], s[38:39], s[6:7]
	s_sub_nc_u64 s[46:47], 0, s[40:41]
	v_sub_nc_u64_e64 v[12:13], v[6:7], s[48:49]
	v_max_i64 v[4:5], s[36:37], 0
	s_add_nc_u64 s[48:49], s[36:37], s[8:9]
	s_sub_nc_u64 s[30:31], 0, s[38:39]
	v_add_nc_u64_e32 v[22:23], 1, v[16:17]
	v_sub_nc_u64_e32 v[0:1], v[0:1], v[2:3]
	v_max_i64 v[2:3], s[46:47], 0
	v_not_b32_e32 v17, v17
	v_not_b32_e32 v16, v16
	v_add_nc_u64_e32 v[20:21], 1, v[12:13]
	v_not_b32_e32 v13, v13
	v_not_b32_e32 v12, v12
	v_sub_nc_u64_e64 v[24:25], v[0:1], s[48:49]
	v_max_i64 v[28:29], s[30:31], 0
	v_sub_nc_u64_e64 v[26:27], v[8:9], s[40:41]
	v_max_i64 v[16:17], v[22:23], v[16:17]
	s_sub_nc_u64 s[28:29], 0, s[36:37]
	v_max_i64 v[12:13], v[20:21], v[12:13]
	v_max_i64 v[22:23], s[28:29], 0
	v_add_nc_u64_e32 v[20:21], 1, v[24:25]
	v_sub_nc_u64_e64 v[18:19], v[6:7], s[38:39]
	v_not_b32_e32 v25, v25
	v_not_b32_e32 v24, v24
	v_sub_nc_u64_e32 v[30:31], 0, v[26:27]
	v_sub_nc_u64_e64 v[32:33], v[0:1], s[36:37]
	s_lshl_b64 s[30:31], s[40:41], 1
	v_not_b32_e32 v10, v10
	v_max_i64 v[20:21], v[20:21], v[24:25]
	v_sub_nc_u64_e32 v[24:25], 0, v[18:19]
	v_not_b32_e32 v11, v11
	v_max_i64 v[26:27], v[26:27], v[30:31]
	v_sub_nc_u64_e32 v[30:31], 0, v[32:33]
	v_not_b32_e32 v14, v14
	v_not_b32_e32 v15, v15
	v_add_nc_u64_e32 v[10:11], s[30:31], v[10:11]
	v_max_i64 v[18:19], v[18:19], v[24:25]
	s_lshl_b64 s[28:29], s[38:39], 1
	v_not_b32_e32 v4, v4
	v_not_b32_e32 v5, v5
	v_add_nc_u64_e32 v[14:15], s[28:29], v[14:15]
	v_max_i64 v[24:25], v[32:33], v[30:31]
	v_add_nc_u64_e32 v[2:3], v[10:11], v[2:3]
	s_lshl_b64 s[28:29], s[36:37], 1
	s_load_b64 s[0:1], s[0:1], 0xd0
	v_add_nc_u64_e32 v[4:5], s[28:29], v[4:5]
	s_delay_alu instid0(VALU_DEP_4) | instskip(SKIP_1) | instid1(VALU_DEP_4)
	v_add_nc_u64_e32 v[10:11], v[14:15], v[28:29]
	v_add_nc_u64_e32 v[14:15], v[8:9], v[16:17]
	;; [unrolled: 1-line block ×4, first 2 shown]
	s_bfe_u32 s4, ttmp6, 0x40014
	v_add_nc_u64_e32 v[4:5], v[4:5], v[22:23]
	s_bfe_u32 s5, ttmp6, 0x40010
	v_add_nc_u64_e32 v[10:11], s[6:7], v[10:11]
	s_lshr_b32 s6, ttmp7, 16
	v_sub_nc_u64_e32 v[2:3], v[2:3], v[14:15]
	s_add_co_i32 s4, s4, 1
	s_add_co_i32 s5, s5, 1
	v_add_nc_u64_e32 v[4:5], s[8:9], v[4:5]
	v_add_nc_u64_e32 v[14:15], v[0:1], v[20:21]
	v_sub_nc_u64_e32 v[10:11], v[10:11], v[12:13]
	s_and_b32 s8, ttmp7, 0xffff
	v_add_nc_u64_e32 v[2:3], v[2:3], v[26:27]
	s_mul_i32 s4, s6, s4
	s_bfe_u32 s7, ttmp6, 0x40008
	s_mul_i32 s5, s8, s5
	v_sub_nc_u64_e32 v[4:5], v[4:5], v[14:15]
	v_add_nc_u64_e32 v[10:11], v[10:11], v[18:19]
	s_bfe_u32 s9, ttmp6, 0x40004
	v_mul_u64_e32 v[2:3], s[14:15], v[2:3]
	s_add_co_i32 s7, s7, s4
	s_add_co_i32 s9, s9, s5
	s_cmp_eq_u32 s33, 0
	v_add_nc_u64_e32 v[4:5], v[4:5], v[24:25]
	v_mul_u64_e32 v[10:11], s[16:17], v[10:11]
	s_mov_b32 s5, 0
	s_cselect_b32 s6, s6, s7
	s_mov_b32 s7, s5
	s_cselect_b32 s4, s8, s9
	s_wait_kmcnt 0x0
	s_add_nc_u64 s[0:1], s[0:1], s[6:7]
	v_mul_u64_e32 v[4:5], s[18:19], v[4:5]
	s_mul_u64 s[6:7], s[10:11], s[0:1]
	s_add_nc_u64 s[4:5], s[42:43], s[4:5]
	s_lshl_b64 s[6:7], s[6:7], 1
	s_mul_u64 s[8:9], s[12:13], s[4:5]
	s_add_nc_u64 s[6:7], s[44:45], s[6:7]
	s_lshl_b64 s[8:9], s[8:9], 1
	v_mul_u64_e32 v[0:1], s[34:35], v[0:1]
	s_add_nc_u64 s[6:7], s[6:7], s[8:9]
	s_mul_u64 s[0:1], s[20:21], s[0:1]
	s_mul_u64 s[4:5], s[22:23], s[4:5]
	s_lshl_b64 s[0:1], s[0:1], 1
	s_delay_alu instid0(SALU_CYCLE_1) | instskip(SKIP_1) | instid1(SALU_CYCLE_1)
	s_add_nc_u64 s[0:1], s[2:3], s[0:1]
	s_lshl_b64 s[2:3], s[4:5], 1
	s_add_nc_u64 s[0:1], s[0:1], s[2:3]
	v_lshl_add_u64 v[2:3], v[2:3], 1, s[6:7]
	s_delay_alu instid0(VALU_DEP_1) | instskip(NEXT) | instid1(VALU_DEP_1)
	v_lshl_add_u64 v[2:3], v[10:11], 1, v[2:3]
	v_lshl_add_u64 v[2:3], v[4:5], 1, v[2:3]
	v_mul_u64_e32 v[4:5], s[26:27], v[6:7]
	global_load_u16 v10, v[2:3], off
	s_wait_xcnt 0x0
	v_mul_u64_e32 v[2:3], s[24:25], v[8:9]
	s_delay_alu instid0(VALU_DEP_1) | instskip(NEXT) | instid1(VALU_DEP_1)
	v_lshl_add_u64 v[2:3], v[2:3], 1, s[0:1]
	v_lshl_add_u64 v[2:3], v[4:5], 1, v[2:3]
	s_delay_alu instid0(VALU_DEP_1)
	v_lshl_add_u64 v[0:1], v[0:1], 1, v[2:3]
	s_wait_loadcnt 0x0
	global_store_b16 v[0:1], v10, off
.LBB67_14:
	s_endpgm
	.section	.rodata,"a",@progbits
	.p2align	6, 0x0
	.amdhsa_kernel _ZN2at6native12_GLOBAL__N_127reflection_pad3d_out_kernelIN3c108BFloat16EEEvN5torch10headeronly6detail27GenericPackedTensorAccessorINS7_14TensorAccessorINS3_8ArrayRefIlEEKT_Lm4ENS6_16DefaultPtrTraitsElEENS_6detail16IndexBoundsCheckILm5ElEESD_Lm5ESE_lEENS8_INS9_ISB_SC_Lm4ESE_lEESI_SC_Lm5ESE_lEElllll
		.amdhsa_group_segment_fixed_size 0
		.amdhsa_private_segment_fixed_size 0
		.amdhsa_kernarg_size 472
		.amdhsa_user_sgpr_count 2
		.amdhsa_user_sgpr_dispatch_ptr 0
		.amdhsa_user_sgpr_queue_ptr 0
		.amdhsa_user_sgpr_kernarg_segment_ptr 1
		.amdhsa_user_sgpr_dispatch_id 0
		.amdhsa_user_sgpr_kernarg_preload_length 0
		.amdhsa_user_sgpr_kernarg_preload_offset 0
		.amdhsa_user_sgpr_private_segment_size 0
		.amdhsa_wavefront_size32 1
		.amdhsa_uses_dynamic_stack 0
		.amdhsa_enable_private_segment 0
		.amdhsa_system_sgpr_workgroup_id_x 1
		.amdhsa_system_sgpr_workgroup_id_y 1
		.amdhsa_system_sgpr_workgroup_id_z 1
		.amdhsa_system_sgpr_workgroup_info 0
		.amdhsa_system_vgpr_workitem_id 0
		.amdhsa_next_free_vgpr 34
		.amdhsa_next_free_sgpr 52
		.amdhsa_named_barrier_count 0
		.amdhsa_reserve_vcc 1
		.amdhsa_float_round_mode_32 0
		.amdhsa_float_round_mode_16_64 0
		.amdhsa_float_denorm_mode_32 3
		.amdhsa_float_denorm_mode_16_64 3
		.amdhsa_fp16_overflow 0
		.amdhsa_memory_ordered 1
		.amdhsa_forward_progress 1
		.amdhsa_inst_pref_size 25
		.amdhsa_round_robin_scheduling 0
		.amdhsa_exception_fp_ieee_invalid_op 0
		.amdhsa_exception_fp_denorm_src 0
		.amdhsa_exception_fp_ieee_div_zero 0
		.amdhsa_exception_fp_ieee_overflow 0
		.amdhsa_exception_fp_ieee_underflow 0
		.amdhsa_exception_fp_ieee_inexact 0
		.amdhsa_exception_int_div_zero 0
	.end_amdhsa_kernel
	.section	.text._ZN2at6native12_GLOBAL__N_127reflection_pad3d_out_kernelIN3c108BFloat16EEEvN5torch10headeronly6detail27GenericPackedTensorAccessorINS7_14TensorAccessorINS3_8ArrayRefIlEEKT_Lm4ENS6_16DefaultPtrTraitsElEENS_6detail16IndexBoundsCheckILm5ElEESD_Lm5ESE_lEENS8_INS9_ISB_SC_Lm4ESE_lEESI_SC_Lm5ESE_lEElllll,"axG",@progbits,_ZN2at6native12_GLOBAL__N_127reflection_pad3d_out_kernelIN3c108BFloat16EEEvN5torch10headeronly6detail27GenericPackedTensorAccessorINS7_14TensorAccessorINS3_8ArrayRefIlEEKT_Lm4ENS6_16DefaultPtrTraitsElEENS_6detail16IndexBoundsCheckILm5ElEESD_Lm5ESE_lEENS8_INS9_ISB_SC_Lm4ESE_lEESI_SC_Lm5ESE_lEElllll,comdat
.Lfunc_end67:
	.size	_ZN2at6native12_GLOBAL__N_127reflection_pad3d_out_kernelIN3c108BFloat16EEEvN5torch10headeronly6detail27GenericPackedTensorAccessorINS7_14TensorAccessorINS3_8ArrayRefIlEEKT_Lm4ENS6_16DefaultPtrTraitsElEENS_6detail16IndexBoundsCheckILm5ElEESD_Lm5ESE_lEENS8_INS9_ISB_SC_Lm4ESE_lEESI_SC_Lm5ESE_lEElllll, .Lfunc_end67-_ZN2at6native12_GLOBAL__N_127reflection_pad3d_out_kernelIN3c108BFloat16EEEvN5torch10headeronly6detail27GenericPackedTensorAccessorINS7_14TensorAccessorINS3_8ArrayRefIlEEKT_Lm4ENS6_16DefaultPtrTraitsElEENS_6detail16IndexBoundsCheckILm5ElEESD_Lm5ESE_lEENS8_INS9_ISB_SC_Lm4ESE_lEESI_SC_Lm5ESE_lEElllll
                                        ; -- End function
	.set _ZN2at6native12_GLOBAL__N_127reflection_pad3d_out_kernelIN3c108BFloat16EEEvN5torch10headeronly6detail27GenericPackedTensorAccessorINS7_14TensorAccessorINS3_8ArrayRefIlEEKT_Lm4ENS6_16DefaultPtrTraitsElEENS_6detail16IndexBoundsCheckILm5ElEESD_Lm5ESE_lEENS8_INS9_ISB_SC_Lm4ESE_lEESI_SC_Lm5ESE_lEElllll.num_vgpr, 34
	.set _ZN2at6native12_GLOBAL__N_127reflection_pad3d_out_kernelIN3c108BFloat16EEEvN5torch10headeronly6detail27GenericPackedTensorAccessorINS7_14TensorAccessorINS3_8ArrayRefIlEEKT_Lm4ENS6_16DefaultPtrTraitsElEENS_6detail16IndexBoundsCheckILm5ElEESD_Lm5ESE_lEENS8_INS9_ISB_SC_Lm4ESE_lEESI_SC_Lm5ESE_lEElllll.num_agpr, 0
	.set _ZN2at6native12_GLOBAL__N_127reflection_pad3d_out_kernelIN3c108BFloat16EEEvN5torch10headeronly6detail27GenericPackedTensorAccessorINS7_14TensorAccessorINS3_8ArrayRefIlEEKT_Lm4ENS6_16DefaultPtrTraitsElEENS_6detail16IndexBoundsCheckILm5ElEESD_Lm5ESE_lEENS8_INS9_ISB_SC_Lm4ESE_lEESI_SC_Lm5ESE_lEElllll.numbered_sgpr, 52
	.set _ZN2at6native12_GLOBAL__N_127reflection_pad3d_out_kernelIN3c108BFloat16EEEvN5torch10headeronly6detail27GenericPackedTensorAccessorINS7_14TensorAccessorINS3_8ArrayRefIlEEKT_Lm4ENS6_16DefaultPtrTraitsElEENS_6detail16IndexBoundsCheckILm5ElEESD_Lm5ESE_lEENS8_INS9_ISB_SC_Lm4ESE_lEESI_SC_Lm5ESE_lEElllll.num_named_barrier, 0
	.set _ZN2at6native12_GLOBAL__N_127reflection_pad3d_out_kernelIN3c108BFloat16EEEvN5torch10headeronly6detail27GenericPackedTensorAccessorINS7_14TensorAccessorINS3_8ArrayRefIlEEKT_Lm4ENS6_16DefaultPtrTraitsElEENS_6detail16IndexBoundsCheckILm5ElEESD_Lm5ESE_lEENS8_INS9_ISB_SC_Lm4ESE_lEESI_SC_Lm5ESE_lEElllll.private_seg_size, 0
	.set _ZN2at6native12_GLOBAL__N_127reflection_pad3d_out_kernelIN3c108BFloat16EEEvN5torch10headeronly6detail27GenericPackedTensorAccessorINS7_14TensorAccessorINS3_8ArrayRefIlEEKT_Lm4ENS6_16DefaultPtrTraitsElEENS_6detail16IndexBoundsCheckILm5ElEESD_Lm5ESE_lEENS8_INS9_ISB_SC_Lm4ESE_lEESI_SC_Lm5ESE_lEElllll.uses_vcc, 1
	.set _ZN2at6native12_GLOBAL__N_127reflection_pad3d_out_kernelIN3c108BFloat16EEEvN5torch10headeronly6detail27GenericPackedTensorAccessorINS7_14TensorAccessorINS3_8ArrayRefIlEEKT_Lm4ENS6_16DefaultPtrTraitsElEENS_6detail16IndexBoundsCheckILm5ElEESD_Lm5ESE_lEENS8_INS9_ISB_SC_Lm4ESE_lEESI_SC_Lm5ESE_lEElllll.uses_flat_scratch, 0
	.set _ZN2at6native12_GLOBAL__N_127reflection_pad3d_out_kernelIN3c108BFloat16EEEvN5torch10headeronly6detail27GenericPackedTensorAccessorINS7_14TensorAccessorINS3_8ArrayRefIlEEKT_Lm4ENS6_16DefaultPtrTraitsElEENS_6detail16IndexBoundsCheckILm5ElEESD_Lm5ESE_lEENS8_INS9_ISB_SC_Lm4ESE_lEESI_SC_Lm5ESE_lEElllll.has_dyn_sized_stack, 0
	.set _ZN2at6native12_GLOBAL__N_127reflection_pad3d_out_kernelIN3c108BFloat16EEEvN5torch10headeronly6detail27GenericPackedTensorAccessorINS7_14TensorAccessorINS3_8ArrayRefIlEEKT_Lm4ENS6_16DefaultPtrTraitsElEENS_6detail16IndexBoundsCheckILm5ElEESD_Lm5ESE_lEENS8_INS9_ISB_SC_Lm4ESE_lEESI_SC_Lm5ESE_lEElllll.has_recursion, 0
	.set _ZN2at6native12_GLOBAL__N_127reflection_pad3d_out_kernelIN3c108BFloat16EEEvN5torch10headeronly6detail27GenericPackedTensorAccessorINS7_14TensorAccessorINS3_8ArrayRefIlEEKT_Lm4ENS6_16DefaultPtrTraitsElEENS_6detail16IndexBoundsCheckILm5ElEESD_Lm5ESE_lEENS8_INS9_ISB_SC_Lm4ESE_lEESI_SC_Lm5ESE_lEElllll.has_indirect_call, 0
	.section	.AMDGPU.csdata,"",@progbits
; Kernel info:
; codeLenInByte = 3080
; TotalNumSgprs: 54
; NumVgprs: 34
; ScratchSize: 0
; MemoryBound: 0
; FloatMode: 240
; IeeeMode: 1
; LDSByteSize: 0 bytes/workgroup (compile time only)
; SGPRBlocks: 0
; VGPRBlocks: 2
; NumSGPRsForWavesPerEU: 54
; NumVGPRsForWavesPerEU: 34
; NamedBarCnt: 0
; Occupancy: 16
; WaveLimiterHint : 0
; COMPUTE_PGM_RSRC2:SCRATCH_EN: 0
; COMPUTE_PGM_RSRC2:USER_SGPR: 2
; COMPUTE_PGM_RSRC2:TRAP_HANDLER: 0
; COMPUTE_PGM_RSRC2:TGID_X_EN: 1
; COMPUTE_PGM_RSRC2:TGID_Y_EN: 1
; COMPUTE_PGM_RSRC2:TGID_Z_EN: 1
; COMPUTE_PGM_RSRC2:TIDIG_COMP_CNT: 0
	.section	.text._ZN2at6native12_GLOBAL__N_136reflection_pad3d_backward_out_kernelIdEEvN5torch10headeronly6detail27GenericPackedTensorAccessorINS5_14TensorAccessorIN3c108ArrayRefIlEET_Lm4ENS4_16DefaultPtrTraitsElEENS_6detail16IndexBoundsCheckILm5ElEESB_Lm5ESC_lEENS6_INS7_ISA_KSB_Lm4ESC_lEESG_SI_Lm5ESC_lEElllll,"axG",@progbits,_ZN2at6native12_GLOBAL__N_136reflection_pad3d_backward_out_kernelIdEEvN5torch10headeronly6detail27GenericPackedTensorAccessorINS5_14TensorAccessorIN3c108ArrayRefIlEET_Lm4ENS4_16DefaultPtrTraitsElEENS_6detail16IndexBoundsCheckILm5ElEESB_Lm5ESC_lEENS6_INS7_ISA_KSB_Lm4ESC_lEESG_SI_Lm5ESC_lEElllll,comdat
	.globl	_ZN2at6native12_GLOBAL__N_136reflection_pad3d_backward_out_kernelIdEEvN5torch10headeronly6detail27GenericPackedTensorAccessorINS5_14TensorAccessorIN3c108ArrayRefIlEET_Lm4ENS4_16DefaultPtrTraitsElEENS_6detail16IndexBoundsCheckILm5ElEESB_Lm5ESC_lEENS6_INS7_ISA_KSB_Lm4ESC_lEESG_SI_Lm5ESC_lEElllll ; -- Begin function _ZN2at6native12_GLOBAL__N_136reflection_pad3d_backward_out_kernelIdEEvN5torch10headeronly6detail27GenericPackedTensorAccessorINS5_14TensorAccessorIN3c108ArrayRefIlEET_Lm4ENS4_16DefaultPtrTraitsElEENS_6detail16IndexBoundsCheckILm5ElEESB_Lm5ESC_lEENS6_INS7_ISA_KSB_Lm4ESC_lEESG_SI_Lm5ESC_lEElllll
	.p2align	8
	.type	_ZN2at6native12_GLOBAL__N_136reflection_pad3d_backward_out_kernelIdEEvN5torch10headeronly6detail27GenericPackedTensorAccessorINS5_14TensorAccessorIN3c108ArrayRefIlEET_Lm4ENS4_16DefaultPtrTraitsElEENS_6detail16IndexBoundsCheckILm5ElEESB_Lm5ESC_lEENS6_INS7_ISA_KSB_Lm4ESC_lEESG_SI_Lm5ESC_lEElllll,@function
_ZN2at6native12_GLOBAL__N_136reflection_pad3d_backward_out_kernelIdEEvN5torch10headeronly6detail27GenericPackedTensorAccessorINS5_14TensorAccessorIN3c108ArrayRefIlEET_Lm4ENS4_16DefaultPtrTraitsElEENS_6detail16IndexBoundsCheckILm5ElEESB_Lm5ESC_lEENS6_INS7_ISA_KSB_Lm4ESC_lEESG_SI_Lm5ESC_lEElllll: ; @_ZN2at6native12_GLOBAL__N_136reflection_pad3d_backward_out_kernelIdEEvN5torch10headeronly6detail27GenericPackedTensorAccessorINS5_14TensorAccessorIN3c108ArrayRefIlEET_Lm4ENS4_16DefaultPtrTraitsElEENS_6detail16IndexBoundsCheckILm5ElEESB_Lm5ESC_lEENS6_INS7_ISA_KSB_Lm4ESC_lEESG_SI_Lm5ESC_lEElllll
; %bb.0:
	s_clause 0x2
	s_load_b32 s2, s[0:1], 0xe4
	s_load_b128 s[4:7], s[0:1], 0x70
	s_load_b64 s[28:29], s[0:1], 0x80
	s_bfe_u32 s3, ttmp6, 0x4000c
	v_mov_b32_e32 v2, 0
	s_add_co_i32 s3, s3, 1
	s_and_b32 s8, ttmp6, 15
	s_mul_i32 s3, ttmp9, s3
	s_getreg_b32 s33, hwreg(HW_REG_IB_STS2, 6, 4)
	v_mov_b32_e32 v1, v2
	s_add_co_i32 s8, s8, s3
	s_wait_kmcnt 0x0
	s_and_b32 s2, s2, 0xffff
	s_cmp_eq_u32 s33, 0
	s_mul_u64 s[30:31], s[28:29], s[6:7]
	s_cselect_b32 s3, ttmp9, s8
	s_delay_alu instid0(SALU_CYCLE_1)
	v_mad_nc_u64_u32 v[0:1], s2, s3, v[0:1]
	s_mul_u64 s[2:3], s[30:31], s[4:5]
	s_delay_alu instid0(VALU_DEP_1) | instid1(SALU_CYCLE_1)
	v_cmp_gt_i64_e32 vcc_lo, s[2:3], v[0:1]
	s_and_saveexec_b32 s2, vcc_lo
	s_cbranch_execz .LBB68_14
; %bb.1:
	v_or_b32_e32 v3, s29, v1
                                        ; implicit-def: $vgpr4_vgpr5
	s_delay_alu instid0(VALU_DEP_1) | instskip(SKIP_2) | instid1(SALU_CYCLE_1)
	v_cmp_ne_u64_e32 vcc_lo, 0, v[2:3]
	v_ashrrev_i32_e32 v2, 31, v1
	s_and_saveexec_b32 s2, vcc_lo
	s_xor_b32 s3, exec_lo, s2
	s_cbranch_execz .LBB68_3
; %bb.2:
	s_ashr_i32 s4, s29, 31
	s_mov_b32 s17, 0
	s_mov_b32 s5, s4
	v_dual_mov_b32 v3, v2 :: v_dual_mov_b32 v7, 0
	s_add_nc_u64 s[8:9], s[28:29], s[4:5]
	s_delay_alu instid0(SALU_CYCLE_1) | instskip(NEXT) | instid1(VALU_DEP_1)
	s_xor_b64 s[8:9], s[8:9], s[4:5]
	v_add_nc_u64_e32 v[4:5], v[0:1], v[2:3]
	s_cvt_f32_u32 s2, s8
	s_cvt_f32_u32 s5, s9
	s_sub_nc_u64 s[12:13], 0, s[8:9]
	v_dual_mov_b32 v9, v7 :: v_dual_mov_b32 v15, v7
	s_delay_alu instid0(SALU_CYCLE_1) | instskip(NEXT) | instid1(VALU_DEP_2)
	s_fmamk_f32 s2, s5, 0x4f800000, s2
	v_xor_b32_e32 v6, v4, v2
	v_xor_b32_e32 v8, v5, v2
	s_delay_alu instid0(SALU_CYCLE_1) | instskip(NEXT) | instid1(TRANS32_DEP_1)
	v_s_rcp_f32 s2, s2
	s_mul_f32 s2, s2, 0x5f7ffffc
	s_delay_alu instid0(SALU_CYCLE_3) | instskip(NEXT) | instid1(SALU_CYCLE_3)
	s_mul_f32 s5, s2, 0x2f800000
	s_trunc_f32 s5, s5
	s_delay_alu instid0(SALU_CYCLE_3) | instskip(SKIP_1) | instid1(SALU_CYCLE_2)
	s_fmamk_f32 s2, s5, 0xcf800000, s2
	s_cvt_u32_f32 s11, s5
	s_cvt_u32_f32 s10, s2
	s_delay_alu instid0(SALU_CYCLE_3) | instskip(NEXT) | instid1(SALU_CYCLE_1)
	s_mul_u64 s[14:15], s[12:13], s[10:11]
	s_mul_hi_u32 s19, s10, s15
	s_mul_i32 s18, s10, s15
	s_mul_hi_u32 s16, s10, s14
	s_mul_i32 s5, s11, s14
	s_add_nc_u64 s[18:19], s[16:17], s[18:19]
	s_mul_hi_u32 s2, s11, s14
	s_mul_hi_u32 s20, s11, s15
	s_add_co_u32 s5, s18, s5
	s_add_co_ci_u32 s16, s19, s2
	s_mul_i32 s14, s11, s15
	s_add_co_ci_u32 s15, s20, 0
	s_delay_alu instid0(SALU_CYCLE_1) | instskip(NEXT) | instid1(SALU_CYCLE_1)
	s_add_nc_u64 s[14:15], s[16:17], s[14:15]
	s_add_co_u32 s10, s10, s14
	s_cselect_b32 s2, -1, 0
	s_delay_alu instid0(SALU_CYCLE_1) | instskip(SKIP_1) | instid1(SALU_CYCLE_1)
	s_cmp_lg_u32 s2, 0
	s_add_co_ci_u32 s11, s11, s15
	s_mul_u64 s[12:13], s[12:13], s[10:11]
	s_delay_alu instid0(SALU_CYCLE_1)
	s_mul_hi_u32 s15, s10, s13
	s_mul_i32 s14, s10, s13
	s_mul_hi_u32 s16, s10, s12
	s_mul_i32 s5, s11, s12
	s_add_nc_u64 s[14:15], s[16:17], s[14:15]
	s_mul_hi_u32 s2, s11, s12
	s_mul_hi_u32 s18, s11, s13
	s_add_co_u32 s5, s14, s5
	s_add_co_ci_u32 s16, s15, s2
	s_mul_i32 s12, s11, s13
	s_add_co_ci_u32 s13, s18, 0
	s_delay_alu instid0(SALU_CYCLE_1) | instskip(NEXT) | instid1(SALU_CYCLE_1)
	s_add_nc_u64 s[12:13], s[16:17], s[12:13]
	s_add_co_u32 s2, s10, s12
	s_cselect_b32 s5, -1, 0
	v_nop
	v_mul_hi_u32 v14, v6, s2
	s_cmp_lg_u32 s5, 0
	s_add_co_ci_u32 s16, s11, s13
	s_mov_b64 s[10:11], 0xffffffff
	v_mul_u64_e32 v[10:11], s[16:17], v[6:7]
	s_and_b64 s[10:11], s[2:3], s[10:11]
	v_mul_u64_e32 v[12:13], s[16:17], v[8:9]
	v_mul_u64_e32 v[4:5], s[10:11], v[8:9]
	s_delay_alu instid0(VALU_DEP_3) | instskip(NEXT) | instid1(VALU_DEP_1)
	v_add_nc_u64_e32 v[10:11], v[14:15], v[10:11]
	v_add_co_u32 v3, vcc_lo, v10, v4
	s_delay_alu instid0(VALU_DEP_2) | instskip(SKIP_1) | instid1(VALU_DEP_1)
	v_add_co_ci_u32_e32 v14, vcc_lo, v11, v5, vcc_lo
	v_add_co_ci_u32_e32 v13, vcc_lo, 0, v13, vcc_lo
	v_add_nc_u64_e32 v[4:5], v[14:15], v[12:13]
	s_delay_alu instid0(VALU_DEP_1) | instskip(NEXT) | instid1(VALU_DEP_1)
	v_mul_u64_e32 v[10:11], s[8:9], v[4:5]
	v_sub_nc_u32_e32 v3, v8, v11
	s_delay_alu instid0(VALU_DEP_2) | instskip(NEXT) | instid1(VALU_DEP_1)
	v_sub_co_u32 v6, vcc_lo, v6, v10
	v_sub_co_ci_u32_e64 v10, null, v8, v11, vcc_lo
	s_delay_alu instid0(VALU_DEP_3) | instskip(NEXT) | instid1(VALU_DEP_3)
	v_subrev_co_ci_u32_e64 v3, null, s9, v3, vcc_lo
	v_sub_co_u32 v7, s2, v6, s8
	s_delay_alu instid0(VALU_DEP_1) | instskip(NEXT) | instid1(VALU_DEP_2)
	v_subrev_co_ci_u32_e64 v3, null, 0, v3, s2
	v_cmp_le_u32_e32 vcc_lo, s8, v7
	v_cndmask_b32_e64 v7, 0, -1, vcc_lo
	s_delay_alu instid0(VALU_DEP_3)
	v_cmp_le_u32_e32 vcc_lo, s9, v3
	v_cndmask_b32_e64 v8, 0, -1, vcc_lo
	v_cmp_le_u32_e32 vcc_lo, s8, v6
	v_cndmask_b32_e64 v11, 0, -1, vcc_lo
	;; [unrolled: 2-line block ×3, first 2 shown]
	v_cmp_eq_u32_e32 vcc_lo, s9, v3
	v_cndmask_b32_e32 v3, v8, v7, vcc_lo
	v_cmp_eq_u32_e32 vcc_lo, s9, v10
	v_add_nc_u64_e32 v[6:7], 2, v[4:5]
	v_add_nc_u64_e32 v[8:9], 1, v[4:5]
	v_cndmask_b32_e32 v10, v12, v11, vcc_lo
	v_cmp_ne_u32_e32 vcc_lo, 0, v3
	s_delay_alu instid0(VALU_DEP_2) | instskip(NEXT) | instid1(VALU_DEP_4)
	v_cmp_ne_u32_e64 s2, 0, v10
	v_dual_cndmask_b32 v3, v9, v7, vcc_lo :: v_dual_cndmask_b32 v7, v8, v6, vcc_lo
	s_delay_alu instid0(VALU_DEP_1) | instskip(NEXT) | instid1(VALU_DEP_1)
	v_dual_cndmask_b32 v4, v4, v7, s2 :: v_dual_bitop2_b32 v6, s4, v2 bitop3:0x14
	v_dual_cndmask_b32 v3, v5, v3, s2 :: v_dual_mov_b32 v7, v6
	s_delay_alu instid0(VALU_DEP_2) | instskip(NEXT) | instid1(VALU_DEP_2)
	v_xor_b32_e32 v4, v4, v6
	v_xor_b32_e32 v5, v3, v6
	s_delay_alu instid0(VALU_DEP_1)
	v_sub_nc_u64_e32 v[4:5], v[4:5], v[6:7]
.LBB68_3:
	s_and_not1_saveexec_b32 s2, s3
	s_cbranch_execz .LBB68_5
; %bb.4:
	v_cvt_f32_u32_e32 v3, s28
	s_sub_co_i32 s3, 0, s28
	s_delay_alu instid0(VALU_DEP_1) | instskip(SKIP_1) | instid1(TRANS32_DEP_1)
	v_rcp_iflag_f32_e32 v3, v3
	v_nop
	v_mul_f32_e32 v3, 0x4f7ffffe, v3
	s_delay_alu instid0(VALU_DEP_1) | instskip(NEXT) | instid1(VALU_DEP_1)
	v_cvt_u32_f32_e32 v3, v3
	v_mul_lo_u32 v4, s3, v3
	s_delay_alu instid0(VALU_DEP_1) | instskip(NEXT) | instid1(VALU_DEP_1)
	v_mul_hi_u32 v4, v3, v4
	v_add_nc_u32_e32 v3, v3, v4
	s_delay_alu instid0(VALU_DEP_1) | instskip(NEXT) | instid1(VALU_DEP_1)
	v_mul_hi_u32 v3, v0, v3
	v_mul_lo_u32 v4, v3, s28
	s_delay_alu instid0(VALU_DEP_1) | instskip(NEXT) | instid1(VALU_DEP_1)
	v_dual_add_nc_u32 v5, 1, v3 :: v_dual_sub_nc_u32 v4, v0, v4
	v_subrev_nc_u32_e32 v6, s28, v4
	v_cmp_le_u32_e32 vcc_lo, s28, v4
	s_delay_alu instid0(VALU_DEP_2) | instskip(NEXT) | instid1(VALU_DEP_1)
	v_dual_cndmask_b32 v4, v4, v6 :: v_dual_cndmask_b32 v3, v3, v5
	v_cmp_le_u32_e32 vcc_lo, s28, v4
	s_delay_alu instid0(VALU_DEP_2) | instskip(NEXT) | instid1(VALU_DEP_1)
	v_add_nc_u32_e32 v5, 1, v3
	v_dual_cndmask_b32 v4, v3, v5 :: v_dual_mov_b32 v5, 0
.LBB68_5:
	s_or_b32 exec_lo, exec_lo, s2
	s_delay_alu instid0(VALU_DEP_1) | instskip(SKIP_1) | instid1(VALU_DEP_1)
	v_dual_mov_b32 v8, 0 :: v_dual_bitop2_b32 v9, s7, v5 bitop3:0x54
                                        ; implicit-def: $vgpr6_vgpr7
	s_mov_b32 s2, exec_lo
	v_cmpx_ne_u64_e32 0, v[8:9]
	s_xor_b32 s3, exec_lo, s2
	s_cbranch_execz .LBB68_7
; %bb.6:
	s_ashr_i32 s4, s7, 31
	s_mov_b32 s15, 0
	s_mov_b32 s5, s4
	v_dual_mov_b32 v13, v8 :: v_dual_ashrrev_i32 v6, 31, v5
	s_add_nc_u64 s[8:9], s[6:7], s[4:5]
	v_mov_b32_e32 v15, v8
	s_xor_b64 s[4:5], s[8:9], s[4:5]
	s_delay_alu instid0(VALU_DEP_2)
	v_mov_b32_e32 v7, v6
	s_cvt_f32_u32 s2, s4
	s_cvt_f32_u32 s7, s5
	s_sub_nc_u64 s[10:11], 0, s[4:5]
	v_mov_b32_e32 v21, v8
	v_add_nc_u64_e32 v[10:11], v[4:5], v[6:7]
	s_fmamk_f32 s2, s7, 0x4f800000, s2
	v_mov_b32_e32 v9, v8
	s_delay_alu instid0(SALU_CYCLE_2) | instskip(NEXT) | instid1(VALU_DEP_2)
	v_s_rcp_f32 s2, s2
	v_xor_b32_e32 v12, v10, v6
	s_delay_alu instid0(VALU_DEP_3) | instskip(NEXT) | instid1(TRANS32_DEP_1)
	v_xor_b32_e32 v14, v11, v6
	s_mul_f32 s2, s2, 0x5f7ffffc
	s_delay_alu instid0(SALU_CYCLE_3) | instskip(NEXT) | instid1(SALU_CYCLE_3)
	s_mul_f32 s7, s2, 0x2f800000
	s_trunc_f32 s7, s7
	s_delay_alu instid0(SALU_CYCLE_3) | instskip(SKIP_1) | instid1(SALU_CYCLE_2)
	s_fmamk_f32 s2, s7, 0xcf800000, s2
	s_cvt_u32_f32 s9, s7
	s_cvt_u32_f32 s8, s2
	s_delay_alu instid0(SALU_CYCLE_3) | instskip(NEXT) | instid1(SALU_CYCLE_1)
	s_mul_u64 s[12:13], s[10:11], s[8:9]
	s_mul_hi_u32 s17, s8, s13
	s_mul_i32 s16, s8, s13
	s_mul_hi_u32 s14, s8, s12
	s_mul_i32 s7, s9, s12
	s_add_nc_u64 s[16:17], s[14:15], s[16:17]
	s_mul_hi_u32 s2, s9, s12
	s_mul_hi_u32 s18, s9, s13
	s_add_co_u32 s7, s16, s7
	s_add_co_ci_u32 s14, s17, s2
	s_mul_i32 s12, s9, s13
	s_add_co_ci_u32 s13, s18, 0
	s_delay_alu instid0(SALU_CYCLE_1) | instskip(NEXT) | instid1(SALU_CYCLE_1)
	s_add_nc_u64 s[12:13], s[14:15], s[12:13]
	s_add_co_u32 s8, s8, s12
	s_cselect_b32 s2, -1, 0
	s_delay_alu instid0(SALU_CYCLE_1) | instskip(SKIP_1) | instid1(SALU_CYCLE_1)
	s_cmp_lg_u32 s2, 0
	s_add_co_ci_u32 s9, s9, s13
	s_mul_u64 s[10:11], s[10:11], s[8:9]
	s_delay_alu instid0(SALU_CYCLE_1)
	s_mul_hi_u32 s13, s8, s11
	s_mul_i32 s12, s8, s11
	s_mul_hi_u32 s14, s8, s10
	s_mul_i32 s7, s9, s10
	s_add_nc_u64 s[12:13], s[14:15], s[12:13]
	s_mul_hi_u32 s2, s9, s10
	s_mul_hi_u32 s16, s9, s11
	s_add_co_u32 s7, s12, s7
	s_add_co_ci_u32 s14, s13, s2
	s_mul_i32 s10, s9, s11
	s_add_co_ci_u32 s11, s16, 0
	s_delay_alu instid0(SALU_CYCLE_1) | instskip(NEXT) | instid1(SALU_CYCLE_1)
	s_add_nc_u64 s[10:11], s[14:15], s[10:11]
	s_add_co_u32 s2, s8, s10
	s_cselect_b32 s7, -1, 0
	v_mul_hi_u32 v20, v12, s2
	s_cmp_lg_u32 s7, 0
	s_add_co_ci_u32 s14, s9, s11
	s_mov_b64 s[8:9], 0xffffffff
	v_mul_u64_e32 v[16:17], s[14:15], v[12:13]
	s_and_b64 s[8:9], s[2:3], s[8:9]
	v_mul_u64_e32 v[18:19], s[14:15], v[14:15]
	v_mul_u64_e32 v[10:11], s[8:9], v[14:15]
	s_delay_alu instid0(VALU_DEP_3) | instskip(NEXT) | instid1(VALU_DEP_1)
	v_add_nc_u64_e32 v[16:17], v[20:21], v[16:17]
	v_add_co_u32 v3, vcc_lo, v16, v10
	s_delay_alu instid0(VALU_DEP_2) | instskip(SKIP_1) | instid1(VALU_DEP_1)
	v_add_co_ci_u32_e32 v8, vcc_lo, v17, v11, vcc_lo
	v_add_co_ci_u32_e32 v19, vcc_lo, 0, v19, vcc_lo
	v_add_nc_u64_e32 v[8:9], v[8:9], v[18:19]
	s_delay_alu instid0(VALU_DEP_1) | instskip(NEXT) | instid1(VALU_DEP_1)
	v_mul_u64_e32 v[8:9], s[4:5], v[8:9]
	v_sub_co_u32 v8, vcc_lo, v12, v8
	s_delay_alu instid0(VALU_DEP_1) | instskip(NEXT) | instid1(VALU_DEP_1)
	v_cmp_le_u32_e64 s2, s4, v8
	v_cndmask_b32_e64 v12, 0, -1, s2
	s_delay_alu instid0(VALU_DEP_4) | instskip(SKIP_1) | instid1(VALU_DEP_2)
	v_sub_nc_u32_e32 v3, v14, v9
	v_sub_co_ci_u32_e64 v9, null, v14, v9, vcc_lo
	v_subrev_co_ci_u32_e64 v3, null, s5, v3, vcc_lo
	v_sub_co_u32 v10, vcc_lo, v8, s4
	s_delay_alu instid0(VALU_DEP_1) | instskip(NEXT) | instid1(VALU_DEP_2)
	v_subrev_co_ci_u32_e64 v11, null, 0, v3, vcc_lo
	v_cmp_le_u32_e64 s2, s4, v10
	v_subrev_co_ci_u32_e64 v3, null, s5, v3, vcc_lo
	v_cmp_le_u32_e32 vcc_lo, s5, v9
	s_delay_alu instid0(VALU_DEP_3) | instskip(SKIP_3) | instid1(VALU_DEP_3)
	v_cndmask_b32_e64 v13, 0, -1, s2
	v_cmp_le_u32_e64 s2, s5, v11
	v_cndmask_b32_e64 v15, 0, -1, vcc_lo
	v_cmp_eq_u32_e32 vcc_lo, s5, v11
	v_cndmask_b32_e64 v14, 0, -1, s2
	v_cmp_eq_u32_e64 s2, s5, v9
	s_delay_alu instid0(VALU_DEP_2) | instskip(SKIP_1) | instid1(VALU_DEP_1)
	v_cndmask_b32_e32 v13, v14, v13, vcc_lo
	v_sub_co_u32 v14, vcc_lo, v10, s4
	v_subrev_co_ci_u32_e64 v3, null, 0, v3, vcc_lo
	s_delay_alu instid0(VALU_DEP_3) | instskip(SKIP_1) | instid1(VALU_DEP_3)
	v_cmp_ne_u32_e32 vcc_lo, 0, v13
	v_cndmask_b32_e64 v12, v15, v12, s2
	v_dual_cndmask_b32 v3, v11, v3 :: v_dual_cndmask_b32 v10, v10, v14
	s_delay_alu instid0(VALU_DEP_2) | instskip(NEXT) | instid1(VALU_DEP_2)
	v_cmp_ne_u32_e32 vcc_lo, 0, v12
	v_dual_cndmask_b32 v3, v9, v3 :: v_dual_cndmask_b32 v8, v8, v10
	s_delay_alu instid0(VALU_DEP_1) | instskip(NEXT) | instid1(VALU_DEP_2)
	v_xor_b32_e32 v9, v3, v6
	v_xor_b32_e32 v8, v8, v6
	s_delay_alu instid0(VALU_DEP_1)
	v_sub_nc_u64_e32 v[6:7], v[8:9], v[6:7]
.LBB68_7:
	s_or_saveexec_b32 s2, s3
	s_clause 0x1
	s_load_b64 s[34:35], s[0:1], 0xa8
	s_load_b256 s[20:27], s[0:1], 0x88
	s_xor_b32 exec_lo, exec_lo, s2
	s_cbranch_execz .LBB68_9
; %bb.8:
	v_cvt_f32_u32_e32 v3, s6
	s_sub_co_i32 s3, 0, s6
	v_mov_b32_e32 v7, 0
	s_delay_alu instid0(VALU_DEP_2) | instskip(SKIP_1) | instid1(TRANS32_DEP_1)
	v_rcp_iflag_f32_e32 v3, v3
	v_nop
	v_mul_f32_e32 v3, 0x4f7ffffe, v3
	s_delay_alu instid0(VALU_DEP_1) | instskip(NEXT) | instid1(VALU_DEP_1)
	v_cvt_u32_f32_e32 v3, v3
	v_mul_lo_u32 v6, s3, v3
	s_delay_alu instid0(VALU_DEP_1) | instskip(NEXT) | instid1(VALU_DEP_1)
	v_mul_hi_u32 v6, v3, v6
	v_add_nc_u32_e32 v3, v3, v6
	s_delay_alu instid0(VALU_DEP_1) | instskip(NEXT) | instid1(VALU_DEP_1)
	v_mul_hi_u32 v3, v4, v3
	v_mul_lo_u32 v3, v3, s6
	s_delay_alu instid0(VALU_DEP_1) | instskip(NEXT) | instid1(VALU_DEP_1)
	v_sub_nc_u32_e32 v3, v4, v3
	v_subrev_nc_u32_e32 v6, s6, v3
	v_cmp_le_u32_e32 vcc_lo, s6, v3
	s_delay_alu instid0(VALU_DEP_2) | instskip(NEXT) | instid1(VALU_DEP_1)
	v_cndmask_b32_e32 v3, v3, v6, vcc_lo
	v_subrev_nc_u32_e32 v6, s6, v3
	v_cmp_le_u32_e32 vcc_lo, s6, v3
	s_delay_alu instid0(VALU_DEP_2)
	v_cndmask_b32_e32 v6, v3, v6, vcc_lo
.LBB68_9:
	s_or_b32 exec_lo, exec_lo, s2
	v_dual_mov_b32 v10, 0 :: v_dual_bitop2_b32 v11, s31, v1 bitop3:0x54
                                        ; implicit-def: $vgpr8_vgpr9
	s_mov_b32 s2, exec_lo
	s_delay_alu instid0(VALU_DEP_1)
	v_cmpx_ne_u64_e32 0, v[10:11]
	s_xor_b32 s3, exec_lo, s2
	s_cbranch_execz .LBB68_11
; %bb.10:
	s_ashr_i32 s4, s31, 31
	s_mov_b32 s15, 0
	s_mov_b32 s5, s4
	v_dual_mov_b32 v3, v2 :: v_dual_mov_b32 v13, v10
	s_add_nc_u64 s[6:7], s[30:31], s[4:5]
	v_mov_b32_e32 v11, v10
	s_xor_b64 s[6:7], s[6:7], s[4:5]
	s_delay_alu instid0(VALU_DEP_2) | instskip(SKIP_4) | instid1(SALU_CYCLE_1)
	v_add_nc_u64_e32 v[8:9], v[0:1], v[2:3]
	s_cvt_f32_u32 s2, s6
	s_cvt_f32_u32 s5, s7
	s_sub_nc_u64 s[10:11], 0, s[6:7]
	v_dual_mov_b32 v15, v10 :: v_dual_mov_b32 v21, v10
	s_fmamk_f32 s2, s5, 0x4f800000, s2
	s_delay_alu instid0(VALU_DEP_2) | instskip(SKIP_3) | instid1(TRANS32_DEP_1)
	v_xor_b32_e32 v12, v8, v2
	v_xor_b32_e32 v14, v9, v2
	;; [unrolled: 1-line block ×3, first 2 shown]
	v_s_rcp_f32 s2, s2
	s_mul_f32 s2, s2, 0x5f7ffffc
	s_delay_alu instid0(SALU_CYCLE_3) | instskip(NEXT) | instid1(SALU_CYCLE_3)
	s_mul_f32 s5, s2, 0x2f800000
	s_trunc_f32 s5, s5
	s_delay_alu instid0(SALU_CYCLE_3) | instskip(SKIP_1) | instid1(SALU_CYCLE_2)
	s_fmamk_f32 s2, s5, 0xcf800000, s2
	s_cvt_u32_f32 s9, s5
	s_cvt_u32_f32 s8, s2
	s_delay_alu instid0(SALU_CYCLE_3) | instskip(NEXT) | instid1(SALU_CYCLE_1)
	s_mul_u64 s[12:13], s[10:11], s[8:9]
	s_mul_hi_u32 s17, s8, s13
	s_mul_i32 s16, s8, s13
	s_mul_hi_u32 s14, s8, s12
	s_mul_i32 s5, s9, s12
	s_add_nc_u64 s[16:17], s[14:15], s[16:17]
	s_mul_hi_u32 s2, s9, s12
	s_mul_hi_u32 s18, s9, s13
	s_add_co_u32 s5, s16, s5
	s_add_co_ci_u32 s14, s17, s2
	s_mul_i32 s12, s9, s13
	s_add_co_ci_u32 s13, s18, 0
	s_delay_alu instid0(SALU_CYCLE_1) | instskip(NEXT) | instid1(SALU_CYCLE_1)
	s_add_nc_u64 s[12:13], s[14:15], s[12:13]
	s_add_co_u32 s8, s8, s12
	s_cselect_b32 s2, -1, 0
	s_delay_alu instid0(SALU_CYCLE_1) | instskip(SKIP_1) | instid1(SALU_CYCLE_1)
	s_cmp_lg_u32 s2, 0
	s_add_co_ci_u32 s9, s9, s13
	s_mul_u64 s[10:11], s[10:11], s[8:9]
	s_delay_alu instid0(SALU_CYCLE_1)
	s_mul_hi_u32 s13, s8, s11
	s_mul_i32 s12, s8, s11
	s_mul_hi_u32 s14, s8, s10
	s_mul_i32 s5, s9, s10
	s_add_nc_u64 s[12:13], s[14:15], s[12:13]
	s_mul_hi_u32 s2, s9, s10
	s_mul_hi_u32 s16, s9, s11
	s_add_co_u32 s5, s12, s5
	s_add_co_ci_u32 s14, s13, s2
	s_mul_i32 s10, s9, s11
	s_add_co_ci_u32 s11, s16, 0
	s_delay_alu instid0(SALU_CYCLE_1) | instskip(NEXT) | instid1(SALU_CYCLE_1)
	s_add_nc_u64 s[10:11], s[14:15], s[10:11]
	s_add_co_u32 s2, s8, s10
	s_cselect_b32 s5, -1, 0
	v_nop
	v_mul_hi_u32 v20, v12, s2
	s_cmp_lg_u32 s5, 0
	s_add_co_ci_u32 s14, s9, s11
	s_mov_b64 s[8:9], 0xffffffff
	v_mul_u64_e32 v[16:17], s[14:15], v[12:13]
	s_and_b64 s[8:9], s[2:3], s[8:9]
	v_mul_u64_e32 v[18:19], s[14:15], v[14:15]
	v_mul_u64_e32 v[8:9], s[8:9], v[14:15]
	s_delay_alu instid0(VALU_DEP_3) | instskip(NEXT) | instid1(VALU_DEP_1)
	v_add_nc_u64_e32 v[16:17], v[20:21], v[16:17]
	v_add_co_u32 v3, vcc_lo, v16, v8
	s_delay_alu instid0(VALU_DEP_2) | instskip(SKIP_1) | instid1(VALU_DEP_1)
	v_add_co_ci_u32_e32 v10, vcc_lo, v17, v9, vcc_lo
	v_add_co_ci_u32_e32 v19, vcc_lo, 0, v19, vcc_lo
	v_add_nc_u64_e32 v[8:9], v[10:11], v[18:19]
	s_delay_alu instid0(VALU_DEP_1) | instskip(NEXT) | instid1(VALU_DEP_1)
	v_mul_u64_e32 v[10:11], s[6:7], v[8:9]
	v_sub_nc_u32_e32 v3, v14, v11
	s_delay_alu instid0(VALU_DEP_2) | instskip(NEXT) | instid1(VALU_DEP_1)
	v_sub_co_u32 v10, vcc_lo, v12, v10
	v_sub_co_ci_u32_e64 v14, null, v14, v11, vcc_lo
	s_delay_alu instid0(VALU_DEP_3) | instskip(NEXT) | instid1(VALU_DEP_3)
	v_subrev_co_ci_u32_e64 v3, null, s7, v3, vcc_lo
	v_sub_co_u32 v12, s2, v10, s6
	s_delay_alu instid0(VALU_DEP_1) | instskip(NEXT) | instid1(VALU_DEP_2)
	v_subrev_co_ci_u32_e64 v3, null, 0, v3, s2
	v_cmp_le_u32_e32 vcc_lo, s6, v12
	v_cndmask_b32_e64 v11, 0, -1, vcc_lo
	s_delay_alu instid0(VALU_DEP_3)
	v_cmp_le_u32_e32 vcc_lo, s7, v3
	v_cndmask_b32_e64 v12, 0, -1, vcc_lo
	v_cmp_le_u32_e32 vcc_lo, s6, v10
	v_cndmask_b32_e64 v15, 0, -1, vcc_lo
	;; [unrolled: 2-line block ×3, first 2 shown]
	v_cmp_eq_u32_e32 vcc_lo, s7, v3
	v_cndmask_b32_e32 v3, v12, v11, vcc_lo
	v_cmp_eq_u32_e32 vcc_lo, s7, v14
	v_add_nc_u64_e32 v[10:11], 2, v[8:9]
	v_add_nc_u64_e32 v[12:13], 1, v[8:9]
	v_cndmask_b32_e32 v14, v16, v15, vcc_lo
	v_cmp_ne_u32_e32 vcc_lo, 0, v3
	s_delay_alu instid0(VALU_DEP_2) | instskip(NEXT) | instid1(VALU_DEP_4)
	v_cmp_ne_u32_e64 s2, 0, v14
	v_dual_cndmask_b32 v10, v12, v10 :: v_dual_cndmask_b32 v3, v13, v11
	s_delay_alu instid0(VALU_DEP_1) | instskip(NEXT) | instid1(VALU_DEP_1)
	v_dual_cndmask_b32 v8, v8, v10, s2 :: v_dual_cndmask_b32 v9, v9, v3, s2
	v_dual_mov_b32 v3, v2 :: v_dual_bitop2_b32 v8, v8, v2 bitop3:0x14
	s_delay_alu instid0(VALU_DEP_2) | instskip(NEXT) | instid1(VALU_DEP_1)
	v_xor_b32_e32 v9, v9, v2
	v_sub_nc_u64_e32 v[8:9], v[8:9], v[2:3]
.LBB68_11:
	s_or_saveexec_b32 s31, s3
	s_clause 0x2
	s_load_b64 s[44:45], s[0:1], 0x58
	s_load_b64 s[2:3], s[0:1], 0x0
	s_load_b512 s[4:19], s[0:1], 0x18
	s_xor_b32 exec_lo, exec_lo, s31
	s_cbranch_execz .LBB68_13
; %bb.12:
	v_cvt_f32_u32_e32 v2, s30
	s_sub_co_i32 s36, 0, s30
	s_delay_alu instid0(VALU_DEP_1) | instskip(SKIP_1) | instid1(TRANS32_DEP_1)
	v_rcp_iflag_f32_e32 v2, v2
	v_nop
	v_mul_f32_e32 v2, 0x4f7ffffe, v2
	s_delay_alu instid0(VALU_DEP_1) | instskip(NEXT) | instid1(VALU_DEP_1)
	v_cvt_u32_f32_e32 v2, v2
	v_mul_lo_u32 v3, s36, v2
	s_delay_alu instid0(VALU_DEP_1) | instskip(NEXT) | instid1(VALU_DEP_1)
	v_mul_hi_u32 v3, v2, v3
	v_add_nc_u32_e32 v2, v2, v3
	s_delay_alu instid0(VALU_DEP_1) | instskip(NEXT) | instid1(VALU_DEP_1)
	v_mul_hi_u32 v2, v0, v2
	v_mul_lo_u32 v3, v2, s30
	s_delay_alu instid0(VALU_DEP_1) | instskip(NEXT) | instid1(VALU_DEP_1)
	v_dual_add_nc_u32 v8, 1, v2 :: v_dual_sub_nc_u32 v3, v0, v3
	v_subrev_nc_u32_e32 v9, s30, v3
	v_cmp_le_u32_e32 vcc_lo, s30, v3
	s_delay_alu instid0(VALU_DEP_2) | instskip(NEXT) | instid1(VALU_DEP_4)
	v_dual_cndmask_b32 v3, v3, v9, vcc_lo :: v_dual_mov_b32 v9, 0
	v_cndmask_b32_e32 v2, v2, v8, vcc_lo
	s_delay_alu instid0(VALU_DEP_2) | instskip(NEXT) | instid1(VALU_DEP_2)
	v_cmp_le_u32_e32 vcc_lo, s30, v3
	v_add_nc_u32_e32 v8, 1, v2
	s_delay_alu instid0(VALU_DEP_1)
	v_cndmask_b32_e32 v8, v2, v8, vcc_lo
.LBB68_13:
	s_or_b32 exec_lo, exec_lo, s31
	v_mul_u64_e32 v[2:3], s[28:29], v[4:5]
	s_clause 0x1
	s_load_b256 s[36:43], s[0:1], 0xb0
	s_load_b64 s[28:29], s[0:1], 0xd0
	s_wait_kmcnt 0x0
	v_mul_u64_e32 v[4:5], s[24:25], v[8:9]
	s_bfe_u32 s46, ttmp6, 0x40014
	s_lshr_b32 s47, ttmp7, 16
	s_add_co_i32 s46, s46, 1
	s_lshl_b64 s[0:1], s[36:37], 1
	s_lshl_b64 s[24:25], s[38:39], 1
	;; [unrolled: 1-line block ×3, first 2 shown]
	v_max_i64 v[12:13], s[38:39], 0
	v_max_i64 v[14:15], s[36:37], 0
	v_sub_nc_u64_e64 v[30:31], v[8:9], s[40:41]
	v_sub_nc_u64_e64 v[32:33], v[6:7], s[38:39]
	s_delay_alu instid0(VALU_DEP_2)
	v_sub_nc_u64_e32 v[34:35], 0, v[30:31]
	v_sub_nc_u64_e32 v[0:1], v[0:1], v[2:3]
	v_mul_u64_e32 v[2:3], s[26:27], v[6:7]
	s_bfe_u32 s27, ttmp6, 0x40010
	s_mul_i32 s26, s47, s46
	s_and_b32 s46, ttmp7, 0xffff
	s_add_co_i32 s27, s27, 1
	v_max_i64 v[30:31], v[30:31], v[34:35]
	v_mul_u64_e32 v[10:11], s[34:35], v[0:1]
	s_bfe_u32 s34, ttmp6, 0x40008
	s_mul_i32 s27, s46, s27
	s_bfe_u32 s35, ttmp6, 0x40004
	s_add_co_i32 s34, s34, s26
	s_add_co_i32 s26, s35, s27
	s_cmp_eq_u32 s33, 0
	s_mov_b32 s27, 0
	s_cselect_b32 s34, s47, s34
	s_mov_b32 s35, s27
	s_cselect_b32 s26, s46, s26
	s_add_nc_u64 s[28:29], s[28:29], s[34:35]
	s_add_nc_u64 s[26:27], s[42:43], s[26:27]
	s_mul_u64 s[20:21], s[20:21], s[28:29]
	s_mul_u64 s[22:23], s[22:23], s[26:27]
	s_lshl_b64 s[20:21], s[20:21], 3
	s_lshl_b64 s[22:23], s[22:23], 3
	s_add_nc_u64 s[20:21], s[44:45], s[20:21]
	s_sub_nc_u64 s[34:35], 0, s[40:41]
	s_add_nc_u64 s[20:21], s[20:21], s[22:23]
	v_max_i64 v[22:23], s[34:35], 0
	v_lshl_add_u64 v[4:5], v[4:5], 3, s[20:21]
	s_sub_nc_u64 s[20:21], 0, s[36:37]
	s_sub_nc_u64 s[22:23], 0, s[38:39]
	v_not_b32_e32 v12, v12
	v_max_i64 v[18:19], s[22:23], 0
	v_lshl_add_u64 v[2:3], v[2:3], 3, v[4:5]
	v_max_i64 v[4:5], s[40:41], 0
	v_not_b32_e32 v13, v13
	v_not_b32_e32 v14, v14
	v_not_b32_e32 v15, v15
	v_lshl_add_u64 v[2:3], v[10:11], 3, v[2:3]
	v_max_i64 v[10:11], s[20:21], 0
	s_add_nc_u64 s[20:21], s[40:41], s[4:5]
	v_add_nc_u64_e32 v[12:13], s[24:25], v[12:13]
	v_sub_nc_u64_e64 v[16:17], v[8:9], s[20:21]
	global_load_b64 v[2:3], v[2:3], off
	s_add_nc_u64 s[20:21], s[38:39], s[6:7]
	v_add_nc_u64_e32 v[14:15], s[0:1], v[14:15]
	v_sub_nc_u64_e64 v[20:21], v[6:7], s[20:21]
	s_add_nc_u64 s[20:21], s[36:37], s[8:9]
	s_mul_u64 s[0:1], s[10:11], s[28:29]
	v_add_nc_u64_e32 v[26:27], 1, v[16:17]
	v_not_b32_e32 v17, v17
	v_not_b32_e32 v16, v16
	v_sub_nc_u64_e64 v[24:25], v[0:1], s[20:21]
	v_add_nc_u64_e32 v[28:29], 1, v[20:21]
	v_not_b32_e32 v21, v21
	v_not_b32_e32 v20, v20
	v_max_i64 v[16:17], v[26:27], v[16:17]
	s_lshl_b64 s[0:1], s[0:1], 3
	v_add_nc_u64_e32 v[26:27], 1, v[24:25]
	v_not_b32_e32 v25, v25
	v_not_b32_e32 v24, v24
	v_max_i64 v[20:21], v[28:29], v[20:21]
	v_sub_nc_u64_e64 v[28:29], v[0:1], s[36:37]
	v_add_nc_u64_e32 v[12:13], v[12:13], v[18:19]
	v_not_b32_e32 v4, v4
	v_max_i64 v[24:25], v[26:27], v[24:25]
	v_sub_nc_u64_e32 v[26:27], 0, v[32:33]
	v_not_b32_e32 v5, v5
	s_add_nc_u64 s[0:1], s[2:3], s[0:1]
	v_sub_nc_u64_e32 v[36:37], 0, v[28:29]
	v_add_nc_u64_e32 v[10:11], v[14:15], v[10:11]
	v_add_nc_u64_e32 v[12:13], s[6:7], v[12:13]
	;; [unrolled: 1-line block ×3, first 2 shown]
	v_max_i64 v[26:27], v[32:33], v[26:27]
	v_max_i64 v[28:29], v[28:29], v[36:37]
	s_delay_alu instid0(VALU_DEP_3) | instskip(NEXT) | instid1(VALU_DEP_1)
	v_add_nc_u64_e32 v[4:5], v[4:5], v[22:23]
	v_add_nc_u64_e32 v[4:5], s[4:5], v[4:5]
	;; [unrolled: 1-line block ×3, first 2 shown]
	s_mul_u64 s[4:5], s[12:13], s[26:27]
	s_delay_alu instid0(SALU_CYCLE_1) | instskip(NEXT) | instid1(SALU_CYCLE_1)
	s_lshl_b64 s[2:3], s[4:5], 3
	s_add_nc_u64 s[0:1], s[0:1], s[2:3]
	v_add_nc_u64_e32 v[6:7], v[6:7], v[20:21]
	s_delay_alu instid0(VALU_DEP_2) | instskip(SKIP_2) | instid1(VALU_DEP_4)
	v_sub_nc_u64_e32 v[4:5], v[4:5], v[8:9]
	v_add_nc_u64_e32 v[8:9], s[8:9], v[10:11]
	v_add_nc_u64_e32 v[0:1], v[0:1], v[24:25]
	v_sub_nc_u64_e32 v[6:7], v[12:13], v[6:7]
	s_delay_alu instid0(VALU_DEP_4) | instskip(NEXT) | instid1(VALU_DEP_3)
	v_add_nc_u64_e32 v[4:5], v[4:5], v[30:31]
	v_sub_nc_u64_e32 v[0:1], v[8:9], v[0:1]
	s_delay_alu instid0(VALU_DEP_3) | instskip(NEXT) | instid1(VALU_DEP_3)
	v_add_nc_u64_e32 v[6:7], v[6:7], v[26:27]
	v_mul_u64_e32 v[4:5], s[14:15], v[4:5]
	s_delay_alu instid0(VALU_DEP_3) | instskip(NEXT) | instid1(VALU_DEP_3)
	v_add_nc_u64_e32 v[0:1], v[0:1], v[28:29]
	v_mul_u64_e32 v[6:7], s[16:17], v[6:7]
	s_delay_alu instid0(VALU_DEP_2) | instskip(NEXT) | instid1(VALU_DEP_4)
	v_mul_u64_e32 v[0:1], s[18:19], v[0:1]
	v_lshl_add_u64 v[4:5], v[4:5], 3, s[0:1]
	s_delay_alu instid0(VALU_DEP_1) | instskip(NEXT) | instid1(VALU_DEP_1)
	v_lshl_add_u64 v[4:5], v[6:7], 3, v[4:5]
	v_lshl_add_u64 v[0:1], v[0:1], 3, v[4:5]
	s_wait_xcnt 0x0
	s_wait_loadcnt 0x0
	global_atomic_add_f64 v[0:1], v[2:3], off scope:SCOPE_DEV
.LBB68_14:
	s_endpgm
	.section	.rodata,"a",@progbits
	.p2align	6, 0x0
	.amdhsa_kernel _ZN2at6native12_GLOBAL__N_136reflection_pad3d_backward_out_kernelIdEEvN5torch10headeronly6detail27GenericPackedTensorAccessorINS5_14TensorAccessorIN3c108ArrayRefIlEET_Lm4ENS4_16DefaultPtrTraitsElEENS_6detail16IndexBoundsCheckILm5ElEESB_Lm5ESC_lEENS6_INS7_ISA_KSB_Lm4ESC_lEESG_SI_Lm5ESC_lEElllll
		.amdhsa_group_segment_fixed_size 0
		.amdhsa_private_segment_fixed_size 0
		.amdhsa_kernarg_size 472
		.amdhsa_user_sgpr_count 2
		.amdhsa_user_sgpr_dispatch_ptr 0
		.amdhsa_user_sgpr_queue_ptr 0
		.amdhsa_user_sgpr_kernarg_segment_ptr 1
		.amdhsa_user_sgpr_dispatch_id 0
		.amdhsa_user_sgpr_kernarg_preload_length 0
		.amdhsa_user_sgpr_kernarg_preload_offset 0
		.amdhsa_user_sgpr_private_segment_size 0
		.amdhsa_wavefront_size32 1
		.amdhsa_uses_dynamic_stack 0
		.amdhsa_enable_private_segment 0
		.amdhsa_system_sgpr_workgroup_id_x 1
		.amdhsa_system_sgpr_workgroup_id_y 1
		.amdhsa_system_sgpr_workgroup_id_z 1
		.amdhsa_system_sgpr_workgroup_info 0
		.amdhsa_system_vgpr_workitem_id 0
		.amdhsa_next_free_vgpr 38
		.amdhsa_next_free_sgpr 48
		.amdhsa_named_barrier_count 0
		.amdhsa_reserve_vcc 1
		.amdhsa_float_round_mode_32 0
		.amdhsa_float_round_mode_16_64 0
		.amdhsa_float_denorm_mode_32 3
		.amdhsa_float_denorm_mode_16_64 3
		.amdhsa_fp16_overflow 0
		.amdhsa_memory_ordered 1
		.amdhsa_forward_progress 1
		.amdhsa_inst_pref_size 25
		.amdhsa_round_robin_scheduling 0
		.amdhsa_exception_fp_ieee_invalid_op 0
		.amdhsa_exception_fp_denorm_src 0
		.amdhsa_exception_fp_ieee_div_zero 0
		.amdhsa_exception_fp_ieee_overflow 0
		.amdhsa_exception_fp_ieee_underflow 0
		.amdhsa_exception_fp_ieee_inexact 0
		.amdhsa_exception_int_div_zero 0
	.end_amdhsa_kernel
	.section	.text._ZN2at6native12_GLOBAL__N_136reflection_pad3d_backward_out_kernelIdEEvN5torch10headeronly6detail27GenericPackedTensorAccessorINS5_14TensorAccessorIN3c108ArrayRefIlEET_Lm4ENS4_16DefaultPtrTraitsElEENS_6detail16IndexBoundsCheckILm5ElEESB_Lm5ESC_lEENS6_INS7_ISA_KSB_Lm4ESC_lEESG_SI_Lm5ESC_lEElllll,"axG",@progbits,_ZN2at6native12_GLOBAL__N_136reflection_pad3d_backward_out_kernelIdEEvN5torch10headeronly6detail27GenericPackedTensorAccessorINS5_14TensorAccessorIN3c108ArrayRefIlEET_Lm4ENS4_16DefaultPtrTraitsElEENS_6detail16IndexBoundsCheckILm5ElEESB_Lm5ESC_lEENS6_INS7_ISA_KSB_Lm4ESC_lEESG_SI_Lm5ESC_lEElllll,comdat
.Lfunc_end68:
	.size	_ZN2at6native12_GLOBAL__N_136reflection_pad3d_backward_out_kernelIdEEvN5torch10headeronly6detail27GenericPackedTensorAccessorINS5_14TensorAccessorIN3c108ArrayRefIlEET_Lm4ENS4_16DefaultPtrTraitsElEENS_6detail16IndexBoundsCheckILm5ElEESB_Lm5ESC_lEENS6_INS7_ISA_KSB_Lm4ESC_lEESG_SI_Lm5ESC_lEElllll, .Lfunc_end68-_ZN2at6native12_GLOBAL__N_136reflection_pad3d_backward_out_kernelIdEEvN5torch10headeronly6detail27GenericPackedTensorAccessorINS5_14TensorAccessorIN3c108ArrayRefIlEET_Lm4ENS4_16DefaultPtrTraitsElEENS_6detail16IndexBoundsCheckILm5ElEESB_Lm5ESC_lEENS6_INS7_ISA_KSB_Lm4ESC_lEESG_SI_Lm5ESC_lEElllll
                                        ; -- End function
	.set _ZN2at6native12_GLOBAL__N_136reflection_pad3d_backward_out_kernelIdEEvN5torch10headeronly6detail27GenericPackedTensorAccessorINS5_14TensorAccessorIN3c108ArrayRefIlEET_Lm4ENS4_16DefaultPtrTraitsElEENS_6detail16IndexBoundsCheckILm5ElEESB_Lm5ESC_lEENS6_INS7_ISA_KSB_Lm4ESC_lEESG_SI_Lm5ESC_lEElllll.num_vgpr, 38
	.set _ZN2at6native12_GLOBAL__N_136reflection_pad3d_backward_out_kernelIdEEvN5torch10headeronly6detail27GenericPackedTensorAccessorINS5_14TensorAccessorIN3c108ArrayRefIlEET_Lm4ENS4_16DefaultPtrTraitsElEENS_6detail16IndexBoundsCheckILm5ElEESB_Lm5ESC_lEENS6_INS7_ISA_KSB_Lm4ESC_lEESG_SI_Lm5ESC_lEElllll.num_agpr, 0
	.set _ZN2at6native12_GLOBAL__N_136reflection_pad3d_backward_out_kernelIdEEvN5torch10headeronly6detail27GenericPackedTensorAccessorINS5_14TensorAccessorIN3c108ArrayRefIlEET_Lm4ENS4_16DefaultPtrTraitsElEENS_6detail16IndexBoundsCheckILm5ElEESB_Lm5ESC_lEENS6_INS7_ISA_KSB_Lm4ESC_lEESG_SI_Lm5ESC_lEElllll.numbered_sgpr, 48
	.set _ZN2at6native12_GLOBAL__N_136reflection_pad3d_backward_out_kernelIdEEvN5torch10headeronly6detail27GenericPackedTensorAccessorINS5_14TensorAccessorIN3c108ArrayRefIlEET_Lm4ENS4_16DefaultPtrTraitsElEENS_6detail16IndexBoundsCheckILm5ElEESB_Lm5ESC_lEENS6_INS7_ISA_KSB_Lm4ESC_lEESG_SI_Lm5ESC_lEElllll.num_named_barrier, 0
	.set _ZN2at6native12_GLOBAL__N_136reflection_pad3d_backward_out_kernelIdEEvN5torch10headeronly6detail27GenericPackedTensorAccessorINS5_14TensorAccessorIN3c108ArrayRefIlEET_Lm4ENS4_16DefaultPtrTraitsElEENS_6detail16IndexBoundsCheckILm5ElEESB_Lm5ESC_lEENS6_INS7_ISA_KSB_Lm4ESC_lEESG_SI_Lm5ESC_lEElllll.private_seg_size, 0
	.set _ZN2at6native12_GLOBAL__N_136reflection_pad3d_backward_out_kernelIdEEvN5torch10headeronly6detail27GenericPackedTensorAccessorINS5_14TensorAccessorIN3c108ArrayRefIlEET_Lm4ENS4_16DefaultPtrTraitsElEENS_6detail16IndexBoundsCheckILm5ElEESB_Lm5ESC_lEENS6_INS7_ISA_KSB_Lm4ESC_lEESG_SI_Lm5ESC_lEElllll.uses_vcc, 1
	.set _ZN2at6native12_GLOBAL__N_136reflection_pad3d_backward_out_kernelIdEEvN5torch10headeronly6detail27GenericPackedTensorAccessorINS5_14TensorAccessorIN3c108ArrayRefIlEET_Lm4ENS4_16DefaultPtrTraitsElEENS_6detail16IndexBoundsCheckILm5ElEESB_Lm5ESC_lEENS6_INS7_ISA_KSB_Lm4ESC_lEESG_SI_Lm5ESC_lEElllll.uses_flat_scratch, 0
	.set _ZN2at6native12_GLOBAL__N_136reflection_pad3d_backward_out_kernelIdEEvN5torch10headeronly6detail27GenericPackedTensorAccessorINS5_14TensorAccessorIN3c108ArrayRefIlEET_Lm4ENS4_16DefaultPtrTraitsElEENS_6detail16IndexBoundsCheckILm5ElEESB_Lm5ESC_lEENS6_INS7_ISA_KSB_Lm4ESC_lEESG_SI_Lm5ESC_lEElllll.has_dyn_sized_stack, 0
	.set _ZN2at6native12_GLOBAL__N_136reflection_pad3d_backward_out_kernelIdEEvN5torch10headeronly6detail27GenericPackedTensorAccessorINS5_14TensorAccessorIN3c108ArrayRefIlEET_Lm4ENS4_16DefaultPtrTraitsElEENS_6detail16IndexBoundsCheckILm5ElEESB_Lm5ESC_lEENS6_INS7_ISA_KSB_Lm4ESC_lEESG_SI_Lm5ESC_lEElllll.has_recursion, 0
	.set _ZN2at6native12_GLOBAL__N_136reflection_pad3d_backward_out_kernelIdEEvN5torch10headeronly6detail27GenericPackedTensorAccessorINS5_14TensorAccessorIN3c108ArrayRefIlEET_Lm4ENS4_16DefaultPtrTraitsElEENS_6detail16IndexBoundsCheckILm5ElEESB_Lm5ESC_lEENS6_INS7_ISA_KSB_Lm4ESC_lEESG_SI_Lm5ESC_lEElllll.has_indirect_call, 0
	.section	.AMDGPU.csdata,"",@progbits
; Kernel info:
; codeLenInByte = 3096
; TotalNumSgprs: 50
; NumVgprs: 38
; ScratchSize: 0
; MemoryBound: 0
; FloatMode: 240
; IeeeMode: 1
; LDSByteSize: 0 bytes/workgroup (compile time only)
; SGPRBlocks: 0
; VGPRBlocks: 2
; NumSGPRsForWavesPerEU: 50
; NumVGPRsForWavesPerEU: 38
; NamedBarCnt: 0
; Occupancy: 16
; WaveLimiterHint : 0
; COMPUTE_PGM_RSRC2:SCRATCH_EN: 0
; COMPUTE_PGM_RSRC2:USER_SGPR: 2
; COMPUTE_PGM_RSRC2:TRAP_HANDLER: 0
; COMPUTE_PGM_RSRC2:TGID_X_EN: 1
; COMPUTE_PGM_RSRC2:TGID_Y_EN: 1
; COMPUTE_PGM_RSRC2:TGID_Z_EN: 1
; COMPUTE_PGM_RSRC2:TIDIG_COMP_CNT: 0
	.section	.text._ZN2at6native12_GLOBAL__N_136reflection_pad3d_backward_out_kernelIfEEvN5torch10headeronly6detail27GenericPackedTensorAccessorINS5_14TensorAccessorIN3c108ArrayRefIlEET_Lm4ENS4_16DefaultPtrTraitsElEENS_6detail16IndexBoundsCheckILm5ElEESB_Lm5ESC_lEENS6_INS7_ISA_KSB_Lm4ESC_lEESG_SI_Lm5ESC_lEElllll,"axG",@progbits,_ZN2at6native12_GLOBAL__N_136reflection_pad3d_backward_out_kernelIfEEvN5torch10headeronly6detail27GenericPackedTensorAccessorINS5_14TensorAccessorIN3c108ArrayRefIlEET_Lm4ENS4_16DefaultPtrTraitsElEENS_6detail16IndexBoundsCheckILm5ElEESB_Lm5ESC_lEENS6_INS7_ISA_KSB_Lm4ESC_lEESG_SI_Lm5ESC_lEElllll,comdat
	.globl	_ZN2at6native12_GLOBAL__N_136reflection_pad3d_backward_out_kernelIfEEvN5torch10headeronly6detail27GenericPackedTensorAccessorINS5_14TensorAccessorIN3c108ArrayRefIlEET_Lm4ENS4_16DefaultPtrTraitsElEENS_6detail16IndexBoundsCheckILm5ElEESB_Lm5ESC_lEENS6_INS7_ISA_KSB_Lm4ESC_lEESG_SI_Lm5ESC_lEElllll ; -- Begin function _ZN2at6native12_GLOBAL__N_136reflection_pad3d_backward_out_kernelIfEEvN5torch10headeronly6detail27GenericPackedTensorAccessorINS5_14TensorAccessorIN3c108ArrayRefIlEET_Lm4ENS4_16DefaultPtrTraitsElEENS_6detail16IndexBoundsCheckILm5ElEESB_Lm5ESC_lEENS6_INS7_ISA_KSB_Lm4ESC_lEESG_SI_Lm5ESC_lEElllll
	.p2align	8
	.type	_ZN2at6native12_GLOBAL__N_136reflection_pad3d_backward_out_kernelIfEEvN5torch10headeronly6detail27GenericPackedTensorAccessorINS5_14TensorAccessorIN3c108ArrayRefIlEET_Lm4ENS4_16DefaultPtrTraitsElEENS_6detail16IndexBoundsCheckILm5ElEESB_Lm5ESC_lEENS6_INS7_ISA_KSB_Lm4ESC_lEESG_SI_Lm5ESC_lEElllll,@function
_ZN2at6native12_GLOBAL__N_136reflection_pad3d_backward_out_kernelIfEEvN5torch10headeronly6detail27GenericPackedTensorAccessorINS5_14TensorAccessorIN3c108ArrayRefIlEET_Lm4ENS4_16DefaultPtrTraitsElEENS_6detail16IndexBoundsCheckILm5ElEESB_Lm5ESC_lEENS6_INS7_ISA_KSB_Lm4ESC_lEESG_SI_Lm5ESC_lEElllll: ; @_ZN2at6native12_GLOBAL__N_136reflection_pad3d_backward_out_kernelIfEEvN5torch10headeronly6detail27GenericPackedTensorAccessorINS5_14TensorAccessorIN3c108ArrayRefIlEET_Lm4ENS4_16DefaultPtrTraitsElEENS_6detail16IndexBoundsCheckILm5ElEESB_Lm5ESC_lEENS6_INS7_ISA_KSB_Lm4ESC_lEESG_SI_Lm5ESC_lEElllll
; %bb.0:
	s_clause 0x2
	s_load_b32 s2, s[0:1], 0xe4
	s_load_b128 s[4:7], s[0:1], 0x70
	s_load_b64 s[28:29], s[0:1], 0x80
	s_bfe_u32 s3, ttmp6, 0x4000c
	v_mov_b32_e32 v2, 0
	s_add_co_i32 s3, s3, 1
	s_and_b32 s8, ttmp6, 15
	s_mul_i32 s3, ttmp9, s3
	s_getreg_b32 s33, hwreg(HW_REG_IB_STS2, 6, 4)
	v_mov_b32_e32 v1, v2
	s_add_co_i32 s8, s8, s3
	s_wait_kmcnt 0x0
	s_and_b32 s2, s2, 0xffff
	s_cmp_eq_u32 s33, 0
	s_mul_u64 s[30:31], s[28:29], s[6:7]
	s_cselect_b32 s3, ttmp9, s8
	s_delay_alu instid0(SALU_CYCLE_1)
	v_mad_nc_u64_u32 v[0:1], s2, s3, v[0:1]
	s_mul_u64 s[2:3], s[30:31], s[4:5]
	s_delay_alu instid0(VALU_DEP_1) | instid1(SALU_CYCLE_1)
	v_cmp_gt_i64_e32 vcc_lo, s[2:3], v[0:1]
	s_and_saveexec_b32 s2, vcc_lo
	s_cbranch_execz .LBB69_14
; %bb.1:
	v_or_b32_e32 v3, s29, v1
                                        ; implicit-def: $vgpr4_vgpr5
	s_delay_alu instid0(VALU_DEP_1) | instskip(SKIP_2) | instid1(SALU_CYCLE_1)
	v_cmp_ne_u64_e32 vcc_lo, 0, v[2:3]
	v_ashrrev_i32_e32 v2, 31, v1
	s_and_saveexec_b32 s2, vcc_lo
	s_xor_b32 s3, exec_lo, s2
	s_cbranch_execz .LBB69_3
; %bb.2:
	s_ashr_i32 s4, s29, 31
	s_mov_b32 s17, 0
	s_mov_b32 s5, s4
	v_dual_mov_b32 v3, v2 :: v_dual_mov_b32 v7, 0
	s_add_nc_u64 s[8:9], s[28:29], s[4:5]
	s_delay_alu instid0(SALU_CYCLE_1) | instskip(NEXT) | instid1(VALU_DEP_1)
	s_xor_b64 s[8:9], s[8:9], s[4:5]
	v_add_nc_u64_e32 v[4:5], v[0:1], v[2:3]
	s_cvt_f32_u32 s2, s8
	s_cvt_f32_u32 s5, s9
	s_sub_nc_u64 s[12:13], 0, s[8:9]
	v_dual_mov_b32 v9, v7 :: v_dual_mov_b32 v15, v7
	s_delay_alu instid0(SALU_CYCLE_1) | instskip(NEXT) | instid1(VALU_DEP_2)
	s_fmamk_f32 s2, s5, 0x4f800000, s2
	v_xor_b32_e32 v6, v4, v2
	v_xor_b32_e32 v8, v5, v2
	s_delay_alu instid0(SALU_CYCLE_1) | instskip(NEXT) | instid1(TRANS32_DEP_1)
	v_s_rcp_f32 s2, s2
	s_mul_f32 s2, s2, 0x5f7ffffc
	s_delay_alu instid0(SALU_CYCLE_3) | instskip(NEXT) | instid1(SALU_CYCLE_3)
	s_mul_f32 s5, s2, 0x2f800000
	s_trunc_f32 s5, s5
	s_delay_alu instid0(SALU_CYCLE_3) | instskip(SKIP_1) | instid1(SALU_CYCLE_2)
	s_fmamk_f32 s2, s5, 0xcf800000, s2
	s_cvt_u32_f32 s11, s5
	s_cvt_u32_f32 s10, s2
	s_delay_alu instid0(SALU_CYCLE_3) | instskip(NEXT) | instid1(SALU_CYCLE_1)
	s_mul_u64 s[14:15], s[12:13], s[10:11]
	s_mul_hi_u32 s19, s10, s15
	s_mul_i32 s18, s10, s15
	s_mul_hi_u32 s16, s10, s14
	s_mul_i32 s5, s11, s14
	s_add_nc_u64 s[18:19], s[16:17], s[18:19]
	s_mul_hi_u32 s2, s11, s14
	s_mul_hi_u32 s20, s11, s15
	s_add_co_u32 s5, s18, s5
	s_add_co_ci_u32 s16, s19, s2
	s_mul_i32 s14, s11, s15
	s_add_co_ci_u32 s15, s20, 0
	s_delay_alu instid0(SALU_CYCLE_1) | instskip(NEXT) | instid1(SALU_CYCLE_1)
	s_add_nc_u64 s[14:15], s[16:17], s[14:15]
	s_add_co_u32 s10, s10, s14
	s_cselect_b32 s2, -1, 0
	s_delay_alu instid0(SALU_CYCLE_1) | instskip(SKIP_1) | instid1(SALU_CYCLE_1)
	s_cmp_lg_u32 s2, 0
	s_add_co_ci_u32 s11, s11, s15
	s_mul_u64 s[12:13], s[12:13], s[10:11]
	s_delay_alu instid0(SALU_CYCLE_1)
	s_mul_hi_u32 s15, s10, s13
	s_mul_i32 s14, s10, s13
	s_mul_hi_u32 s16, s10, s12
	s_mul_i32 s5, s11, s12
	s_add_nc_u64 s[14:15], s[16:17], s[14:15]
	s_mul_hi_u32 s2, s11, s12
	s_mul_hi_u32 s18, s11, s13
	s_add_co_u32 s5, s14, s5
	s_add_co_ci_u32 s16, s15, s2
	s_mul_i32 s12, s11, s13
	s_add_co_ci_u32 s13, s18, 0
	s_delay_alu instid0(SALU_CYCLE_1) | instskip(NEXT) | instid1(SALU_CYCLE_1)
	s_add_nc_u64 s[12:13], s[16:17], s[12:13]
	s_add_co_u32 s2, s10, s12
	s_cselect_b32 s5, -1, 0
	v_nop
	v_mul_hi_u32 v14, v6, s2
	s_cmp_lg_u32 s5, 0
	s_add_co_ci_u32 s16, s11, s13
	s_mov_b64 s[10:11], 0xffffffff
	v_mul_u64_e32 v[10:11], s[16:17], v[6:7]
	s_and_b64 s[10:11], s[2:3], s[10:11]
	v_mul_u64_e32 v[12:13], s[16:17], v[8:9]
	v_mul_u64_e32 v[4:5], s[10:11], v[8:9]
	s_delay_alu instid0(VALU_DEP_3) | instskip(NEXT) | instid1(VALU_DEP_1)
	v_add_nc_u64_e32 v[10:11], v[14:15], v[10:11]
	v_add_co_u32 v3, vcc_lo, v10, v4
	s_delay_alu instid0(VALU_DEP_2) | instskip(SKIP_1) | instid1(VALU_DEP_1)
	v_add_co_ci_u32_e32 v14, vcc_lo, v11, v5, vcc_lo
	v_add_co_ci_u32_e32 v13, vcc_lo, 0, v13, vcc_lo
	v_add_nc_u64_e32 v[4:5], v[14:15], v[12:13]
	s_delay_alu instid0(VALU_DEP_1) | instskip(NEXT) | instid1(VALU_DEP_1)
	v_mul_u64_e32 v[10:11], s[8:9], v[4:5]
	v_sub_nc_u32_e32 v3, v8, v11
	s_delay_alu instid0(VALU_DEP_2) | instskip(NEXT) | instid1(VALU_DEP_1)
	v_sub_co_u32 v6, vcc_lo, v6, v10
	v_sub_co_ci_u32_e64 v10, null, v8, v11, vcc_lo
	s_delay_alu instid0(VALU_DEP_3) | instskip(NEXT) | instid1(VALU_DEP_3)
	v_subrev_co_ci_u32_e64 v3, null, s9, v3, vcc_lo
	v_sub_co_u32 v7, s2, v6, s8
	s_delay_alu instid0(VALU_DEP_1) | instskip(NEXT) | instid1(VALU_DEP_2)
	v_subrev_co_ci_u32_e64 v3, null, 0, v3, s2
	v_cmp_le_u32_e32 vcc_lo, s8, v7
	v_cndmask_b32_e64 v7, 0, -1, vcc_lo
	s_delay_alu instid0(VALU_DEP_3)
	v_cmp_le_u32_e32 vcc_lo, s9, v3
	v_cndmask_b32_e64 v8, 0, -1, vcc_lo
	v_cmp_le_u32_e32 vcc_lo, s8, v6
	v_cndmask_b32_e64 v11, 0, -1, vcc_lo
	v_cmp_le_u32_e32 vcc_lo, s9, v10
	v_cndmask_b32_e64 v12, 0, -1, vcc_lo
	v_cmp_eq_u32_e32 vcc_lo, s9, v3
	v_cndmask_b32_e32 v3, v8, v7, vcc_lo
	v_cmp_eq_u32_e32 vcc_lo, s9, v10
	v_add_nc_u64_e32 v[6:7], 2, v[4:5]
	v_add_nc_u64_e32 v[8:9], 1, v[4:5]
	v_cndmask_b32_e32 v10, v12, v11, vcc_lo
	v_cmp_ne_u32_e32 vcc_lo, 0, v3
	s_delay_alu instid0(VALU_DEP_2) | instskip(NEXT) | instid1(VALU_DEP_4)
	v_cmp_ne_u32_e64 s2, 0, v10
	v_dual_cndmask_b32 v3, v9, v7, vcc_lo :: v_dual_cndmask_b32 v7, v8, v6, vcc_lo
	s_delay_alu instid0(VALU_DEP_1) | instskip(NEXT) | instid1(VALU_DEP_1)
	v_dual_cndmask_b32 v4, v4, v7, s2 :: v_dual_bitop2_b32 v6, s4, v2 bitop3:0x14
	v_dual_cndmask_b32 v3, v5, v3, s2 :: v_dual_mov_b32 v7, v6
	s_delay_alu instid0(VALU_DEP_2) | instskip(NEXT) | instid1(VALU_DEP_2)
	v_xor_b32_e32 v4, v4, v6
	v_xor_b32_e32 v5, v3, v6
	s_delay_alu instid0(VALU_DEP_1)
	v_sub_nc_u64_e32 v[4:5], v[4:5], v[6:7]
.LBB69_3:
	s_and_not1_saveexec_b32 s2, s3
	s_cbranch_execz .LBB69_5
; %bb.4:
	v_cvt_f32_u32_e32 v3, s28
	s_sub_co_i32 s3, 0, s28
	s_delay_alu instid0(VALU_DEP_1) | instskip(SKIP_1) | instid1(TRANS32_DEP_1)
	v_rcp_iflag_f32_e32 v3, v3
	v_nop
	v_mul_f32_e32 v3, 0x4f7ffffe, v3
	s_delay_alu instid0(VALU_DEP_1) | instskip(NEXT) | instid1(VALU_DEP_1)
	v_cvt_u32_f32_e32 v3, v3
	v_mul_lo_u32 v4, s3, v3
	s_delay_alu instid0(VALU_DEP_1) | instskip(NEXT) | instid1(VALU_DEP_1)
	v_mul_hi_u32 v4, v3, v4
	v_add_nc_u32_e32 v3, v3, v4
	s_delay_alu instid0(VALU_DEP_1) | instskip(NEXT) | instid1(VALU_DEP_1)
	v_mul_hi_u32 v3, v0, v3
	v_mul_lo_u32 v4, v3, s28
	s_delay_alu instid0(VALU_DEP_1) | instskip(NEXT) | instid1(VALU_DEP_1)
	v_dual_add_nc_u32 v5, 1, v3 :: v_dual_sub_nc_u32 v4, v0, v4
	v_subrev_nc_u32_e32 v6, s28, v4
	v_cmp_le_u32_e32 vcc_lo, s28, v4
	s_delay_alu instid0(VALU_DEP_2) | instskip(NEXT) | instid1(VALU_DEP_1)
	v_dual_cndmask_b32 v4, v4, v6 :: v_dual_cndmask_b32 v3, v3, v5
	v_cmp_le_u32_e32 vcc_lo, s28, v4
	s_delay_alu instid0(VALU_DEP_2) | instskip(NEXT) | instid1(VALU_DEP_1)
	v_add_nc_u32_e32 v5, 1, v3
	v_dual_cndmask_b32 v4, v3, v5 :: v_dual_mov_b32 v5, 0
.LBB69_5:
	s_or_b32 exec_lo, exec_lo, s2
	s_delay_alu instid0(VALU_DEP_1) | instskip(SKIP_1) | instid1(VALU_DEP_1)
	v_dual_mov_b32 v8, 0 :: v_dual_bitop2_b32 v9, s7, v5 bitop3:0x54
                                        ; implicit-def: $vgpr6_vgpr7
	s_mov_b32 s2, exec_lo
	v_cmpx_ne_u64_e32 0, v[8:9]
	s_xor_b32 s3, exec_lo, s2
	s_cbranch_execz .LBB69_7
; %bb.6:
	s_ashr_i32 s4, s7, 31
	s_mov_b32 s15, 0
	s_mov_b32 s5, s4
	v_dual_mov_b32 v13, v8 :: v_dual_ashrrev_i32 v6, 31, v5
	s_add_nc_u64 s[8:9], s[6:7], s[4:5]
	v_mov_b32_e32 v15, v8
	s_xor_b64 s[4:5], s[8:9], s[4:5]
	s_delay_alu instid0(VALU_DEP_2)
	v_mov_b32_e32 v7, v6
	s_cvt_f32_u32 s2, s4
	s_cvt_f32_u32 s7, s5
	s_sub_nc_u64 s[10:11], 0, s[4:5]
	v_mov_b32_e32 v21, v8
	v_add_nc_u64_e32 v[10:11], v[4:5], v[6:7]
	s_fmamk_f32 s2, s7, 0x4f800000, s2
	v_mov_b32_e32 v9, v8
	s_delay_alu instid0(SALU_CYCLE_2) | instskip(NEXT) | instid1(VALU_DEP_2)
	v_s_rcp_f32 s2, s2
	v_xor_b32_e32 v12, v10, v6
	s_delay_alu instid0(VALU_DEP_3) | instskip(NEXT) | instid1(TRANS32_DEP_1)
	v_xor_b32_e32 v14, v11, v6
	s_mul_f32 s2, s2, 0x5f7ffffc
	s_delay_alu instid0(SALU_CYCLE_3) | instskip(NEXT) | instid1(SALU_CYCLE_3)
	s_mul_f32 s7, s2, 0x2f800000
	s_trunc_f32 s7, s7
	s_delay_alu instid0(SALU_CYCLE_3) | instskip(SKIP_1) | instid1(SALU_CYCLE_2)
	s_fmamk_f32 s2, s7, 0xcf800000, s2
	s_cvt_u32_f32 s9, s7
	s_cvt_u32_f32 s8, s2
	s_delay_alu instid0(SALU_CYCLE_3) | instskip(NEXT) | instid1(SALU_CYCLE_1)
	s_mul_u64 s[12:13], s[10:11], s[8:9]
	s_mul_hi_u32 s17, s8, s13
	s_mul_i32 s16, s8, s13
	s_mul_hi_u32 s14, s8, s12
	s_mul_i32 s7, s9, s12
	s_add_nc_u64 s[16:17], s[14:15], s[16:17]
	s_mul_hi_u32 s2, s9, s12
	s_mul_hi_u32 s18, s9, s13
	s_add_co_u32 s7, s16, s7
	s_add_co_ci_u32 s14, s17, s2
	s_mul_i32 s12, s9, s13
	s_add_co_ci_u32 s13, s18, 0
	s_delay_alu instid0(SALU_CYCLE_1) | instskip(NEXT) | instid1(SALU_CYCLE_1)
	s_add_nc_u64 s[12:13], s[14:15], s[12:13]
	s_add_co_u32 s8, s8, s12
	s_cselect_b32 s2, -1, 0
	s_delay_alu instid0(SALU_CYCLE_1) | instskip(SKIP_1) | instid1(SALU_CYCLE_1)
	s_cmp_lg_u32 s2, 0
	s_add_co_ci_u32 s9, s9, s13
	s_mul_u64 s[10:11], s[10:11], s[8:9]
	s_delay_alu instid0(SALU_CYCLE_1)
	s_mul_hi_u32 s13, s8, s11
	s_mul_i32 s12, s8, s11
	s_mul_hi_u32 s14, s8, s10
	s_mul_i32 s7, s9, s10
	s_add_nc_u64 s[12:13], s[14:15], s[12:13]
	s_mul_hi_u32 s2, s9, s10
	s_mul_hi_u32 s16, s9, s11
	s_add_co_u32 s7, s12, s7
	s_add_co_ci_u32 s14, s13, s2
	s_mul_i32 s10, s9, s11
	s_add_co_ci_u32 s11, s16, 0
	s_delay_alu instid0(SALU_CYCLE_1) | instskip(NEXT) | instid1(SALU_CYCLE_1)
	s_add_nc_u64 s[10:11], s[14:15], s[10:11]
	s_add_co_u32 s2, s8, s10
	s_cselect_b32 s7, -1, 0
	v_mul_hi_u32 v20, v12, s2
	s_cmp_lg_u32 s7, 0
	s_add_co_ci_u32 s14, s9, s11
	s_mov_b64 s[8:9], 0xffffffff
	v_mul_u64_e32 v[16:17], s[14:15], v[12:13]
	s_and_b64 s[8:9], s[2:3], s[8:9]
	v_mul_u64_e32 v[18:19], s[14:15], v[14:15]
	v_mul_u64_e32 v[10:11], s[8:9], v[14:15]
	s_delay_alu instid0(VALU_DEP_3) | instskip(NEXT) | instid1(VALU_DEP_1)
	v_add_nc_u64_e32 v[16:17], v[20:21], v[16:17]
	v_add_co_u32 v3, vcc_lo, v16, v10
	s_delay_alu instid0(VALU_DEP_2) | instskip(SKIP_1) | instid1(VALU_DEP_1)
	v_add_co_ci_u32_e32 v8, vcc_lo, v17, v11, vcc_lo
	v_add_co_ci_u32_e32 v19, vcc_lo, 0, v19, vcc_lo
	v_add_nc_u64_e32 v[8:9], v[8:9], v[18:19]
	s_delay_alu instid0(VALU_DEP_1) | instskip(NEXT) | instid1(VALU_DEP_1)
	v_mul_u64_e32 v[8:9], s[4:5], v[8:9]
	v_sub_co_u32 v8, vcc_lo, v12, v8
	s_delay_alu instid0(VALU_DEP_1) | instskip(NEXT) | instid1(VALU_DEP_1)
	v_cmp_le_u32_e64 s2, s4, v8
	v_cndmask_b32_e64 v12, 0, -1, s2
	s_delay_alu instid0(VALU_DEP_4) | instskip(SKIP_1) | instid1(VALU_DEP_2)
	v_sub_nc_u32_e32 v3, v14, v9
	v_sub_co_ci_u32_e64 v9, null, v14, v9, vcc_lo
	v_subrev_co_ci_u32_e64 v3, null, s5, v3, vcc_lo
	v_sub_co_u32 v10, vcc_lo, v8, s4
	s_delay_alu instid0(VALU_DEP_1) | instskip(NEXT) | instid1(VALU_DEP_2)
	v_subrev_co_ci_u32_e64 v11, null, 0, v3, vcc_lo
	v_cmp_le_u32_e64 s2, s4, v10
	v_subrev_co_ci_u32_e64 v3, null, s5, v3, vcc_lo
	v_cmp_le_u32_e32 vcc_lo, s5, v9
	s_delay_alu instid0(VALU_DEP_3) | instskip(SKIP_3) | instid1(VALU_DEP_3)
	v_cndmask_b32_e64 v13, 0, -1, s2
	v_cmp_le_u32_e64 s2, s5, v11
	v_cndmask_b32_e64 v15, 0, -1, vcc_lo
	v_cmp_eq_u32_e32 vcc_lo, s5, v11
	v_cndmask_b32_e64 v14, 0, -1, s2
	v_cmp_eq_u32_e64 s2, s5, v9
	s_delay_alu instid0(VALU_DEP_2) | instskip(SKIP_1) | instid1(VALU_DEP_1)
	v_cndmask_b32_e32 v13, v14, v13, vcc_lo
	v_sub_co_u32 v14, vcc_lo, v10, s4
	v_subrev_co_ci_u32_e64 v3, null, 0, v3, vcc_lo
	s_delay_alu instid0(VALU_DEP_3) | instskip(SKIP_1) | instid1(VALU_DEP_3)
	v_cmp_ne_u32_e32 vcc_lo, 0, v13
	v_cndmask_b32_e64 v12, v15, v12, s2
	v_dual_cndmask_b32 v3, v11, v3 :: v_dual_cndmask_b32 v10, v10, v14
	s_delay_alu instid0(VALU_DEP_2) | instskip(NEXT) | instid1(VALU_DEP_2)
	v_cmp_ne_u32_e32 vcc_lo, 0, v12
	v_dual_cndmask_b32 v3, v9, v3 :: v_dual_cndmask_b32 v8, v8, v10
	s_delay_alu instid0(VALU_DEP_1) | instskip(NEXT) | instid1(VALU_DEP_2)
	v_xor_b32_e32 v9, v3, v6
	v_xor_b32_e32 v8, v8, v6
	s_delay_alu instid0(VALU_DEP_1)
	v_sub_nc_u64_e32 v[6:7], v[8:9], v[6:7]
.LBB69_7:
	s_or_saveexec_b32 s2, s3
	s_clause 0x1
	s_load_b64 s[34:35], s[0:1], 0xa8
	s_load_b256 s[20:27], s[0:1], 0x88
	s_xor_b32 exec_lo, exec_lo, s2
	s_cbranch_execz .LBB69_9
; %bb.8:
	v_cvt_f32_u32_e32 v3, s6
	s_sub_co_i32 s3, 0, s6
	v_mov_b32_e32 v7, 0
	s_delay_alu instid0(VALU_DEP_2) | instskip(SKIP_1) | instid1(TRANS32_DEP_1)
	v_rcp_iflag_f32_e32 v3, v3
	v_nop
	v_mul_f32_e32 v3, 0x4f7ffffe, v3
	s_delay_alu instid0(VALU_DEP_1) | instskip(NEXT) | instid1(VALU_DEP_1)
	v_cvt_u32_f32_e32 v3, v3
	v_mul_lo_u32 v6, s3, v3
	s_delay_alu instid0(VALU_DEP_1) | instskip(NEXT) | instid1(VALU_DEP_1)
	v_mul_hi_u32 v6, v3, v6
	v_add_nc_u32_e32 v3, v3, v6
	s_delay_alu instid0(VALU_DEP_1) | instskip(NEXT) | instid1(VALU_DEP_1)
	v_mul_hi_u32 v3, v4, v3
	v_mul_lo_u32 v3, v3, s6
	s_delay_alu instid0(VALU_DEP_1) | instskip(NEXT) | instid1(VALU_DEP_1)
	v_sub_nc_u32_e32 v3, v4, v3
	v_subrev_nc_u32_e32 v6, s6, v3
	v_cmp_le_u32_e32 vcc_lo, s6, v3
	s_delay_alu instid0(VALU_DEP_2) | instskip(NEXT) | instid1(VALU_DEP_1)
	v_cndmask_b32_e32 v3, v3, v6, vcc_lo
	v_subrev_nc_u32_e32 v6, s6, v3
	v_cmp_le_u32_e32 vcc_lo, s6, v3
	s_delay_alu instid0(VALU_DEP_2)
	v_cndmask_b32_e32 v6, v3, v6, vcc_lo
.LBB69_9:
	s_or_b32 exec_lo, exec_lo, s2
	v_dual_mov_b32 v10, 0 :: v_dual_bitop2_b32 v11, s31, v1 bitop3:0x54
                                        ; implicit-def: $vgpr8_vgpr9
	s_mov_b32 s2, exec_lo
	s_delay_alu instid0(VALU_DEP_1)
	v_cmpx_ne_u64_e32 0, v[10:11]
	s_xor_b32 s3, exec_lo, s2
	s_cbranch_execz .LBB69_11
; %bb.10:
	s_ashr_i32 s4, s31, 31
	s_mov_b32 s15, 0
	s_mov_b32 s5, s4
	v_dual_mov_b32 v3, v2 :: v_dual_mov_b32 v13, v10
	s_add_nc_u64 s[6:7], s[30:31], s[4:5]
	v_mov_b32_e32 v11, v10
	s_xor_b64 s[6:7], s[6:7], s[4:5]
	s_delay_alu instid0(VALU_DEP_2) | instskip(SKIP_4) | instid1(SALU_CYCLE_1)
	v_add_nc_u64_e32 v[8:9], v[0:1], v[2:3]
	s_cvt_f32_u32 s2, s6
	s_cvt_f32_u32 s5, s7
	s_sub_nc_u64 s[10:11], 0, s[6:7]
	v_dual_mov_b32 v15, v10 :: v_dual_mov_b32 v21, v10
	s_fmamk_f32 s2, s5, 0x4f800000, s2
	s_delay_alu instid0(VALU_DEP_2) | instskip(SKIP_3) | instid1(TRANS32_DEP_1)
	v_xor_b32_e32 v12, v8, v2
	v_xor_b32_e32 v14, v9, v2
	;; [unrolled: 1-line block ×3, first 2 shown]
	v_s_rcp_f32 s2, s2
	s_mul_f32 s2, s2, 0x5f7ffffc
	s_delay_alu instid0(SALU_CYCLE_3) | instskip(NEXT) | instid1(SALU_CYCLE_3)
	s_mul_f32 s5, s2, 0x2f800000
	s_trunc_f32 s5, s5
	s_delay_alu instid0(SALU_CYCLE_3) | instskip(SKIP_1) | instid1(SALU_CYCLE_2)
	s_fmamk_f32 s2, s5, 0xcf800000, s2
	s_cvt_u32_f32 s9, s5
	s_cvt_u32_f32 s8, s2
	s_delay_alu instid0(SALU_CYCLE_3) | instskip(NEXT) | instid1(SALU_CYCLE_1)
	s_mul_u64 s[12:13], s[10:11], s[8:9]
	s_mul_hi_u32 s17, s8, s13
	s_mul_i32 s16, s8, s13
	s_mul_hi_u32 s14, s8, s12
	s_mul_i32 s5, s9, s12
	s_add_nc_u64 s[16:17], s[14:15], s[16:17]
	s_mul_hi_u32 s2, s9, s12
	s_mul_hi_u32 s18, s9, s13
	s_add_co_u32 s5, s16, s5
	s_add_co_ci_u32 s14, s17, s2
	s_mul_i32 s12, s9, s13
	s_add_co_ci_u32 s13, s18, 0
	s_delay_alu instid0(SALU_CYCLE_1) | instskip(NEXT) | instid1(SALU_CYCLE_1)
	s_add_nc_u64 s[12:13], s[14:15], s[12:13]
	s_add_co_u32 s8, s8, s12
	s_cselect_b32 s2, -1, 0
	s_delay_alu instid0(SALU_CYCLE_1) | instskip(SKIP_1) | instid1(SALU_CYCLE_1)
	s_cmp_lg_u32 s2, 0
	s_add_co_ci_u32 s9, s9, s13
	s_mul_u64 s[10:11], s[10:11], s[8:9]
	s_delay_alu instid0(SALU_CYCLE_1)
	s_mul_hi_u32 s13, s8, s11
	s_mul_i32 s12, s8, s11
	s_mul_hi_u32 s14, s8, s10
	s_mul_i32 s5, s9, s10
	s_add_nc_u64 s[12:13], s[14:15], s[12:13]
	s_mul_hi_u32 s2, s9, s10
	s_mul_hi_u32 s16, s9, s11
	s_add_co_u32 s5, s12, s5
	s_add_co_ci_u32 s14, s13, s2
	s_mul_i32 s10, s9, s11
	s_add_co_ci_u32 s11, s16, 0
	s_delay_alu instid0(SALU_CYCLE_1) | instskip(NEXT) | instid1(SALU_CYCLE_1)
	s_add_nc_u64 s[10:11], s[14:15], s[10:11]
	s_add_co_u32 s2, s8, s10
	s_cselect_b32 s5, -1, 0
	v_nop
	v_mul_hi_u32 v20, v12, s2
	s_cmp_lg_u32 s5, 0
	s_add_co_ci_u32 s14, s9, s11
	s_mov_b64 s[8:9], 0xffffffff
	v_mul_u64_e32 v[16:17], s[14:15], v[12:13]
	s_and_b64 s[8:9], s[2:3], s[8:9]
	v_mul_u64_e32 v[18:19], s[14:15], v[14:15]
	v_mul_u64_e32 v[8:9], s[8:9], v[14:15]
	s_delay_alu instid0(VALU_DEP_3) | instskip(NEXT) | instid1(VALU_DEP_1)
	v_add_nc_u64_e32 v[16:17], v[20:21], v[16:17]
	v_add_co_u32 v3, vcc_lo, v16, v8
	s_delay_alu instid0(VALU_DEP_2) | instskip(SKIP_1) | instid1(VALU_DEP_1)
	v_add_co_ci_u32_e32 v10, vcc_lo, v17, v9, vcc_lo
	v_add_co_ci_u32_e32 v19, vcc_lo, 0, v19, vcc_lo
	v_add_nc_u64_e32 v[8:9], v[10:11], v[18:19]
	s_delay_alu instid0(VALU_DEP_1) | instskip(NEXT) | instid1(VALU_DEP_1)
	v_mul_u64_e32 v[10:11], s[6:7], v[8:9]
	v_sub_nc_u32_e32 v3, v14, v11
	s_delay_alu instid0(VALU_DEP_2) | instskip(NEXT) | instid1(VALU_DEP_1)
	v_sub_co_u32 v10, vcc_lo, v12, v10
	v_sub_co_ci_u32_e64 v14, null, v14, v11, vcc_lo
	s_delay_alu instid0(VALU_DEP_3) | instskip(NEXT) | instid1(VALU_DEP_3)
	v_subrev_co_ci_u32_e64 v3, null, s7, v3, vcc_lo
	v_sub_co_u32 v12, s2, v10, s6
	s_delay_alu instid0(VALU_DEP_1) | instskip(NEXT) | instid1(VALU_DEP_2)
	v_subrev_co_ci_u32_e64 v3, null, 0, v3, s2
	v_cmp_le_u32_e32 vcc_lo, s6, v12
	v_cndmask_b32_e64 v11, 0, -1, vcc_lo
	s_delay_alu instid0(VALU_DEP_3)
	v_cmp_le_u32_e32 vcc_lo, s7, v3
	v_cndmask_b32_e64 v12, 0, -1, vcc_lo
	v_cmp_le_u32_e32 vcc_lo, s6, v10
	v_cndmask_b32_e64 v15, 0, -1, vcc_lo
	;; [unrolled: 2-line block ×3, first 2 shown]
	v_cmp_eq_u32_e32 vcc_lo, s7, v3
	v_cndmask_b32_e32 v3, v12, v11, vcc_lo
	v_cmp_eq_u32_e32 vcc_lo, s7, v14
	v_add_nc_u64_e32 v[10:11], 2, v[8:9]
	v_add_nc_u64_e32 v[12:13], 1, v[8:9]
	v_cndmask_b32_e32 v14, v16, v15, vcc_lo
	v_cmp_ne_u32_e32 vcc_lo, 0, v3
	s_delay_alu instid0(VALU_DEP_2) | instskip(NEXT) | instid1(VALU_DEP_4)
	v_cmp_ne_u32_e64 s2, 0, v14
	v_dual_cndmask_b32 v10, v12, v10 :: v_dual_cndmask_b32 v3, v13, v11
	s_delay_alu instid0(VALU_DEP_1) | instskip(NEXT) | instid1(VALU_DEP_1)
	v_dual_cndmask_b32 v8, v8, v10, s2 :: v_dual_cndmask_b32 v9, v9, v3, s2
	v_dual_mov_b32 v3, v2 :: v_dual_bitop2_b32 v8, v8, v2 bitop3:0x14
	s_delay_alu instid0(VALU_DEP_2) | instskip(NEXT) | instid1(VALU_DEP_1)
	v_xor_b32_e32 v9, v9, v2
	v_sub_nc_u64_e32 v[8:9], v[8:9], v[2:3]
.LBB69_11:
	s_or_saveexec_b32 s31, s3
	s_clause 0x2
	s_load_b64 s[44:45], s[0:1], 0x58
	s_load_b64 s[2:3], s[0:1], 0x0
	s_load_b512 s[4:19], s[0:1], 0x18
	s_xor_b32 exec_lo, exec_lo, s31
	s_cbranch_execz .LBB69_13
; %bb.12:
	v_cvt_f32_u32_e32 v2, s30
	s_sub_co_i32 s36, 0, s30
	s_delay_alu instid0(VALU_DEP_1) | instskip(SKIP_1) | instid1(TRANS32_DEP_1)
	v_rcp_iflag_f32_e32 v2, v2
	v_nop
	v_mul_f32_e32 v2, 0x4f7ffffe, v2
	s_delay_alu instid0(VALU_DEP_1) | instskip(NEXT) | instid1(VALU_DEP_1)
	v_cvt_u32_f32_e32 v2, v2
	v_mul_lo_u32 v3, s36, v2
	s_delay_alu instid0(VALU_DEP_1) | instskip(NEXT) | instid1(VALU_DEP_1)
	v_mul_hi_u32 v3, v2, v3
	v_add_nc_u32_e32 v2, v2, v3
	s_delay_alu instid0(VALU_DEP_1) | instskip(NEXT) | instid1(VALU_DEP_1)
	v_mul_hi_u32 v2, v0, v2
	v_mul_lo_u32 v3, v2, s30
	s_delay_alu instid0(VALU_DEP_1) | instskip(NEXT) | instid1(VALU_DEP_1)
	v_dual_add_nc_u32 v8, 1, v2 :: v_dual_sub_nc_u32 v3, v0, v3
	v_subrev_nc_u32_e32 v9, s30, v3
	v_cmp_le_u32_e32 vcc_lo, s30, v3
	s_delay_alu instid0(VALU_DEP_2) | instskip(NEXT) | instid1(VALU_DEP_4)
	v_dual_cndmask_b32 v3, v3, v9, vcc_lo :: v_dual_mov_b32 v9, 0
	v_cndmask_b32_e32 v2, v2, v8, vcc_lo
	s_delay_alu instid0(VALU_DEP_2) | instskip(NEXT) | instid1(VALU_DEP_2)
	v_cmp_le_u32_e32 vcc_lo, s30, v3
	v_add_nc_u32_e32 v8, 1, v2
	s_delay_alu instid0(VALU_DEP_1)
	v_cndmask_b32_e32 v8, v2, v8, vcc_lo
.LBB69_13:
	s_or_b32 exec_lo, exec_lo, s31
	v_mul_u64_e32 v[2:3], s[28:29], v[4:5]
	s_clause 0x1
	s_load_b256 s[36:43], s[0:1], 0xb0
	s_load_b64 s[28:29], s[0:1], 0xd0
	s_wait_kmcnt 0x0
	v_mul_u64_e32 v[4:5], s[24:25], v[8:9]
	s_bfe_u32 s46, ttmp6, 0x40014
	s_lshr_b32 s47, ttmp7, 16
	s_add_co_i32 s46, s46, 1
	s_lshl_b64 s[0:1], s[36:37], 1
	s_lshl_b64 s[24:25], s[38:39], 1
	;; [unrolled: 1-line block ×3, first 2 shown]
	v_max_i64 v[12:13], s[36:37], 0
	v_sub_nc_u64_e64 v[28:29], v[8:9], s[40:41]
	v_sub_nc_u64_e64 v[30:31], v[6:7], s[38:39]
	s_delay_alu instid0(VALU_DEP_2)
	v_sub_nc_u64_e32 v[32:33], 0, v[28:29]
	v_sub_nc_u64_e32 v[0:1], v[0:1], v[2:3]
	v_mul_u64_e32 v[2:3], s[26:27], v[6:7]
	s_bfe_u32 s27, ttmp6, 0x40010
	s_mul_i32 s26, s47, s46
	s_and_b32 s46, ttmp7, 0xffff
	s_add_co_i32 s27, s27, 1
	v_max_i64 v[28:29], v[28:29], v[32:33]
	v_mul_u64_e32 v[10:11], s[34:35], v[0:1]
	s_bfe_u32 s34, ttmp6, 0x40008
	s_mul_i32 s27, s46, s27
	s_bfe_u32 s35, ttmp6, 0x40004
	s_add_co_i32 s34, s34, s26
	s_add_co_i32 s26, s35, s27
	s_cmp_eq_u32 s33, 0
	s_mov_b32 s27, 0
	s_cselect_b32 s34, s47, s34
	s_mov_b32 s35, s27
	s_cselect_b32 s26, s46, s26
	s_add_nc_u64 s[28:29], s[28:29], s[34:35]
	s_add_nc_u64 s[26:27], s[42:43], s[26:27]
	s_mul_u64 s[20:21], s[20:21], s[28:29]
	s_mul_u64 s[22:23], s[22:23], s[26:27]
	s_lshl_b64 s[20:21], s[20:21], 2
	s_lshl_b64 s[22:23], s[22:23], 2
	s_add_nc_u64 s[20:21], s[44:45], s[20:21]
	s_sub_nc_u64 s[34:35], 0, s[40:41]
	s_add_nc_u64 s[20:21], s[20:21], s[22:23]
	v_max_i64 v[20:21], s[34:35], 0
	v_lshl_add_u64 v[4:5], v[4:5], 2, s[20:21]
	s_sub_nc_u64 s[20:21], 0, s[36:37]
	s_sub_nc_u64 s[22:23], 0, s[38:39]
	v_not_b32_e32 v12, v12
	v_max_i64 v[16:17], s[22:23], 0
	v_lshl_add_u64 v[2:3], v[2:3], 2, v[4:5]
	v_max_i64 v[4:5], s[20:21], 0
	s_add_nc_u64 s[20:21], s[40:41], s[4:5]
	v_not_b32_e32 v13, v13
	v_sub_nc_u64_e64 v[14:15], v[8:9], s[20:21]
	s_add_nc_u64 s[20:21], s[38:39], s[6:7]
	v_lshl_add_u64 v[2:3], v[10:11], 2, v[2:3]
	v_max_i64 v[10:11], s[38:39], 0
	v_sub_nc_u64_e64 v[18:19], v[6:7], s[20:21]
	s_add_nc_u64 s[20:21], s[36:37], s[8:9]
	v_add_nc_u64_e32 v[12:13], s[0:1], v[12:13]
	global_load_b32 v36, v[2:3], off
	s_wait_xcnt 0x0
	v_max_i64 v[2:3], s[40:41], 0
	v_add_nc_u64_e32 v[24:25], 1, v[14:15]
	v_not_b32_e32 v15, v15
	v_not_b32_e32 v14, v14
	v_sub_nc_u64_e64 v[22:23], v[0:1], s[20:21]
	v_add_nc_u64_e32 v[26:27], 1, v[18:19]
	v_not_b32_e32 v19, v19
	v_not_b32_e32 v18, v18
	v_max_i64 v[14:15], v[24:25], v[14:15]
	s_mul_u64 s[0:1], s[10:11], s[28:29]
	v_add_nc_u64_e32 v[24:25], 1, v[22:23]
	v_not_b32_e32 v23, v23
	v_not_b32_e32 v22, v22
	v_max_i64 v[18:19], v[26:27], v[18:19]
	v_sub_nc_u64_e64 v[26:27], v[0:1], s[36:37]
	s_lshl_b64 s[0:1], s[0:1], 2
	s_delay_alu instid0(VALU_DEP_3) | instskip(SKIP_3) | instid1(VALU_DEP_4)
	v_max_i64 v[22:23], v[24:25], v[22:23]
	v_sub_nc_u64_e32 v[24:25], 0, v[30:31]
	s_add_nc_u64 s[0:1], s[2:3], s[0:1]
	v_add_nc_u64_e32 v[4:5], v[12:13], v[4:5]
	v_sub_nc_u64_e32 v[34:35], 0, v[26:27]
	s_delay_alu instid0(VALU_DEP_3) | instskip(SKIP_2) | instid1(VALU_DEP_4)
	v_max_i64 v[24:25], v[30:31], v[24:25]
	v_not_b32_e32 v10, v10
	v_not_b32_e32 v11, v11
	v_max_i64 v[26:27], v[26:27], v[34:35]
	v_add_nc_u64_e32 v[4:5], s[8:9], v[4:5]
	v_not_b32_e32 v2, v2
	v_not_b32_e32 v3, v3
	v_add_nc_u64_e32 v[10:11], s[24:25], v[10:11]
	s_delay_alu instid0(VALU_DEP_2) | instskip(SKIP_1) | instid1(VALU_DEP_3)
	v_add_nc_u64_e32 v[2:3], s[30:31], v[2:3]
	v_add_nc_u64_e32 v[8:9], v[8:9], v[14:15]
	;; [unrolled: 1-line block ×3, first 2 shown]
	s_delay_alu instid0(VALU_DEP_3) | instskip(SKIP_1) | instid1(VALU_DEP_3)
	v_add_nc_u64_e32 v[2:3], v[2:3], v[20:21]
	v_add_nc_u64_e32 v[6:7], v[6:7], v[18:19]
	;; [unrolled: 1-line block ×4, first 2 shown]
	s_delay_alu instid0(VALU_DEP_4) | instskip(SKIP_1) | instid1(VALU_DEP_3)
	v_add_nc_u64_e32 v[2:3], s[4:5], v[2:3]
	s_mul_u64 s[4:5], s[12:13], s[26:27]
	v_sub_nc_u64_e32 v[6:7], v[10:11], v[6:7]
	s_lshl_b64 s[2:3], s[4:5], 2
	s_delay_alu instid0(VALU_DEP_3) | instskip(SKIP_1) | instid1(VALU_DEP_3)
	v_sub_nc_u64_e32 v[0:1], v[4:5], v[0:1]
	s_add_nc_u64 s[0:1], s[0:1], s[2:3]
	v_sub_nc_u64_e32 v[2:3], v[2:3], v[8:9]
	s_delay_alu instid0(VALU_DEP_3) | instskip(NEXT) | instid1(VALU_DEP_3)
	v_add_nc_u64_e32 v[4:5], v[6:7], v[24:25]
	v_add_nc_u64_e32 v[0:1], v[0:1], v[26:27]
	s_delay_alu instid0(VALU_DEP_3) | instskip(NEXT) | instid1(VALU_DEP_3)
	v_add_nc_u64_e32 v[2:3], v[2:3], v[28:29]
	v_mul_u64_e32 v[4:5], s[16:17], v[4:5]
	s_delay_alu instid0(VALU_DEP_3) | instskip(NEXT) | instid1(VALU_DEP_3)
	v_mul_u64_e32 v[0:1], s[18:19], v[0:1]
	v_mul_u64_e32 v[2:3], s[14:15], v[2:3]
	s_delay_alu instid0(VALU_DEP_1) | instskip(NEXT) | instid1(VALU_DEP_1)
	v_lshl_add_u64 v[2:3], v[2:3], 2, s[0:1]
	v_lshl_add_u64 v[2:3], v[4:5], 2, v[2:3]
	s_delay_alu instid0(VALU_DEP_1)
	v_lshl_add_u64 v[0:1], v[0:1], 2, v[2:3]
	s_wait_loadcnt 0x0
	global_atomic_add_f32 v[0:1], v36, off scope:SCOPE_DEV
.LBB69_14:
	s_endpgm
	.section	.rodata,"a",@progbits
	.p2align	6, 0x0
	.amdhsa_kernel _ZN2at6native12_GLOBAL__N_136reflection_pad3d_backward_out_kernelIfEEvN5torch10headeronly6detail27GenericPackedTensorAccessorINS5_14TensorAccessorIN3c108ArrayRefIlEET_Lm4ENS4_16DefaultPtrTraitsElEENS_6detail16IndexBoundsCheckILm5ElEESB_Lm5ESC_lEENS6_INS7_ISA_KSB_Lm4ESC_lEESG_SI_Lm5ESC_lEElllll
		.amdhsa_group_segment_fixed_size 0
		.amdhsa_private_segment_fixed_size 0
		.amdhsa_kernarg_size 472
		.amdhsa_user_sgpr_count 2
		.amdhsa_user_sgpr_dispatch_ptr 0
		.amdhsa_user_sgpr_queue_ptr 0
		.amdhsa_user_sgpr_kernarg_segment_ptr 1
		.amdhsa_user_sgpr_dispatch_id 0
		.amdhsa_user_sgpr_kernarg_preload_length 0
		.amdhsa_user_sgpr_kernarg_preload_offset 0
		.amdhsa_user_sgpr_private_segment_size 0
		.amdhsa_wavefront_size32 1
		.amdhsa_uses_dynamic_stack 0
		.amdhsa_enable_private_segment 0
		.amdhsa_system_sgpr_workgroup_id_x 1
		.amdhsa_system_sgpr_workgroup_id_y 1
		.amdhsa_system_sgpr_workgroup_id_z 1
		.amdhsa_system_sgpr_workgroup_info 0
		.amdhsa_system_vgpr_workitem_id 0
		.amdhsa_next_free_vgpr 37
		.amdhsa_next_free_sgpr 48
		.amdhsa_named_barrier_count 0
		.amdhsa_reserve_vcc 1
		.amdhsa_float_round_mode_32 0
		.amdhsa_float_round_mode_16_64 0
		.amdhsa_float_denorm_mode_32 3
		.amdhsa_float_denorm_mode_16_64 3
		.amdhsa_fp16_overflow 0
		.amdhsa_memory_ordered 1
		.amdhsa_forward_progress 1
		.amdhsa_inst_pref_size 25
		.amdhsa_round_robin_scheduling 0
		.amdhsa_exception_fp_ieee_invalid_op 0
		.amdhsa_exception_fp_denorm_src 0
		.amdhsa_exception_fp_ieee_div_zero 0
		.amdhsa_exception_fp_ieee_overflow 0
		.amdhsa_exception_fp_ieee_underflow 0
		.amdhsa_exception_fp_ieee_inexact 0
		.amdhsa_exception_int_div_zero 0
	.end_amdhsa_kernel
	.section	.text._ZN2at6native12_GLOBAL__N_136reflection_pad3d_backward_out_kernelIfEEvN5torch10headeronly6detail27GenericPackedTensorAccessorINS5_14TensorAccessorIN3c108ArrayRefIlEET_Lm4ENS4_16DefaultPtrTraitsElEENS_6detail16IndexBoundsCheckILm5ElEESB_Lm5ESC_lEENS6_INS7_ISA_KSB_Lm4ESC_lEESG_SI_Lm5ESC_lEElllll,"axG",@progbits,_ZN2at6native12_GLOBAL__N_136reflection_pad3d_backward_out_kernelIfEEvN5torch10headeronly6detail27GenericPackedTensorAccessorINS5_14TensorAccessorIN3c108ArrayRefIlEET_Lm4ENS4_16DefaultPtrTraitsElEENS_6detail16IndexBoundsCheckILm5ElEESB_Lm5ESC_lEENS6_INS7_ISA_KSB_Lm4ESC_lEESG_SI_Lm5ESC_lEElllll,comdat
.Lfunc_end69:
	.size	_ZN2at6native12_GLOBAL__N_136reflection_pad3d_backward_out_kernelIfEEvN5torch10headeronly6detail27GenericPackedTensorAccessorINS5_14TensorAccessorIN3c108ArrayRefIlEET_Lm4ENS4_16DefaultPtrTraitsElEENS_6detail16IndexBoundsCheckILm5ElEESB_Lm5ESC_lEENS6_INS7_ISA_KSB_Lm4ESC_lEESG_SI_Lm5ESC_lEElllll, .Lfunc_end69-_ZN2at6native12_GLOBAL__N_136reflection_pad3d_backward_out_kernelIfEEvN5torch10headeronly6detail27GenericPackedTensorAccessorINS5_14TensorAccessorIN3c108ArrayRefIlEET_Lm4ENS4_16DefaultPtrTraitsElEENS_6detail16IndexBoundsCheckILm5ElEESB_Lm5ESC_lEENS6_INS7_ISA_KSB_Lm4ESC_lEESG_SI_Lm5ESC_lEElllll
                                        ; -- End function
	.set _ZN2at6native12_GLOBAL__N_136reflection_pad3d_backward_out_kernelIfEEvN5torch10headeronly6detail27GenericPackedTensorAccessorINS5_14TensorAccessorIN3c108ArrayRefIlEET_Lm4ENS4_16DefaultPtrTraitsElEENS_6detail16IndexBoundsCheckILm5ElEESB_Lm5ESC_lEENS6_INS7_ISA_KSB_Lm4ESC_lEESG_SI_Lm5ESC_lEElllll.num_vgpr, 37
	.set _ZN2at6native12_GLOBAL__N_136reflection_pad3d_backward_out_kernelIfEEvN5torch10headeronly6detail27GenericPackedTensorAccessorINS5_14TensorAccessorIN3c108ArrayRefIlEET_Lm4ENS4_16DefaultPtrTraitsElEENS_6detail16IndexBoundsCheckILm5ElEESB_Lm5ESC_lEENS6_INS7_ISA_KSB_Lm4ESC_lEESG_SI_Lm5ESC_lEElllll.num_agpr, 0
	.set _ZN2at6native12_GLOBAL__N_136reflection_pad3d_backward_out_kernelIfEEvN5torch10headeronly6detail27GenericPackedTensorAccessorINS5_14TensorAccessorIN3c108ArrayRefIlEET_Lm4ENS4_16DefaultPtrTraitsElEENS_6detail16IndexBoundsCheckILm5ElEESB_Lm5ESC_lEENS6_INS7_ISA_KSB_Lm4ESC_lEESG_SI_Lm5ESC_lEElllll.numbered_sgpr, 48
	.set _ZN2at6native12_GLOBAL__N_136reflection_pad3d_backward_out_kernelIfEEvN5torch10headeronly6detail27GenericPackedTensorAccessorINS5_14TensorAccessorIN3c108ArrayRefIlEET_Lm4ENS4_16DefaultPtrTraitsElEENS_6detail16IndexBoundsCheckILm5ElEESB_Lm5ESC_lEENS6_INS7_ISA_KSB_Lm4ESC_lEESG_SI_Lm5ESC_lEElllll.num_named_barrier, 0
	.set _ZN2at6native12_GLOBAL__N_136reflection_pad3d_backward_out_kernelIfEEvN5torch10headeronly6detail27GenericPackedTensorAccessorINS5_14TensorAccessorIN3c108ArrayRefIlEET_Lm4ENS4_16DefaultPtrTraitsElEENS_6detail16IndexBoundsCheckILm5ElEESB_Lm5ESC_lEENS6_INS7_ISA_KSB_Lm4ESC_lEESG_SI_Lm5ESC_lEElllll.private_seg_size, 0
	.set _ZN2at6native12_GLOBAL__N_136reflection_pad3d_backward_out_kernelIfEEvN5torch10headeronly6detail27GenericPackedTensorAccessorINS5_14TensorAccessorIN3c108ArrayRefIlEET_Lm4ENS4_16DefaultPtrTraitsElEENS_6detail16IndexBoundsCheckILm5ElEESB_Lm5ESC_lEENS6_INS7_ISA_KSB_Lm4ESC_lEESG_SI_Lm5ESC_lEElllll.uses_vcc, 1
	.set _ZN2at6native12_GLOBAL__N_136reflection_pad3d_backward_out_kernelIfEEvN5torch10headeronly6detail27GenericPackedTensorAccessorINS5_14TensorAccessorIN3c108ArrayRefIlEET_Lm4ENS4_16DefaultPtrTraitsElEENS_6detail16IndexBoundsCheckILm5ElEESB_Lm5ESC_lEENS6_INS7_ISA_KSB_Lm4ESC_lEESG_SI_Lm5ESC_lEElllll.uses_flat_scratch, 0
	.set _ZN2at6native12_GLOBAL__N_136reflection_pad3d_backward_out_kernelIfEEvN5torch10headeronly6detail27GenericPackedTensorAccessorINS5_14TensorAccessorIN3c108ArrayRefIlEET_Lm4ENS4_16DefaultPtrTraitsElEENS_6detail16IndexBoundsCheckILm5ElEESB_Lm5ESC_lEENS6_INS7_ISA_KSB_Lm4ESC_lEESG_SI_Lm5ESC_lEElllll.has_dyn_sized_stack, 0
	.set _ZN2at6native12_GLOBAL__N_136reflection_pad3d_backward_out_kernelIfEEvN5torch10headeronly6detail27GenericPackedTensorAccessorINS5_14TensorAccessorIN3c108ArrayRefIlEET_Lm4ENS4_16DefaultPtrTraitsElEENS_6detail16IndexBoundsCheckILm5ElEESB_Lm5ESC_lEENS6_INS7_ISA_KSB_Lm4ESC_lEESG_SI_Lm5ESC_lEElllll.has_recursion, 0
	.set _ZN2at6native12_GLOBAL__N_136reflection_pad3d_backward_out_kernelIfEEvN5torch10headeronly6detail27GenericPackedTensorAccessorINS5_14TensorAccessorIN3c108ArrayRefIlEET_Lm4ENS4_16DefaultPtrTraitsElEENS_6detail16IndexBoundsCheckILm5ElEESB_Lm5ESC_lEENS6_INS7_ISA_KSB_Lm4ESC_lEESG_SI_Lm5ESC_lEElllll.has_indirect_call, 0
	.section	.AMDGPU.csdata,"",@progbits
; Kernel info:
; codeLenInByte = 3108
; TotalNumSgprs: 50
; NumVgprs: 37
; ScratchSize: 0
; MemoryBound: 0
; FloatMode: 240
; IeeeMode: 1
; LDSByteSize: 0 bytes/workgroup (compile time only)
; SGPRBlocks: 0
; VGPRBlocks: 2
; NumSGPRsForWavesPerEU: 50
; NumVGPRsForWavesPerEU: 37
; NamedBarCnt: 0
; Occupancy: 16
; WaveLimiterHint : 0
; COMPUTE_PGM_RSRC2:SCRATCH_EN: 0
; COMPUTE_PGM_RSRC2:USER_SGPR: 2
; COMPUTE_PGM_RSRC2:TRAP_HANDLER: 0
; COMPUTE_PGM_RSRC2:TGID_X_EN: 1
; COMPUTE_PGM_RSRC2:TGID_Y_EN: 1
; COMPUTE_PGM_RSRC2:TGID_Z_EN: 1
; COMPUTE_PGM_RSRC2:TIDIG_COMP_CNT: 0
	.section	.text._ZN2at6native12_GLOBAL__N_136reflection_pad3d_backward_out_kernelIN3c107complexIdEEEEvN5torch10headeronly6detail27GenericPackedTensorAccessorINS8_14TensorAccessorINS3_8ArrayRefIlEET_Lm4ENS7_16DefaultPtrTraitsElEENS_6detail16IndexBoundsCheckILm5ElEESD_Lm5ESE_lEENS9_INSA_ISC_KSD_Lm4ESE_lEESI_SK_Lm5ESE_lEElllll,"axG",@progbits,_ZN2at6native12_GLOBAL__N_136reflection_pad3d_backward_out_kernelIN3c107complexIdEEEEvN5torch10headeronly6detail27GenericPackedTensorAccessorINS8_14TensorAccessorINS3_8ArrayRefIlEET_Lm4ENS7_16DefaultPtrTraitsElEENS_6detail16IndexBoundsCheckILm5ElEESD_Lm5ESE_lEENS9_INSA_ISC_KSD_Lm4ESE_lEESI_SK_Lm5ESE_lEElllll,comdat
	.globl	_ZN2at6native12_GLOBAL__N_136reflection_pad3d_backward_out_kernelIN3c107complexIdEEEEvN5torch10headeronly6detail27GenericPackedTensorAccessorINS8_14TensorAccessorINS3_8ArrayRefIlEET_Lm4ENS7_16DefaultPtrTraitsElEENS_6detail16IndexBoundsCheckILm5ElEESD_Lm5ESE_lEENS9_INSA_ISC_KSD_Lm4ESE_lEESI_SK_Lm5ESE_lEElllll ; -- Begin function _ZN2at6native12_GLOBAL__N_136reflection_pad3d_backward_out_kernelIN3c107complexIdEEEEvN5torch10headeronly6detail27GenericPackedTensorAccessorINS8_14TensorAccessorINS3_8ArrayRefIlEET_Lm4ENS7_16DefaultPtrTraitsElEENS_6detail16IndexBoundsCheckILm5ElEESD_Lm5ESE_lEENS9_INSA_ISC_KSD_Lm4ESE_lEESI_SK_Lm5ESE_lEElllll
	.p2align	8
	.type	_ZN2at6native12_GLOBAL__N_136reflection_pad3d_backward_out_kernelIN3c107complexIdEEEEvN5torch10headeronly6detail27GenericPackedTensorAccessorINS8_14TensorAccessorINS3_8ArrayRefIlEET_Lm4ENS7_16DefaultPtrTraitsElEENS_6detail16IndexBoundsCheckILm5ElEESD_Lm5ESE_lEENS9_INSA_ISC_KSD_Lm4ESE_lEESI_SK_Lm5ESE_lEElllll,@function
_ZN2at6native12_GLOBAL__N_136reflection_pad3d_backward_out_kernelIN3c107complexIdEEEEvN5torch10headeronly6detail27GenericPackedTensorAccessorINS8_14TensorAccessorINS3_8ArrayRefIlEET_Lm4ENS7_16DefaultPtrTraitsElEENS_6detail16IndexBoundsCheckILm5ElEESD_Lm5ESE_lEENS9_INSA_ISC_KSD_Lm4ESE_lEESI_SK_Lm5ESE_lEElllll: ; @_ZN2at6native12_GLOBAL__N_136reflection_pad3d_backward_out_kernelIN3c107complexIdEEEEvN5torch10headeronly6detail27GenericPackedTensorAccessorINS8_14TensorAccessorINS3_8ArrayRefIlEET_Lm4ENS7_16DefaultPtrTraitsElEENS_6detail16IndexBoundsCheckILm5ElEESD_Lm5ESE_lEENS9_INSA_ISC_KSD_Lm4ESE_lEESI_SK_Lm5ESE_lEElllll
; %bb.0:
	s_clause 0x2
	s_load_b32 s2, s[0:1], 0xe4
	s_load_b128 s[4:7], s[0:1], 0x70
	s_load_b64 s[28:29], s[0:1], 0x80
	s_bfe_u32 s3, ttmp6, 0x4000c
	v_mov_b32_e32 v2, 0
	s_add_co_i32 s3, s3, 1
	s_and_b32 s8, ttmp6, 15
	s_mul_i32 s3, ttmp9, s3
	s_getreg_b32 s33, hwreg(HW_REG_IB_STS2, 6, 4)
	v_mov_b32_e32 v1, v2
	s_add_co_i32 s8, s8, s3
	s_wait_kmcnt 0x0
	s_and_b32 s2, s2, 0xffff
	s_cmp_eq_u32 s33, 0
	s_mul_u64 s[30:31], s[28:29], s[6:7]
	s_cselect_b32 s3, ttmp9, s8
	s_delay_alu instid0(SALU_CYCLE_1)
	v_mad_nc_u64_u32 v[0:1], s2, s3, v[0:1]
	s_mul_u64 s[2:3], s[30:31], s[4:5]
	s_delay_alu instid0(VALU_DEP_1) | instid1(SALU_CYCLE_1)
	v_cmp_gt_i64_e32 vcc_lo, s[2:3], v[0:1]
	s_and_saveexec_b32 s2, vcc_lo
	s_cbranch_execz .LBB70_14
; %bb.1:
	v_or_b32_e32 v3, s29, v1
                                        ; implicit-def: $vgpr4_vgpr5
	s_delay_alu instid0(VALU_DEP_1) | instskip(SKIP_2) | instid1(SALU_CYCLE_1)
	v_cmp_ne_u64_e32 vcc_lo, 0, v[2:3]
	v_ashrrev_i32_e32 v2, 31, v1
	s_and_saveexec_b32 s2, vcc_lo
	s_xor_b32 s3, exec_lo, s2
	s_cbranch_execz .LBB70_3
; %bb.2:
	s_ashr_i32 s4, s29, 31
	s_mov_b32 s17, 0
	s_mov_b32 s5, s4
	v_dual_mov_b32 v3, v2 :: v_dual_mov_b32 v7, 0
	s_add_nc_u64 s[8:9], s[28:29], s[4:5]
	s_delay_alu instid0(SALU_CYCLE_1) | instskip(NEXT) | instid1(VALU_DEP_1)
	s_xor_b64 s[8:9], s[8:9], s[4:5]
	v_add_nc_u64_e32 v[4:5], v[0:1], v[2:3]
	s_cvt_f32_u32 s2, s8
	s_cvt_f32_u32 s5, s9
	s_sub_nc_u64 s[12:13], 0, s[8:9]
	v_dual_mov_b32 v9, v7 :: v_dual_mov_b32 v15, v7
	s_delay_alu instid0(SALU_CYCLE_1) | instskip(NEXT) | instid1(VALU_DEP_2)
	s_fmamk_f32 s2, s5, 0x4f800000, s2
	v_xor_b32_e32 v6, v4, v2
	v_xor_b32_e32 v8, v5, v2
	s_delay_alu instid0(SALU_CYCLE_1) | instskip(NEXT) | instid1(TRANS32_DEP_1)
	v_s_rcp_f32 s2, s2
	s_mul_f32 s2, s2, 0x5f7ffffc
	s_delay_alu instid0(SALU_CYCLE_3) | instskip(NEXT) | instid1(SALU_CYCLE_3)
	s_mul_f32 s5, s2, 0x2f800000
	s_trunc_f32 s5, s5
	s_delay_alu instid0(SALU_CYCLE_3) | instskip(SKIP_1) | instid1(SALU_CYCLE_2)
	s_fmamk_f32 s2, s5, 0xcf800000, s2
	s_cvt_u32_f32 s11, s5
	s_cvt_u32_f32 s10, s2
	s_delay_alu instid0(SALU_CYCLE_3) | instskip(NEXT) | instid1(SALU_CYCLE_1)
	s_mul_u64 s[14:15], s[12:13], s[10:11]
	s_mul_hi_u32 s19, s10, s15
	s_mul_i32 s18, s10, s15
	s_mul_hi_u32 s16, s10, s14
	s_mul_i32 s5, s11, s14
	s_add_nc_u64 s[18:19], s[16:17], s[18:19]
	s_mul_hi_u32 s2, s11, s14
	s_mul_hi_u32 s20, s11, s15
	s_add_co_u32 s5, s18, s5
	s_add_co_ci_u32 s16, s19, s2
	s_mul_i32 s14, s11, s15
	s_add_co_ci_u32 s15, s20, 0
	s_delay_alu instid0(SALU_CYCLE_1) | instskip(NEXT) | instid1(SALU_CYCLE_1)
	s_add_nc_u64 s[14:15], s[16:17], s[14:15]
	s_add_co_u32 s10, s10, s14
	s_cselect_b32 s2, -1, 0
	s_delay_alu instid0(SALU_CYCLE_1) | instskip(SKIP_1) | instid1(SALU_CYCLE_1)
	s_cmp_lg_u32 s2, 0
	s_add_co_ci_u32 s11, s11, s15
	s_mul_u64 s[12:13], s[12:13], s[10:11]
	s_delay_alu instid0(SALU_CYCLE_1)
	s_mul_hi_u32 s15, s10, s13
	s_mul_i32 s14, s10, s13
	s_mul_hi_u32 s16, s10, s12
	s_mul_i32 s5, s11, s12
	s_add_nc_u64 s[14:15], s[16:17], s[14:15]
	s_mul_hi_u32 s2, s11, s12
	s_mul_hi_u32 s18, s11, s13
	s_add_co_u32 s5, s14, s5
	s_add_co_ci_u32 s16, s15, s2
	s_mul_i32 s12, s11, s13
	s_add_co_ci_u32 s13, s18, 0
	s_delay_alu instid0(SALU_CYCLE_1) | instskip(NEXT) | instid1(SALU_CYCLE_1)
	s_add_nc_u64 s[12:13], s[16:17], s[12:13]
	s_add_co_u32 s2, s10, s12
	s_cselect_b32 s5, -1, 0
	v_nop
	v_mul_hi_u32 v14, v6, s2
	s_cmp_lg_u32 s5, 0
	s_add_co_ci_u32 s16, s11, s13
	s_mov_b64 s[10:11], 0xffffffff
	v_mul_u64_e32 v[10:11], s[16:17], v[6:7]
	s_and_b64 s[10:11], s[2:3], s[10:11]
	v_mul_u64_e32 v[12:13], s[16:17], v[8:9]
	v_mul_u64_e32 v[4:5], s[10:11], v[8:9]
	s_delay_alu instid0(VALU_DEP_3) | instskip(NEXT) | instid1(VALU_DEP_1)
	v_add_nc_u64_e32 v[10:11], v[14:15], v[10:11]
	v_add_co_u32 v3, vcc_lo, v10, v4
	s_delay_alu instid0(VALU_DEP_2) | instskip(SKIP_1) | instid1(VALU_DEP_1)
	v_add_co_ci_u32_e32 v14, vcc_lo, v11, v5, vcc_lo
	v_add_co_ci_u32_e32 v13, vcc_lo, 0, v13, vcc_lo
	v_add_nc_u64_e32 v[4:5], v[14:15], v[12:13]
	s_delay_alu instid0(VALU_DEP_1) | instskip(NEXT) | instid1(VALU_DEP_1)
	v_mul_u64_e32 v[10:11], s[8:9], v[4:5]
	v_sub_nc_u32_e32 v3, v8, v11
	s_delay_alu instid0(VALU_DEP_2) | instskip(NEXT) | instid1(VALU_DEP_1)
	v_sub_co_u32 v6, vcc_lo, v6, v10
	v_sub_co_ci_u32_e64 v10, null, v8, v11, vcc_lo
	s_delay_alu instid0(VALU_DEP_3) | instskip(NEXT) | instid1(VALU_DEP_3)
	v_subrev_co_ci_u32_e64 v3, null, s9, v3, vcc_lo
	v_sub_co_u32 v7, s2, v6, s8
	s_delay_alu instid0(VALU_DEP_1) | instskip(NEXT) | instid1(VALU_DEP_2)
	v_subrev_co_ci_u32_e64 v3, null, 0, v3, s2
	v_cmp_le_u32_e32 vcc_lo, s8, v7
	v_cndmask_b32_e64 v7, 0, -1, vcc_lo
	s_delay_alu instid0(VALU_DEP_3)
	v_cmp_le_u32_e32 vcc_lo, s9, v3
	v_cndmask_b32_e64 v8, 0, -1, vcc_lo
	v_cmp_le_u32_e32 vcc_lo, s8, v6
	v_cndmask_b32_e64 v11, 0, -1, vcc_lo
	;; [unrolled: 2-line block ×3, first 2 shown]
	v_cmp_eq_u32_e32 vcc_lo, s9, v3
	v_cndmask_b32_e32 v3, v8, v7, vcc_lo
	v_cmp_eq_u32_e32 vcc_lo, s9, v10
	v_add_nc_u64_e32 v[6:7], 2, v[4:5]
	v_add_nc_u64_e32 v[8:9], 1, v[4:5]
	v_cndmask_b32_e32 v10, v12, v11, vcc_lo
	v_cmp_ne_u32_e32 vcc_lo, 0, v3
	s_delay_alu instid0(VALU_DEP_2) | instskip(NEXT) | instid1(VALU_DEP_4)
	v_cmp_ne_u32_e64 s2, 0, v10
	v_dual_cndmask_b32 v3, v9, v7, vcc_lo :: v_dual_cndmask_b32 v7, v8, v6, vcc_lo
	s_delay_alu instid0(VALU_DEP_1) | instskip(NEXT) | instid1(VALU_DEP_1)
	v_dual_cndmask_b32 v4, v4, v7, s2 :: v_dual_bitop2_b32 v6, s4, v2 bitop3:0x14
	v_dual_cndmask_b32 v3, v5, v3, s2 :: v_dual_mov_b32 v7, v6
	s_delay_alu instid0(VALU_DEP_2) | instskip(NEXT) | instid1(VALU_DEP_2)
	v_xor_b32_e32 v4, v4, v6
	v_xor_b32_e32 v5, v3, v6
	s_delay_alu instid0(VALU_DEP_1)
	v_sub_nc_u64_e32 v[4:5], v[4:5], v[6:7]
.LBB70_3:
	s_and_not1_saveexec_b32 s2, s3
	s_cbranch_execz .LBB70_5
; %bb.4:
	v_cvt_f32_u32_e32 v3, s28
	s_sub_co_i32 s3, 0, s28
	s_delay_alu instid0(VALU_DEP_1) | instskip(SKIP_1) | instid1(TRANS32_DEP_1)
	v_rcp_iflag_f32_e32 v3, v3
	v_nop
	v_mul_f32_e32 v3, 0x4f7ffffe, v3
	s_delay_alu instid0(VALU_DEP_1) | instskip(NEXT) | instid1(VALU_DEP_1)
	v_cvt_u32_f32_e32 v3, v3
	v_mul_lo_u32 v4, s3, v3
	s_delay_alu instid0(VALU_DEP_1) | instskip(NEXT) | instid1(VALU_DEP_1)
	v_mul_hi_u32 v4, v3, v4
	v_add_nc_u32_e32 v3, v3, v4
	s_delay_alu instid0(VALU_DEP_1) | instskip(NEXT) | instid1(VALU_DEP_1)
	v_mul_hi_u32 v3, v0, v3
	v_mul_lo_u32 v4, v3, s28
	s_delay_alu instid0(VALU_DEP_1) | instskip(NEXT) | instid1(VALU_DEP_1)
	v_dual_add_nc_u32 v5, 1, v3 :: v_dual_sub_nc_u32 v4, v0, v4
	v_subrev_nc_u32_e32 v6, s28, v4
	v_cmp_le_u32_e32 vcc_lo, s28, v4
	s_delay_alu instid0(VALU_DEP_2) | instskip(NEXT) | instid1(VALU_DEP_1)
	v_dual_cndmask_b32 v4, v4, v6 :: v_dual_cndmask_b32 v3, v3, v5
	v_cmp_le_u32_e32 vcc_lo, s28, v4
	s_delay_alu instid0(VALU_DEP_2) | instskip(NEXT) | instid1(VALU_DEP_1)
	v_add_nc_u32_e32 v5, 1, v3
	v_dual_cndmask_b32 v4, v3, v5 :: v_dual_mov_b32 v5, 0
.LBB70_5:
	s_or_b32 exec_lo, exec_lo, s2
	s_delay_alu instid0(VALU_DEP_1) | instskip(SKIP_1) | instid1(VALU_DEP_1)
	v_dual_mov_b32 v8, 0 :: v_dual_bitop2_b32 v9, s7, v5 bitop3:0x54
                                        ; implicit-def: $vgpr6_vgpr7
	s_mov_b32 s2, exec_lo
	v_cmpx_ne_u64_e32 0, v[8:9]
	s_xor_b32 s3, exec_lo, s2
	s_cbranch_execz .LBB70_7
; %bb.6:
	s_ashr_i32 s4, s7, 31
	s_mov_b32 s15, 0
	s_mov_b32 s5, s4
	v_dual_mov_b32 v13, v8 :: v_dual_ashrrev_i32 v6, 31, v5
	s_add_nc_u64 s[8:9], s[6:7], s[4:5]
	v_mov_b32_e32 v15, v8
	s_xor_b64 s[4:5], s[8:9], s[4:5]
	s_delay_alu instid0(VALU_DEP_2)
	v_mov_b32_e32 v7, v6
	s_cvt_f32_u32 s2, s4
	s_cvt_f32_u32 s7, s5
	s_sub_nc_u64 s[10:11], 0, s[4:5]
	v_mov_b32_e32 v21, v8
	v_add_nc_u64_e32 v[10:11], v[4:5], v[6:7]
	s_fmamk_f32 s2, s7, 0x4f800000, s2
	v_mov_b32_e32 v9, v8
	s_delay_alu instid0(SALU_CYCLE_2) | instskip(NEXT) | instid1(VALU_DEP_2)
	v_s_rcp_f32 s2, s2
	v_xor_b32_e32 v12, v10, v6
	s_delay_alu instid0(VALU_DEP_3) | instskip(NEXT) | instid1(TRANS32_DEP_1)
	v_xor_b32_e32 v14, v11, v6
	s_mul_f32 s2, s2, 0x5f7ffffc
	s_delay_alu instid0(SALU_CYCLE_3) | instskip(NEXT) | instid1(SALU_CYCLE_3)
	s_mul_f32 s7, s2, 0x2f800000
	s_trunc_f32 s7, s7
	s_delay_alu instid0(SALU_CYCLE_3) | instskip(SKIP_1) | instid1(SALU_CYCLE_2)
	s_fmamk_f32 s2, s7, 0xcf800000, s2
	s_cvt_u32_f32 s9, s7
	s_cvt_u32_f32 s8, s2
	s_delay_alu instid0(SALU_CYCLE_3) | instskip(NEXT) | instid1(SALU_CYCLE_1)
	s_mul_u64 s[12:13], s[10:11], s[8:9]
	s_mul_hi_u32 s17, s8, s13
	s_mul_i32 s16, s8, s13
	s_mul_hi_u32 s14, s8, s12
	s_mul_i32 s7, s9, s12
	s_add_nc_u64 s[16:17], s[14:15], s[16:17]
	s_mul_hi_u32 s2, s9, s12
	s_mul_hi_u32 s18, s9, s13
	s_add_co_u32 s7, s16, s7
	s_add_co_ci_u32 s14, s17, s2
	s_mul_i32 s12, s9, s13
	s_add_co_ci_u32 s13, s18, 0
	s_delay_alu instid0(SALU_CYCLE_1) | instskip(NEXT) | instid1(SALU_CYCLE_1)
	s_add_nc_u64 s[12:13], s[14:15], s[12:13]
	s_add_co_u32 s8, s8, s12
	s_cselect_b32 s2, -1, 0
	s_delay_alu instid0(SALU_CYCLE_1) | instskip(SKIP_1) | instid1(SALU_CYCLE_1)
	s_cmp_lg_u32 s2, 0
	s_add_co_ci_u32 s9, s9, s13
	s_mul_u64 s[10:11], s[10:11], s[8:9]
	s_delay_alu instid0(SALU_CYCLE_1)
	s_mul_hi_u32 s13, s8, s11
	s_mul_i32 s12, s8, s11
	s_mul_hi_u32 s14, s8, s10
	s_mul_i32 s7, s9, s10
	s_add_nc_u64 s[12:13], s[14:15], s[12:13]
	s_mul_hi_u32 s2, s9, s10
	s_mul_hi_u32 s16, s9, s11
	s_add_co_u32 s7, s12, s7
	s_add_co_ci_u32 s14, s13, s2
	s_mul_i32 s10, s9, s11
	s_add_co_ci_u32 s11, s16, 0
	s_delay_alu instid0(SALU_CYCLE_1) | instskip(NEXT) | instid1(SALU_CYCLE_1)
	s_add_nc_u64 s[10:11], s[14:15], s[10:11]
	s_add_co_u32 s2, s8, s10
	s_cselect_b32 s7, -1, 0
	v_mul_hi_u32 v20, v12, s2
	s_cmp_lg_u32 s7, 0
	s_add_co_ci_u32 s14, s9, s11
	s_mov_b64 s[8:9], 0xffffffff
	v_mul_u64_e32 v[16:17], s[14:15], v[12:13]
	s_and_b64 s[8:9], s[2:3], s[8:9]
	v_mul_u64_e32 v[18:19], s[14:15], v[14:15]
	v_mul_u64_e32 v[10:11], s[8:9], v[14:15]
	s_delay_alu instid0(VALU_DEP_3) | instskip(NEXT) | instid1(VALU_DEP_1)
	v_add_nc_u64_e32 v[16:17], v[20:21], v[16:17]
	v_add_co_u32 v3, vcc_lo, v16, v10
	s_delay_alu instid0(VALU_DEP_2) | instskip(SKIP_1) | instid1(VALU_DEP_1)
	v_add_co_ci_u32_e32 v8, vcc_lo, v17, v11, vcc_lo
	v_add_co_ci_u32_e32 v19, vcc_lo, 0, v19, vcc_lo
	v_add_nc_u64_e32 v[8:9], v[8:9], v[18:19]
	s_delay_alu instid0(VALU_DEP_1) | instskip(NEXT) | instid1(VALU_DEP_1)
	v_mul_u64_e32 v[8:9], s[4:5], v[8:9]
	v_sub_co_u32 v8, vcc_lo, v12, v8
	s_delay_alu instid0(VALU_DEP_1) | instskip(NEXT) | instid1(VALU_DEP_1)
	v_cmp_le_u32_e64 s2, s4, v8
	v_cndmask_b32_e64 v12, 0, -1, s2
	s_delay_alu instid0(VALU_DEP_4) | instskip(SKIP_1) | instid1(VALU_DEP_2)
	v_sub_nc_u32_e32 v3, v14, v9
	v_sub_co_ci_u32_e64 v9, null, v14, v9, vcc_lo
	v_subrev_co_ci_u32_e64 v3, null, s5, v3, vcc_lo
	v_sub_co_u32 v10, vcc_lo, v8, s4
	s_delay_alu instid0(VALU_DEP_1) | instskip(NEXT) | instid1(VALU_DEP_2)
	v_subrev_co_ci_u32_e64 v11, null, 0, v3, vcc_lo
	v_cmp_le_u32_e64 s2, s4, v10
	v_subrev_co_ci_u32_e64 v3, null, s5, v3, vcc_lo
	v_cmp_le_u32_e32 vcc_lo, s5, v9
	s_delay_alu instid0(VALU_DEP_3) | instskip(SKIP_3) | instid1(VALU_DEP_3)
	v_cndmask_b32_e64 v13, 0, -1, s2
	v_cmp_le_u32_e64 s2, s5, v11
	v_cndmask_b32_e64 v15, 0, -1, vcc_lo
	v_cmp_eq_u32_e32 vcc_lo, s5, v11
	v_cndmask_b32_e64 v14, 0, -1, s2
	v_cmp_eq_u32_e64 s2, s5, v9
	s_delay_alu instid0(VALU_DEP_2) | instskip(SKIP_1) | instid1(VALU_DEP_1)
	v_cndmask_b32_e32 v13, v14, v13, vcc_lo
	v_sub_co_u32 v14, vcc_lo, v10, s4
	v_subrev_co_ci_u32_e64 v3, null, 0, v3, vcc_lo
	s_delay_alu instid0(VALU_DEP_3) | instskip(SKIP_1) | instid1(VALU_DEP_3)
	v_cmp_ne_u32_e32 vcc_lo, 0, v13
	v_cndmask_b32_e64 v12, v15, v12, s2
	v_dual_cndmask_b32 v3, v11, v3 :: v_dual_cndmask_b32 v10, v10, v14
	s_delay_alu instid0(VALU_DEP_2) | instskip(NEXT) | instid1(VALU_DEP_2)
	v_cmp_ne_u32_e32 vcc_lo, 0, v12
	v_dual_cndmask_b32 v3, v9, v3 :: v_dual_cndmask_b32 v8, v8, v10
	s_delay_alu instid0(VALU_DEP_1) | instskip(NEXT) | instid1(VALU_DEP_2)
	v_xor_b32_e32 v9, v3, v6
	v_xor_b32_e32 v8, v8, v6
	s_delay_alu instid0(VALU_DEP_1)
	v_sub_nc_u64_e32 v[6:7], v[8:9], v[6:7]
.LBB70_7:
	s_or_saveexec_b32 s2, s3
	s_clause 0x1
	s_load_b64 s[34:35], s[0:1], 0xa8
	s_load_b256 s[20:27], s[0:1], 0x88
	s_xor_b32 exec_lo, exec_lo, s2
	s_cbranch_execz .LBB70_9
; %bb.8:
	v_cvt_f32_u32_e32 v3, s6
	s_sub_co_i32 s3, 0, s6
	v_mov_b32_e32 v7, 0
	s_delay_alu instid0(VALU_DEP_2) | instskip(SKIP_1) | instid1(TRANS32_DEP_1)
	v_rcp_iflag_f32_e32 v3, v3
	v_nop
	v_mul_f32_e32 v3, 0x4f7ffffe, v3
	s_delay_alu instid0(VALU_DEP_1) | instskip(NEXT) | instid1(VALU_DEP_1)
	v_cvt_u32_f32_e32 v3, v3
	v_mul_lo_u32 v6, s3, v3
	s_delay_alu instid0(VALU_DEP_1) | instskip(NEXT) | instid1(VALU_DEP_1)
	v_mul_hi_u32 v6, v3, v6
	v_add_nc_u32_e32 v3, v3, v6
	s_delay_alu instid0(VALU_DEP_1) | instskip(NEXT) | instid1(VALU_DEP_1)
	v_mul_hi_u32 v3, v4, v3
	v_mul_lo_u32 v3, v3, s6
	s_delay_alu instid0(VALU_DEP_1) | instskip(NEXT) | instid1(VALU_DEP_1)
	v_sub_nc_u32_e32 v3, v4, v3
	v_subrev_nc_u32_e32 v6, s6, v3
	v_cmp_le_u32_e32 vcc_lo, s6, v3
	s_delay_alu instid0(VALU_DEP_2) | instskip(NEXT) | instid1(VALU_DEP_1)
	v_cndmask_b32_e32 v3, v3, v6, vcc_lo
	v_subrev_nc_u32_e32 v6, s6, v3
	v_cmp_le_u32_e32 vcc_lo, s6, v3
	s_delay_alu instid0(VALU_DEP_2)
	v_cndmask_b32_e32 v6, v3, v6, vcc_lo
.LBB70_9:
	s_or_b32 exec_lo, exec_lo, s2
	v_dual_mov_b32 v10, 0 :: v_dual_bitop2_b32 v11, s31, v1 bitop3:0x54
                                        ; implicit-def: $vgpr8_vgpr9
	s_mov_b32 s2, exec_lo
	s_delay_alu instid0(VALU_DEP_1)
	v_cmpx_ne_u64_e32 0, v[10:11]
	s_xor_b32 s3, exec_lo, s2
	s_cbranch_execz .LBB70_11
; %bb.10:
	s_ashr_i32 s4, s31, 31
	s_mov_b32 s15, 0
	s_mov_b32 s5, s4
	v_dual_mov_b32 v3, v2 :: v_dual_mov_b32 v13, v10
	s_add_nc_u64 s[6:7], s[30:31], s[4:5]
	v_mov_b32_e32 v11, v10
	s_xor_b64 s[6:7], s[6:7], s[4:5]
	s_delay_alu instid0(VALU_DEP_2) | instskip(SKIP_4) | instid1(SALU_CYCLE_1)
	v_add_nc_u64_e32 v[8:9], v[0:1], v[2:3]
	s_cvt_f32_u32 s2, s6
	s_cvt_f32_u32 s5, s7
	s_sub_nc_u64 s[10:11], 0, s[6:7]
	v_dual_mov_b32 v15, v10 :: v_dual_mov_b32 v21, v10
	s_fmamk_f32 s2, s5, 0x4f800000, s2
	s_delay_alu instid0(VALU_DEP_2) | instskip(SKIP_3) | instid1(TRANS32_DEP_1)
	v_xor_b32_e32 v12, v8, v2
	v_xor_b32_e32 v14, v9, v2
	v_xor_b32_e32 v2, s4, v2
	v_s_rcp_f32 s2, s2
	s_mul_f32 s2, s2, 0x5f7ffffc
	s_delay_alu instid0(SALU_CYCLE_3) | instskip(NEXT) | instid1(SALU_CYCLE_3)
	s_mul_f32 s5, s2, 0x2f800000
	s_trunc_f32 s5, s5
	s_delay_alu instid0(SALU_CYCLE_3) | instskip(SKIP_1) | instid1(SALU_CYCLE_2)
	s_fmamk_f32 s2, s5, 0xcf800000, s2
	s_cvt_u32_f32 s9, s5
	s_cvt_u32_f32 s8, s2
	s_delay_alu instid0(SALU_CYCLE_3) | instskip(NEXT) | instid1(SALU_CYCLE_1)
	s_mul_u64 s[12:13], s[10:11], s[8:9]
	s_mul_hi_u32 s17, s8, s13
	s_mul_i32 s16, s8, s13
	s_mul_hi_u32 s14, s8, s12
	s_mul_i32 s5, s9, s12
	s_add_nc_u64 s[16:17], s[14:15], s[16:17]
	s_mul_hi_u32 s2, s9, s12
	s_mul_hi_u32 s18, s9, s13
	s_add_co_u32 s5, s16, s5
	s_add_co_ci_u32 s14, s17, s2
	s_mul_i32 s12, s9, s13
	s_add_co_ci_u32 s13, s18, 0
	s_delay_alu instid0(SALU_CYCLE_1) | instskip(NEXT) | instid1(SALU_CYCLE_1)
	s_add_nc_u64 s[12:13], s[14:15], s[12:13]
	s_add_co_u32 s8, s8, s12
	s_cselect_b32 s2, -1, 0
	s_delay_alu instid0(SALU_CYCLE_1) | instskip(SKIP_1) | instid1(SALU_CYCLE_1)
	s_cmp_lg_u32 s2, 0
	s_add_co_ci_u32 s9, s9, s13
	s_mul_u64 s[10:11], s[10:11], s[8:9]
	s_delay_alu instid0(SALU_CYCLE_1)
	s_mul_hi_u32 s13, s8, s11
	s_mul_i32 s12, s8, s11
	s_mul_hi_u32 s14, s8, s10
	s_mul_i32 s5, s9, s10
	s_add_nc_u64 s[12:13], s[14:15], s[12:13]
	s_mul_hi_u32 s2, s9, s10
	s_mul_hi_u32 s16, s9, s11
	s_add_co_u32 s5, s12, s5
	s_add_co_ci_u32 s14, s13, s2
	s_mul_i32 s10, s9, s11
	s_add_co_ci_u32 s11, s16, 0
	s_delay_alu instid0(SALU_CYCLE_1) | instskip(NEXT) | instid1(SALU_CYCLE_1)
	s_add_nc_u64 s[10:11], s[14:15], s[10:11]
	s_add_co_u32 s2, s8, s10
	s_cselect_b32 s5, -1, 0
	v_nop
	v_mul_hi_u32 v20, v12, s2
	s_cmp_lg_u32 s5, 0
	s_add_co_ci_u32 s14, s9, s11
	s_mov_b64 s[8:9], 0xffffffff
	v_mul_u64_e32 v[16:17], s[14:15], v[12:13]
	s_and_b64 s[8:9], s[2:3], s[8:9]
	v_mul_u64_e32 v[18:19], s[14:15], v[14:15]
	v_mul_u64_e32 v[8:9], s[8:9], v[14:15]
	s_delay_alu instid0(VALU_DEP_3) | instskip(NEXT) | instid1(VALU_DEP_1)
	v_add_nc_u64_e32 v[16:17], v[20:21], v[16:17]
	v_add_co_u32 v3, vcc_lo, v16, v8
	s_delay_alu instid0(VALU_DEP_2) | instskip(SKIP_1) | instid1(VALU_DEP_1)
	v_add_co_ci_u32_e32 v10, vcc_lo, v17, v9, vcc_lo
	v_add_co_ci_u32_e32 v19, vcc_lo, 0, v19, vcc_lo
	v_add_nc_u64_e32 v[8:9], v[10:11], v[18:19]
	s_delay_alu instid0(VALU_DEP_1) | instskip(NEXT) | instid1(VALU_DEP_1)
	v_mul_u64_e32 v[10:11], s[6:7], v[8:9]
	v_sub_nc_u32_e32 v3, v14, v11
	s_delay_alu instid0(VALU_DEP_2) | instskip(NEXT) | instid1(VALU_DEP_1)
	v_sub_co_u32 v10, vcc_lo, v12, v10
	v_sub_co_ci_u32_e64 v14, null, v14, v11, vcc_lo
	s_delay_alu instid0(VALU_DEP_3) | instskip(NEXT) | instid1(VALU_DEP_3)
	v_subrev_co_ci_u32_e64 v3, null, s7, v3, vcc_lo
	v_sub_co_u32 v12, s2, v10, s6
	s_delay_alu instid0(VALU_DEP_1) | instskip(NEXT) | instid1(VALU_DEP_2)
	v_subrev_co_ci_u32_e64 v3, null, 0, v3, s2
	v_cmp_le_u32_e32 vcc_lo, s6, v12
	v_cndmask_b32_e64 v11, 0, -1, vcc_lo
	s_delay_alu instid0(VALU_DEP_3)
	v_cmp_le_u32_e32 vcc_lo, s7, v3
	v_cndmask_b32_e64 v12, 0, -1, vcc_lo
	v_cmp_le_u32_e32 vcc_lo, s6, v10
	v_cndmask_b32_e64 v15, 0, -1, vcc_lo
	;; [unrolled: 2-line block ×3, first 2 shown]
	v_cmp_eq_u32_e32 vcc_lo, s7, v3
	v_cndmask_b32_e32 v3, v12, v11, vcc_lo
	v_cmp_eq_u32_e32 vcc_lo, s7, v14
	v_add_nc_u64_e32 v[10:11], 2, v[8:9]
	v_add_nc_u64_e32 v[12:13], 1, v[8:9]
	v_cndmask_b32_e32 v14, v16, v15, vcc_lo
	v_cmp_ne_u32_e32 vcc_lo, 0, v3
	s_delay_alu instid0(VALU_DEP_2) | instskip(NEXT) | instid1(VALU_DEP_4)
	v_cmp_ne_u32_e64 s2, 0, v14
	v_dual_cndmask_b32 v10, v12, v10 :: v_dual_cndmask_b32 v3, v13, v11
	s_delay_alu instid0(VALU_DEP_1) | instskip(NEXT) | instid1(VALU_DEP_1)
	v_dual_cndmask_b32 v8, v8, v10, s2 :: v_dual_cndmask_b32 v9, v9, v3, s2
	v_dual_mov_b32 v3, v2 :: v_dual_bitop2_b32 v8, v8, v2 bitop3:0x14
	s_delay_alu instid0(VALU_DEP_2) | instskip(NEXT) | instid1(VALU_DEP_1)
	v_xor_b32_e32 v9, v9, v2
	v_sub_nc_u64_e32 v[8:9], v[8:9], v[2:3]
.LBB70_11:
	s_or_saveexec_b32 s31, s3
	s_clause 0x2
	s_load_b64 s[44:45], s[0:1], 0x58
	s_load_b64 s[2:3], s[0:1], 0x0
	s_load_b512 s[4:19], s[0:1], 0x18
	s_xor_b32 exec_lo, exec_lo, s31
	s_cbranch_execz .LBB70_13
; %bb.12:
	v_cvt_f32_u32_e32 v2, s30
	s_sub_co_i32 s36, 0, s30
	s_delay_alu instid0(VALU_DEP_1) | instskip(SKIP_1) | instid1(TRANS32_DEP_1)
	v_rcp_iflag_f32_e32 v2, v2
	v_nop
	v_mul_f32_e32 v2, 0x4f7ffffe, v2
	s_delay_alu instid0(VALU_DEP_1) | instskip(NEXT) | instid1(VALU_DEP_1)
	v_cvt_u32_f32_e32 v2, v2
	v_mul_lo_u32 v3, s36, v2
	s_delay_alu instid0(VALU_DEP_1) | instskip(NEXT) | instid1(VALU_DEP_1)
	v_mul_hi_u32 v3, v2, v3
	v_add_nc_u32_e32 v2, v2, v3
	s_delay_alu instid0(VALU_DEP_1) | instskip(NEXT) | instid1(VALU_DEP_1)
	v_mul_hi_u32 v2, v0, v2
	v_mul_lo_u32 v3, v2, s30
	s_delay_alu instid0(VALU_DEP_1) | instskip(NEXT) | instid1(VALU_DEP_1)
	v_dual_add_nc_u32 v8, 1, v2 :: v_dual_sub_nc_u32 v3, v0, v3
	v_subrev_nc_u32_e32 v9, s30, v3
	v_cmp_le_u32_e32 vcc_lo, s30, v3
	s_delay_alu instid0(VALU_DEP_2) | instskip(NEXT) | instid1(VALU_DEP_4)
	v_dual_cndmask_b32 v3, v3, v9, vcc_lo :: v_dual_mov_b32 v9, 0
	v_cndmask_b32_e32 v2, v2, v8, vcc_lo
	s_delay_alu instid0(VALU_DEP_2) | instskip(NEXT) | instid1(VALU_DEP_2)
	v_cmp_le_u32_e32 vcc_lo, s30, v3
	v_add_nc_u32_e32 v8, 1, v2
	s_delay_alu instid0(VALU_DEP_1)
	v_cndmask_b32_e32 v8, v2, v8, vcc_lo
.LBB70_13:
	s_or_b32 exec_lo, exec_lo, s31
	v_mul_u64_e32 v[2:3], s[28:29], v[4:5]
	s_clause 0x1
	s_load_b256 s[36:43], s[0:1], 0xb0
	s_load_b64 s[28:29], s[0:1], 0xd0
	s_wait_kmcnt 0x0
	v_mul_u64_e32 v[4:5], s[24:25], v[8:9]
	s_bfe_u32 s46, ttmp6, 0x40014
	s_lshr_b32 s47, ttmp7, 16
	s_add_co_i32 s46, s46, 1
	s_lshl_b64 s[0:1], s[36:37], 1
	s_lshl_b64 s[24:25], s[38:39], 1
	;; [unrolled: 1-line block ×3, first 2 shown]
	v_max_i64 v[14:15], s[38:39], 0
	v_max_i64 v[16:17], s[36:37], 0
	v_sub_nc_u64_e64 v[32:33], v[8:9], s[40:41]
	v_sub_nc_u64_e64 v[34:35], v[6:7], s[38:39]
	s_delay_alu instid0(VALU_DEP_2)
	v_sub_nc_u64_e32 v[36:37], 0, v[32:33]
	v_sub_nc_u64_e32 v[10:11], v[0:1], v[2:3]
	v_mul_u64_e32 v[0:1], s[26:27], v[6:7]
	s_bfe_u32 s27, ttmp6, 0x40010
	s_mul_i32 s26, s47, s46
	s_and_b32 s46, ttmp7, 0xffff
	s_add_co_i32 s27, s27, 1
	v_max_i64 v[32:33], v[32:33], v[36:37]
	v_mul_u64_e32 v[2:3], s[34:35], v[10:11]
	s_bfe_u32 s34, ttmp6, 0x40008
	s_mul_i32 s27, s46, s27
	s_bfe_u32 s35, ttmp6, 0x40004
	s_add_co_i32 s34, s34, s26
	s_add_co_i32 s26, s35, s27
	s_cmp_eq_u32 s33, 0
	s_mov_b32 s27, 0
	s_cselect_b32 s34, s47, s34
	s_mov_b32 s35, s27
	s_cselect_b32 s26, s46, s26
	s_add_nc_u64 s[28:29], s[28:29], s[34:35]
	s_add_nc_u64 s[26:27], s[42:43], s[26:27]
	s_mul_u64 s[20:21], s[20:21], s[28:29]
	s_mul_u64 s[22:23], s[22:23], s[26:27]
	s_lshl_b64 s[20:21], s[20:21], 4
	s_lshl_b64 s[22:23], s[22:23], 4
	s_add_nc_u64 s[20:21], s[44:45], s[20:21]
	s_sub_nc_u64 s[34:35], 0, s[40:41]
	s_add_nc_u64 s[20:21], s[20:21], s[22:23]
	v_max_i64 v[24:25], s[34:35], 0
	v_lshl_add_u64 v[4:5], v[4:5], 4, s[20:21]
	s_sub_nc_u64 s[20:21], 0, s[36:37]
	s_sub_nc_u64 s[22:23], 0, s[38:39]
	v_max_i64 v[12:13], s[20:21], 0
	s_add_nc_u64 s[20:21], s[40:41], s[4:5]
	v_lshl_add_u64 v[0:1], v[0:1], 4, v[4:5]
	v_max_i64 v[4:5], s[40:41], 0
	v_sub_nc_u64_e64 v[18:19], v[8:9], s[20:21]
	s_add_nc_u64 s[20:21], s[38:39], s[6:7]
	v_max_i64 v[20:21], s[22:23], 0
	v_sub_nc_u64_e64 v[22:23], v[6:7], s[20:21]
	v_lshl_add_u64 v[0:1], v[2:3], 4, v[0:1]
	s_add_nc_u64 s[20:21], s[36:37], s[8:9]
	v_not_b32_e32 v14, v14
	v_add_nc_u64_e32 v[28:29], 1, v[18:19]
	v_not_b32_e32 v19, v19
	global_load_b128 v[0:3], v[0:1], off
	v_not_b32_e32 v18, v18
	v_sub_nc_u64_e64 v[26:27], v[10:11], s[20:21]
	v_add_nc_u64_e32 v[30:31], 1, v[22:23]
	v_not_b32_e32 v23, v23
	v_not_b32_e32 v22, v22
	v_max_i64 v[18:19], v[28:29], v[18:19]
	v_not_b32_e32 v15, v15
	v_not_b32_e32 v16, v16
	v_add_nc_u64_e32 v[28:29], 1, v[26:27]
	v_not_b32_e32 v27, v27
	v_not_b32_e32 v26, v26
	v_max_i64 v[22:23], v[30:31], v[22:23]
	v_sub_nc_u64_e64 v[30:31], v[10:11], s[36:37]
	v_not_b32_e32 v17, v17
	v_add_nc_u64_e32 v[14:15], s[24:25], v[14:15]
	v_max_i64 v[26:27], v[28:29], v[26:27]
	v_sub_nc_u64_e32 v[28:29], 0, v[34:35]
	s_delay_alu instid0(VALU_DEP_4)
	v_add_nc_u64_e32 v[16:17], s[0:1], v[16:17]
	v_sub_nc_u64_e32 v[38:39], 0, v[30:31]
	s_mul_u64 s[0:1], s[10:11], s[28:29]
	v_not_b32_e32 v4, v4
	v_not_b32_e32 v5, v5
	v_max_i64 v[28:29], v[34:35], v[28:29]
	v_add_nc_u64_e32 v[14:15], v[14:15], v[20:21]
	v_add_nc_u64_e32 v[12:13], v[16:17], v[12:13]
	v_max_i64 v[30:31], v[30:31], v[38:39]
	v_add_nc_u64_e32 v[4:5], s[30:31], v[4:5]
	s_lshl_b64 s[0:1], s[0:1], 4
	s_delay_alu instid0(SALU_CYCLE_1) | instskip(NEXT) | instid1(VALU_DEP_4)
	s_add_nc_u64 s[0:1], s[2:3], s[0:1]
	v_add_nc_u64_e32 v[14:15], s[6:7], v[14:15]
	s_delay_alu instid0(VALU_DEP_2) | instskip(SKIP_1) | instid1(VALU_DEP_2)
	v_add_nc_u64_e32 v[4:5], v[4:5], v[24:25]
	v_add_nc_u64_e32 v[8:9], v[8:9], v[18:19]
	;; [unrolled: 1-line block ×3, first 2 shown]
	s_mul_u64 s[4:5], s[12:13], s[26:27]
	v_add_nc_u64_e32 v[6:7], v[6:7], v[22:23]
	s_lshl_b64 s[2:3], s[4:5], 4
	s_delay_alu instid0(SALU_CYCLE_1) | instskip(SKIP_1) | instid1(VALU_DEP_3)
	s_add_nc_u64 s[0:1], s[0:1], s[2:3]
	v_add_nc_u64_e32 v[10:11], v[10:11], v[26:27]
	v_sub_nc_u64_e32 v[4:5], v[4:5], v[8:9]
	v_add_nc_u64_e32 v[8:9], s[8:9], v[12:13]
	s_delay_alu instid0(VALU_DEP_4) | instskip(NEXT) | instid1(VALU_DEP_3)
	v_sub_nc_u64_e32 v[6:7], v[14:15], v[6:7]
	v_add_nc_u64_e32 v[4:5], v[4:5], v[32:33]
	s_delay_alu instid0(VALU_DEP_3) | instskip(NEXT) | instid1(VALU_DEP_3)
	v_sub_nc_u64_e32 v[8:9], v[8:9], v[10:11]
	v_add_nc_u64_e32 v[6:7], v[6:7], v[28:29]
	s_delay_alu instid0(VALU_DEP_3) | instskip(NEXT) | instid1(VALU_DEP_3)
	v_mul_u64_e32 v[4:5], s[14:15], v[4:5]
	v_add_nc_u64_e32 v[8:9], v[8:9], v[30:31]
	s_delay_alu instid0(VALU_DEP_3) | instskip(NEXT) | instid1(VALU_DEP_2)
	v_mul_u64_e32 v[6:7], s[16:17], v[6:7]
	v_mul_u64_e32 v[8:9], s[18:19], v[8:9]
	s_delay_alu instid0(VALU_DEP_4) | instskip(NEXT) | instid1(VALU_DEP_1)
	v_lshl_add_u64 v[4:5], v[4:5], 4, s[0:1]
	v_lshl_add_u64 v[4:5], v[6:7], 4, v[4:5]
	s_delay_alu instid0(VALU_DEP_1)
	v_lshl_add_u64 v[4:5], v[8:9], 4, v[4:5]
	s_wait_xcnt 0x0
	s_wait_loadcnt 0x0
	global_atomic_add_f64 v[4:5], v[0:1], off scope:SCOPE_DEV
	s_wait_xcnt 0x0
	global_atomic_add_f64 v[4:5], v[2:3], off offset:8 scope:SCOPE_DEV
.LBB70_14:
	s_endpgm
	.section	.rodata,"a",@progbits
	.p2align	6, 0x0
	.amdhsa_kernel _ZN2at6native12_GLOBAL__N_136reflection_pad3d_backward_out_kernelIN3c107complexIdEEEEvN5torch10headeronly6detail27GenericPackedTensorAccessorINS8_14TensorAccessorINS3_8ArrayRefIlEET_Lm4ENS7_16DefaultPtrTraitsElEENS_6detail16IndexBoundsCheckILm5ElEESD_Lm5ESE_lEENS9_INSA_ISC_KSD_Lm4ESE_lEESI_SK_Lm5ESE_lEElllll
		.amdhsa_group_segment_fixed_size 0
		.amdhsa_private_segment_fixed_size 0
		.amdhsa_kernarg_size 472
		.amdhsa_user_sgpr_count 2
		.amdhsa_user_sgpr_dispatch_ptr 0
		.amdhsa_user_sgpr_queue_ptr 0
		.amdhsa_user_sgpr_kernarg_segment_ptr 1
		.amdhsa_user_sgpr_dispatch_id 0
		.amdhsa_user_sgpr_kernarg_preload_length 0
		.amdhsa_user_sgpr_kernarg_preload_offset 0
		.amdhsa_user_sgpr_private_segment_size 0
		.amdhsa_wavefront_size32 1
		.amdhsa_uses_dynamic_stack 0
		.amdhsa_enable_private_segment 0
		.amdhsa_system_sgpr_workgroup_id_x 1
		.amdhsa_system_sgpr_workgroup_id_y 1
		.amdhsa_system_sgpr_workgroup_id_z 1
		.amdhsa_system_sgpr_workgroup_info 0
		.amdhsa_system_vgpr_workitem_id 0
		.amdhsa_next_free_vgpr 40
		.amdhsa_next_free_sgpr 48
		.amdhsa_named_barrier_count 0
		.amdhsa_reserve_vcc 1
		.amdhsa_float_round_mode_32 0
		.amdhsa_float_round_mode_16_64 0
		.amdhsa_float_denorm_mode_32 3
		.amdhsa_float_denorm_mode_16_64 3
		.amdhsa_fp16_overflow 0
		.amdhsa_memory_ordered 1
		.amdhsa_forward_progress 1
		.amdhsa_inst_pref_size 25
		.amdhsa_round_robin_scheduling 0
		.amdhsa_exception_fp_ieee_invalid_op 0
		.amdhsa_exception_fp_denorm_src 0
		.amdhsa_exception_fp_ieee_div_zero 0
		.amdhsa_exception_fp_ieee_overflow 0
		.amdhsa_exception_fp_ieee_underflow 0
		.amdhsa_exception_fp_ieee_inexact 0
		.amdhsa_exception_int_div_zero 0
	.end_amdhsa_kernel
	.section	.text._ZN2at6native12_GLOBAL__N_136reflection_pad3d_backward_out_kernelIN3c107complexIdEEEEvN5torch10headeronly6detail27GenericPackedTensorAccessorINS8_14TensorAccessorINS3_8ArrayRefIlEET_Lm4ENS7_16DefaultPtrTraitsElEENS_6detail16IndexBoundsCheckILm5ElEESD_Lm5ESE_lEENS9_INSA_ISC_KSD_Lm4ESE_lEESI_SK_Lm5ESE_lEElllll,"axG",@progbits,_ZN2at6native12_GLOBAL__N_136reflection_pad3d_backward_out_kernelIN3c107complexIdEEEEvN5torch10headeronly6detail27GenericPackedTensorAccessorINS8_14TensorAccessorINS3_8ArrayRefIlEET_Lm4ENS7_16DefaultPtrTraitsElEENS_6detail16IndexBoundsCheckILm5ElEESD_Lm5ESE_lEENS9_INSA_ISC_KSD_Lm4ESE_lEESI_SK_Lm5ESE_lEElllll,comdat
.Lfunc_end70:
	.size	_ZN2at6native12_GLOBAL__N_136reflection_pad3d_backward_out_kernelIN3c107complexIdEEEEvN5torch10headeronly6detail27GenericPackedTensorAccessorINS8_14TensorAccessorINS3_8ArrayRefIlEET_Lm4ENS7_16DefaultPtrTraitsElEENS_6detail16IndexBoundsCheckILm5ElEESD_Lm5ESE_lEENS9_INSA_ISC_KSD_Lm4ESE_lEESI_SK_Lm5ESE_lEElllll, .Lfunc_end70-_ZN2at6native12_GLOBAL__N_136reflection_pad3d_backward_out_kernelIN3c107complexIdEEEEvN5torch10headeronly6detail27GenericPackedTensorAccessorINS8_14TensorAccessorINS3_8ArrayRefIlEET_Lm4ENS7_16DefaultPtrTraitsElEENS_6detail16IndexBoundsCheckILm5ElEESD_Lm5ESE_lEENS9_INSA_ISC_KSD_Lm4ESE_lEESI_SK_Lm5ESE_lEElllll
                                        ; -- End function
	.set _ZN2at6native12_GLOBAL__N_136reflection_pad3d_backward_out_kernelIN3c107complexIdEEEEvN5torch10headeronly6detail27GenericPackedTensorAccessorINS8_14TensorAccessorINS3_8ArrayRefIlEET_Lm4ENS7_16DefaultPtrTraitsElEENS_6detail16IndexBoundsCheckILm5ElEESD_Lm5ESE_lEENS9_INSA_ISC_KSD_Lm4ESE_lEESI_SK_Lm5ESE_lEElllll.num_vgpr, 40
	.set _ZN2at6native12_GLOBAL__N_136reflection_pad3d_backward_out_kernelIN3c107complexIdEEEEvN5torch10headeronly6detail27GenericPackedTensorAccessorINS8_14TensorAccessorINS3_8ArrayRefIlEET_Lm4ENS7_16DefaultPtrTraitsElEENS_6detail16IndexBoundsCheckILm5ElEESD_Lm5ESE_lEENS9_INSA_ISC_KSD_Lm4ESE_lEESI_SK_Lm5ESE_lEElllll.num_agpr, 0
	.set _ZN2at6native12_GLOBAL__N_136reflection_pad3d_backward_out_kernelIN3c107complexIdEEEEvN5torch10headeronly6detail27GenericPackedTensorAccessorINS8_14TensorAccessorINS3_8ArrayRefIlEET_Lm4ENS7_16DefaultPtrTraitsElEENS_6detail16IndexBoundsCheckILm5ElEESD_Lm5ESE_lEENS9_INSA_ISC_KSD_Lm4ESE_lEESI_SK_Lm5ESE_lEElllll.numbered_sgpr, 48
	.set _ZN2at6native12_GLOBAL__N_136reflection_pad3d_backward_out_kernelIN3c107complexIdEEEEvN5torch10headeronly6detail27GenericPackedTensorAccessorINS8_14TensorAccessorINS3_8ArrayRefIlEET_Lm4ENS7_16DefaultPtrTraitsElEENS_6detail16IndexBoundsCheckILm5ElEESD_Lm5ESE_lEENS9_INSA_ISC_KSD_Lm4ESE_lEESI_SK_Lm5ESE_lEElllll.num_named_barrier, 0
	.set _ZN2at6native12_GLOBAL__N_136reflection_pad3d_backward_out_kernelIN3c107complexIdEEEEvN5torch10headeronly6detail27GenericPackedTensorAccessorINS8_14TensorAccessorINS3_8ArrayRefIlEET_Lm4ENS7_16DefaultPtrTraitsElEENS_6detail16IndexBoundsCheckILm5ElEESD_Lm5ESE_lEENS9_INSA_ISC_KSD_Lm4ESE_lEESI_SK_Lm5ESE_lEElllll.private_seg_size, 0
	.set _ZN2at6native12_GLOBAL__N_136reflection_pad3d_backward_out_kernelIN3c107complexIdEEEEvN5torch10headeronly6detail27GenericPackedTensorAccessorINS8_14TensorAccessorINS3_8ArrayRefIlEET_Lm4ENS7_16DefaultPtrTraitsElEENS_6detail16IndexBoundsCheckILm5ElEESD_Lm5ESE_lEENS9_INSA_ISC_KSD_Lm4ESE_lEESI_SK_Lm5ESE_lEElllll.uses_vcc, 1
	.set _ZN2at6native12_GLOBAL__N_136reflection_pad3d_backward_out_kernelIN3c107complexIdEEEEvN5torch10headeronly6detail27GenericPackedTensorAccessorINS8_14TensorAccessorINS3_8ArrayRefIlEET_Lm4ENS7_16DefaultPtrTraitsElEENS_6detail16IndexBoundsCheckILm5ElEESD_Lm5ESE_lEENS9_INSA_ISC_KSD_Lm4ESE_lEESI_SK_Lm5ESE_lEElllll.uses_flat_scratch, 0
	.set _ZN2at6native12_GLOBAL__N_136reflection_pad3d_backward_out_kernelIN3c107complexIdEEEEvN5torch10headeronly6detail27GenericPackedTensorAccessorINS8_14TensorAccessorINS3_8ArrayRefIlEET_Lm4ENS7_16DefaultPtrTraitsElEENS_6detail16IndexBoundsCheckILm5ElEESD_Lm5ESE_lEENS9_INSA_ISC_KSD_Lm4ESE_lEESI_SK_Lm5ESE_lEElllll.has_dyn_sized_stack, 0
	.set _ZN2at6native12_GLOBAL__N_136reflection_pad3d_backward_out_kernelIN3c107complexIdEEEEvN5torch10headeronly6detail27GenericPackedTensorAccessorINS8_14TensorAccessorINS3_8ArrayRefIlEET_Lm4ENS7_16DefaultPtrTraitsElEENS_6detail16IndexBoundsCheckILm5ElEESD_Lm5ESE_lEENS9_INSA_ISC_KSD_Lm4ESE_lEESI_SK_Lm5ESE_lEElllll.has_recursion, 0
	.set _ZN2at6native12_GLOBAL__N_136reflection_pad3d_backward_out_kernelIN3c107complexIdEEEEvN5torch10headeronly6detail27GenericPackedTensorAccessorINS8_14TensorAccessorINS3_8ArrayRefIlEET_Lm4ENS7_16DefaultPtrTraitsElEENS_6detail16IndexBoundsCheckILm5ElEESD_Lm5ESE_lEENS9_INSA_ISC_KSD_Lm4ESE_lEESI_SK_Lm5ESE_lEElllll.has_indirect_call, 0
	.section	.AMDGPU.csdata,"",@progbits
; Kernel info:
; codeLenInByte = 3120
; TotalNumSgprs: 50
; NumVgprs: 40
; ScratchSize: 0
; MemoryBound: 0
; FloatMode: 240
; IeeeMode: 1
; LDSByteSize: 0 bytes/workgroup (compile time only)
; SGPRBlocks: 0
; VGPRBlocks: 2
; NumSGPRsForWavesPerEU: 50
; NumVGPRsForWavesPerEU: 40
; NamedBarCnt: 0
; Occupancy: 16
; WaveLimiterHint : 0
; COMPUTE_PGM_RSRC2:SCRATCH_EN: 0
; COMPUTE_PGM_RSRC2:USER_SGPR: 2
; COMPUTE_PGM_RSRC2:TRAP_HANDLER: 0
; COMPUTE_PGM_RSRC2:TGID_X_EN: 1
; COMPUTE_PGM_RSRC2:TGID_Y_EN: 1
; COMPUTE_PGM_RSRC2:TGID_Z_EN: 1
; COMPUTE_PGM_RSRC2:TIDIG_COMP_CNT: 0
	.section	.text._ZN2at6native12_GLOBAL__N_136reflection_pad3d_backward_out_kernelIN3c107complexIfEEEEvN5torch10headeronly6detail27GenericPackedTensorAccessorINS8_14TensorAccessorINS3_8ArrayRefIlEET_Lm4ENS7_16DefaultPtrTraitsElEENS_6detail16IndexBoundsCheckILm5ElEESD_Lm5ESE_lEENS9_INSA_ISC_KSD_Lm4ESE_lEESI_SK_Lm5ESE_lEElllll,"axG",@progbits,_ZN2at6native12_GLOBAL__N_136reflection_pad3d_backward_out_kernelIN3c107complexIfEEEEvN5torch10headeronly6detail27GenericPackedTensorAccessorINS8_14TensorAccessorINS3_8ArrayRefIlEET_Lm4ENS7_16DefaultPtrTraitsElEENS_6detail16IndexBoundsCheckILm5ElEESD_Lm5ESE_lEENS9_INSA_ISC_KSD_Lm4ESE_lEESI_SK_Lm5ESE_lEElllll,comdat
	.globl	_ZN2at6native12_GLOBAL__N_136reflection_pad3d_backward_out_kernelIN3c107complexIfEEEEvN5torch10headeronly6detail27GenericPackedTensorAccessorINS8_14TensorAccessorINS3_8ArrayRefIlEET_Lm4ENS7_16DefaultPtrTraitsElEENS_6detail16IndexBoundsCheckILm5ElEESD_Lm5ESE_lEENS9_INSA_ISC_KSD_Lm4ESE_lEESI_SK_Lm5ESE_lEElllll ; -- Begin function _ZN2at6native12_GLOBAL__N_136reflection_pad3d_backward_out_kernelIN3c107complexIfEEEEvN5torch10headeronly6detail27GenericPackedTensorAccessorINS8_14TensorAccessorINS3_8ArrayRefIlEET_Lm4ENS7_16DefaultPtrTraitsElEENS_6detail16IndexBoundsCheckILm5ElEESD_Lm5ESE_lEENS9_INSA_ISC_KSD_Lm4ESE_lEESI_SK_Lm5ESE_lEElllll
	.p2align	8
	.type	_ZN2at6native12_GLOBAL__N_136reflection_pad3d_backward_out_kernelIN3c107complexIfEEEEvN5torch10headeronly6detail27GenericPackedTensorAccessorINS8_14TensorAccessorINS3_8ArrayRefIlEET_Lm4ENS7_16DefaultPtrTraitsElEENS_6detail16IndexBoundsCheckILm5ElEESD_Lm5ESE_lEENS9_INSA_ISC_KSD_Lm4ESE_lEESI_SK_Lm5ESE_lEElllll,@function
_ZN2at6native12_GLOBAL__N_136reflection_pad3d_backward_out_kernelIN3c107complexIfEEEEvN5torch10headeronly6detail27GenericPackedTensorAccessorINS8_14TensorAccessorINS3_8ArrayRefIlEET_Lm4ENS7_16DefaultPtrTraitsElEENS_6detail16IndexBoundsCheckILm5ElEESD_Lm5ESE_lEENS9_INSA_ISC_KSD_Lm4ESE_lEESI_SK_Lm5ESE_lEElllll: ; @_ZN2at6native12_GLOBAL__N_136reflection_pad3d_backward_out_kernelIN3c107complexIfEEEEvN5torch10headeronly6detail27GenericPackedTensorAccessorINS8_14TensorAccessorINS3_8ArrayRefIlEET_Lm4ENS7_16DefaultPtrTraitsElEENS_6detail16IndexBoundsCheckILm5ElEESD_Lm5ESE_lEENS9_INSA_ISC_KSD_Lm4ESE_lEESI_SK_Lm5ESE_lEElllll
; %bb.0:
	s_clause 0x2
	s_load_b32 s2, s[0:1], 0xe4
	s_load_b128 s[4:7], s[0:1], 0x70
	s_load_b64 s[28:29], s[0:1], 0x80
	s_bfe_u32 s3, ttmp6, 0x4000c
	v_mov_b32_e32 v2, 0
	s_add_co_i32 s3, s3, 1
	s_and_b32 s8, ttmp6, 15
	s_mul_i32 s3, ttmp9, s3
	s_getreg_b32 s33, hwreg(HW_REG_IB_STS2, 6, 4)
	v_mov_b32_e32 v1, v2
	s_add_co_i32 s8, s8, s3
	s_wait_kmcnt 0x0
	s_and_b32 s2, s2, 0xffff
	s_cmp_eq_u32 s33, 0
	s_mul_u64 s[30:31], s[28:29], s[6:7]
	s_cselect_b32 s3, ttmp9, s8
	s_delay_alu instid0(SALU_CYCLE_1)
	v_mad_nc_u64_u32 v[0:1], s2, s3, v[0:1]
	s_mul_u64 s[2:3], s[30:31], s[4:5]
	s_delay_alu instid0(VALU_DEP_1) | instid1(SALU_CYCLE_1)
	v_cmp_gt_i64_e32 vcc_lo, s[2:3], v[0:1]
	s_and_saveexec_b32 s2, vcc_lo
	s_cbranch_execz .LBB71_14
; %bb.1:
	v_or_b32_e32 v3, s29, v1
                                        ; implicit-def: $vgpr4_vgpr5
	s_delay_alu instid0(VALU_DEP_1) | instskip(SKIP_2) | instid1(SALU_CYCLE_1)
	v_cmp_ne_u64_e32 vcc_lo, 0, v[2:3]
	v_ashrrev_i32_e32 v2, 31, v1
	s_and_saveexec_b32 s2, vcc_lo
	s_xor_b32 s3, exec_lo, s2
	s_cbranch_execz .LBB71_3
; %bb.2:
	s_ashr_i32 s4, s29, 31
	s_mov_b32 s17, 0
	s_mov_b32 s5, s4
	v_dual_mov_b32 v3, v2 :: v_dual_mov_b32 v7, 0
	s_add_nc_u64 s[8:9], s[28:29], s[4:5]
	s_delay_alu instid0(SALU_CYCLE_1) | instskip(NEXT) | instid1(VALU_DEP_1)
	s_xor_b64 s[8:9], s[8:9], s[4:5]
	v_add_nc_u64_e32 v[4:5], v[0:1], v[2:3]
	s_cvt_f32_u32 s2, s8
	s_cvt_f32_u32 s5, s9
	s_sub_nc_u64 s[12:13], 0, s[8:9]
	v_dual_mov_b32 v9, v7 :: v_dual_mov_b32 v15, v7
	s_delay_alu instid0(SALU_CYCLE_1) | instskip(NEXT) | instid1(VALU_DEP_2)
	s_fmamk_f32 s2, s5, 0x4f800000, s2
	v_xor_b32_e32 v6, v4, v2
	v_xor_b32_e32 v8, v5, v2
	s_delay_alu instid0(SALU_CYCLE_1) | instskip(NEXT) | instid1(TRANS32_DEP_1)
	v_s_rcp_f32 s2, s2
	s_mul_f32 s2, s2, 0x5f7ffffc
	s_delay_alu instid0(SALU_CYCLE_3) | instskip(NEXT) | instid1(SALU_CYCLE_3)
	s_mul_f32 s5, s2, 0x2f800000
	s_trunc_f32 s5, s5
	s_delay_alu instid0(SALU_CYCLE_3) | instskip(SKIP_1) | instid1(SALU_CYCLE_2)
	s_fmamk_f32 s2, s5, 0xcf800000, s2
	s_cvt_u32_f32 s11, s5
	s_cvt_u32_f32 s10, s2
	s_delay_alu instid0(SALU_CYCLE_3) | instskip(NEXT) | instid1(SALU_CYCLE_1)
	s_mul_u64 s[14:15], s[12:13], s[10:11]
	s_mul_hi_u32 s19, s10, s15
	s_mul_i32 s18, s10, s15
	s_mul_hi_u32 s16, s10, s14
	s_mul_i32 s5, s11, s14
	s_add_nc_u64 s[18:19], s[16:17], s[18:19]
	s_mul_hi_u32 s2, s11, s14
	s_mul_hi_u32 s20, s11, s15
	s_add_co_u32 s5, s18, s5
	s_add_co_ci_u32 s16, s19, s2
	s_mul_i32 s14, s11, s15
	s_add_co_ci_u32 s15, s20, 0
	s_delay_alu instid0(SALU_CYCLE_1) | instskip(NEXT) | instid1(SALU_CYCLE_1)
	s_add_nc_u64 s[14:15], s[16:17], s[14:15]
	s_add_co_u32 s10, s10, s14
	s_cselect_b32 s2, -1, 0
	s_delay_alu instid0(SALU_CYCLE_1) | instskip(SKIP_1) | instid1(SALU_CYCLE_1)
	s_cmp_lg_u32 s2, 0
	s_add_co_ci_u32 s11, s11, s15
	s_mul_u64 s[12:13], s[12:13], s[10:11]
	s_delay_alu instid0(SALU_CYCLE_1)
	s_mul_hi_u32 s15, s10, s13
	s_mul_i32 s14, s10, s13
	s_mul_hi_u32 s16, s10, s12
	s_mul_i32 s5, s11, s12
	s_add_nc_u64 s[14:15], s[16:17], s[14:15]
	s_mul_hi_u32 s2, s11, s12
	s_mul_hi_u32 s18, s11, s13
	s_add_co_u32 s5, s14, s5
	s_add_co_ci_u32 s16, s15, s2
	s_mul_i32 s12, s11, s13
	s_add_co_ci_u32 s13, s18, 0
	s_delay_alu instid0(SALU_CYCLE_1) | instskip(NEXT) | instid1(SALU_CYCLE_1)
	s_add_nc_u64 s[12:13], s[16:17], s[12:13]
	s_add_co_u32 s2, s10, s12
	s_cselect_b32 s5, -1, 0
	v_nop
	v_mul_hi_u32 v14, v6, s2
	s_cmp_lg_u32 s5, 0
	s_add_co_ci_u32 s16, s11, s13
	s_mov_b64 s[10:11], 0xffffffff
	v_mul_u64_e32 v[10:11], s[16:17], v[6:7]
	s_and_b64 s[10:11], s[2:3], s[10:11]
	v_mul_u64_e32 v[12:13], s[16:17], v[8:9]
	v_mul_u64_e32 v[4:5], s[10:11], v[8:9]
	s_delay_alu instid0(VALU_DEP_3) | instskip(NEXT) | instid1(VALU_DEP_1)
	v_add_nc_u64_e32 v[10:11], v[14:15], v[10:11]
	v_add_co_u32 v3, vcc_lo, v10, v4
	s_delay_alu instid0(VALU_DEP_2) | instskip(SKIP_1) | instid1(VALU_DEP_1)
	v_add_co_ci_u32_e32 v14, vcc_lo, v11, v5, vcc_lo
	v_add_co_ci_u32_e32 v13, vcc_lo, 0, v13, vcc_lo
	v_add_nc_u64_e32 v[4:5], v[14:15], v[12:13]
	s_delay_alu instid0(VALU_DEP_1) | instskip(NEXT) | instid1(VALU_DEP_1)
	v_mul_u64_e32 v[10:11], s[8:9], v[4:5]
	v_sub_nc_u32_e32 v3, v8, v11
	s_delay_alu instid0(VALU_DEP_2) | instskip(NEXT) | instid1(VALU_DEP_1)
	v_sub_co_u32 v6, vcc_lo, v6, v10
	v_sub_co_ci_u32_e64 v10, null, v8, v11, vcc_lo
	s_delay_alu instid0(VALU_DEP_3) | instskip(NEXT) | instid1(VALU_DEP_3)
	v_subrev_co_ci_u32_e64 v3, null, s9, v3, vcc_lo
	v_sub_co_u32 v7, s2, v6, s8
	s_delay_alu instid0(VALU_DEP_1) | instskip(NEXT) | instid1(VALU_DEP_2)
	v_subrev_co_ci_u32_e64 v3, null, 0, v3, s2
	v_cmp_le_u32_e32 vcc_lo, s8, v7
	v_cndmask_b32_e64 v7, 0, -1, vcc_lo
	s_delay_alu instid0(VALU_DEP_3)
	v_cmp_le_u32_e32 vcc_lo, s9, v3
	v_cndmask_b32_e64 v8, 0, -1, vcc_lo
	v_cmp_le_u32_e32 vcc_lo, s8, v6
	v_cndmask_b32_e64 v11, 0, -1, vcc_lo
	;; [unrolled: 2-line block ×3, first 2 shown]
	v_cmp_eq_u32_e32 vcc_lo, s9, v3
	v_cndmask_b32_e32 v3, v8, v7, vcc_lo
	v_cmp_eq_u32_e32 vcc_lo, s9, v10
	v_add_nc_u64_e32 v[6:7], 2, v[4:5]
	v_add_nc_u64_e32 v[8:9], 1, v[4:5]
	v_cndmask_b32_e32 v10, v12, v11, vcc_lo
	v_cmp_ne_u32_e32 vcc_lo, 0, v3
	s_delay_alu instid0(VALU_DEP_2) | instskip(NEXT) | instid1(VALU_DEP_4)
	v_cmp_ne_u32_e64 s2, 0, v10
	v_dual_cndmask_b32 v3, v9, v7, vcc_lo :: v_dual_cndmask_b32 v7, v8, v6, vcc_lo
	s_delay_alu instid0(VALU_DEP_1) | instskip(NEXT) | instid1(VALU_DEP_1)
	v_dual_cndmask_b32 v4, v4, v7, s2 :: v_dual_bitop2_b32 v6, s4, v2 bitop3:0x14
	v_dual_cndmask_b32 v3, v5, v3, s2 :: v_dual_mov_b32 v7, v6
	s_delay_alu instid0(VALU_DEP_2) | instskip(NEXT) | instid1(VALU_DEP_2)
	v_xor_b32_e32 v4, v4, v6
	v_xor_b32_e32 v5, v3, v6
	s_delay_alu instid0(VALU_DEP_1)
	v_sub_nc_u64_e32 v[4:5], v[4:5], v[6:7]
.LBB71_3:
	s_and_not1_saveexec_b32 s2, s3
	s_cbranch_execz .LBB71_5
; %bb.4:
	v_cvt_f32_u32_e32 v3, s28
	s_sub_co_i32 s3, 0, s28
	s_delay_alu instid0(VALU_DEP_1) | instskip(SKIP_1) | instid1(TRANS32_DEP_1)
	v_rcp_iflag_f32_e32 v3, v3
	v_nop
	v_mul_f32_e32 v3, 0x4f7ffffe, v3
	s_delay_alu instid0(VALU_DEP_1) | instskip(NEXT) | instid1(VALU_DEP_1)
	v_cvt_u32_f32_e32 v3, v3
	v_mul_lo_u32 v4, s3, v3
	s_delay_alu instid0(VALU_DEP_1) | instskip(NEXT) | instid1(VALU_DEP_1)
	v_mul_hi_u32 v4, v3, v4
	v_add_nc_u32_e32 v3, v3, v4
	s_delay_alu instid0(VALU_DEP_1) | instskip(NEXT) | instid1(VALU_DEP_1)
	v_mul_hi_u32 v3, v0, v3
	v_mul_lo_u32 v4, v3, s28
	s_delay_alu instid0(VALU_DEP_1) | instskip(NEXT) | instid1(VALU_DEP_1)
	v_dual_add_nc_u32 v5, 1, v3 :: v_dual_sub_nc_u32 v4, v0, v4
	v_subrev_nc_u32_e32 v6, s28, v4
	v_cmp_le_u32_e32 vcc_lo, s28, v4
	s_delay_alu instid0(VALU_DEP_2) | instskip(NEXT) | instid1(VALU_DEP_1)
	v_dual_cndmask_b32 v4, v4, v6 :: v_dual_cndmask_b32 v3, v3, v5
	v_cmp_le_u32_e32 vcc_lo, s28, v4
	s_delay_alu instid0(VALU_DEP_2) | instskip(NEXT) | instid1(VALU_DEP_1)
	v_add_nc_u32_e32 v5, 1, v3
	v_dual_cndmask_b32 v4, v3, v5 :: v_dual_mov_b32 v5, 0
.LBB71_5:
	s_or_b32 exec_lo, exec_lo, s2
	s_delay_alu instid0(VALU_DEP_1) | instskip(SKIP_1) | instid1(VALU_DEP_1)
	v_dual_mov_b32 v8, 0 :: v_dual_bitop2_b32 v9, s7, v5 bitop3:0x54
                                        ; implicit-def: $vgpr6_vgpr7
	s_mov_b32 s2, exec_lo
	v_cmpx_ne_u64_e32 0, v[8:9]
	s_xor_b32 s3, exec_lo, s2
	s_cbranch_execz .LBB71_7
; %bb.6:
	s_ashr_i32 s4, s7, 31
	s_mov_b32 s15, 0
	s_mov_b32 s5, s4
	v_dual_mov_b32 v13, v8 :: v_dual_ashrrev_i32 v6, 31, v5
	s_add_nc_u64 s[8:9], s[6:7], s[4:5]
	v_mov_b32_e32 v15, v8
	s_xor_b64 s[4:5], s[8:9], s[4:5]
	s_delay_alu instid0(VALU_DEP_2)
	v_mov_b32_e32 v7, v6
	s_cvt_f32_u32 s2, s4
	s_cvt_f32_u32 s7, s5
	s_sub_nc_u64 s[10:11], 0, s[4:5]
	v_mov_b32_e32 v21, v8
	v_add_nc_u64_e32 v[10:11], v[4:5], v[6:7]
	s_fmamk_f32 s2, s7, 0x4f800000, s2
	v_mov_b32_e32 v9, v8
	s_delay_alu instid0(SALU_CYCLE_2) | instskip(NEXT) | instid1(VALU_DEP_2)
	v_s_rcp_f32 s2, s2
	v_xor_b32_e32 v12, v10, v6
	s_delay_alu instid0(VALU_DEP_3) | instskip(NEXT) | instid1(TRANS32_DEP_1)
	v_xor_b32_e32 v14, v11, v6
	s_mul_f32 s2, s2, 0x5f7ffffc
	s_delay_alu instid0(SALU_CYCLE_3) | instskip(NEXT) | instid1(SALU_CYCLE_3)
	s_mul_f32 s7, s2, 0x2f800000
	s_trunc_f32 s7, s7
	s_delay_alu instid0(SALU_CYCLE_3) | instskip(SKIP_1) | instid1(SALU_CYCLE_2)
	s_fmamk_f32 s2, s7, 0xcf800000, s2
	s_cvt_u32_f32 s9, s7
	s_cvt_u32_f32 s8, s2
	s_delay_alu instid0(SALU_CYCLE_3) | instskip(NEXT) | instid1(SALU_CYCLE_1)
	s_mul_u64 s[12:13], s[10:11], s[8:9]
	s_mul_hi_u32 s17, s8, s13
	s_mul_i32 s16, s8, s13
	s_mul_hi_u32 s14, s8, s12
	s_mul_i32 s7, s9, s12
	s_add_nc_u64 s[16:17], s[14:15], s[16:17]
	s_mul_hi_u32 s2, s9, s12
	s_mul_hi_u32 s18, s9, s13
	s_add_co_u32 s7, s16, s7
	s_add_co_ci_u32 s14, s17, s2
	s_mul_i32 s12, s9, s13
	s_add_co_ci_u32 s13, s18, 0
	s_delay_alu instid0(SALU_CYCLE_1) | instskip(NEXT) | instid1(SALU_CYCLE_1)
	s_add_nc_u64 s[12:13], s[14:15], s[12:13]
	s_add_co_u32 s8, s8, s12
	s_cselect_b32 s2, -1, 0
	s_delay_alu instid0(SALU_CYCLE_1) | instskip(SKIP_1) | instid1(SALU_CYCLE_1)
	s_cmp_lg_u32 s2, 0
	s_add_co_ci_u32 s9, s9, s13
	s_mul_u64 s[10:11], s[10:11], s[8:9]
	s_delay_alu instid0(SALU_CYCLE_1)
	s_mul_hi_u32 s13, s8, s11
	s_mul_i32 s12, s8, s11
	s_mul_hi_u32 s14, s8, s10
	s_mul_i32 s7, s9, s10
	s_add_nc_u64 s[12:13], s[14:15], s[12:13]
	s_mul_hi_u32 s2, s9, s10
	s_mul_hi_u32 s16, s9, s11
	s_add_co_u32 s7, s12, s7
	s_add_co_ci_u32 s14, s13, s2
	s_mul_i32 s10, s9, s11
	s_add_co_ci_u32 s11, s16, 0
	s_delay_alu instid0(SALU_CYCLE_1) | instskip(NEXT) | instid1(SALU_CYCLE_1)
	s_add_nc_u64 s[10:11], s[14:15], s[10:11]
	s_add_co_u32 s2, s8, s10
	s_cselect_b32 s7, -1, 0
	v_mul_hi_u32 v20, v12, s2
	s_cmp_lg_u32 s7, 0
	s_add_co_ci_u32 s14, s9, s11
	s_mov_b64 s[8:9], 0xffffffff
	v_mul_u64_e32 v[16:17], s[14:15], v[12:13]
	s_and_b64 s[8:9], s[2:3], s[8:9]
	v_mul_u64_e32 v[18:19], s[14:15], v[14:15]
	v_mul_u64_e32 v[10:11], s[8:9], v[14:15]
	s_delay_alu instid0(VALU_DEP_3) | instskip(NEXT) | instid1(VALU_DEP_1)
	v_add_nc_u64_e32 v[16:17], v[20:21], v[16:17]
	v_add_co_u32 v3, vcc_lo, v16, v10
	s_delay_alu instid0(VALU_DEP_2) | instskip(SKIP_1) | instid1(VALU_DEP_1)
	v_add_co_ci_u32_e32 v8, vcc_lo, v17, v11, vcc_lo
	v_add_co_ci_u32_e32 v19, vcc_lo, 0, v19, vcc_lo
	v_add_nc_u64_e32 v[8:9], v[8:9], v[18:19]
	s_delay_alu instid0(VALU_DEP_1) | instskip(NEXT) | instid1(VALU_DEP_1)
	v_mul_u64_e32 v[8:9], s[4:5], v[8:9]
	v_sub_co_u32 v8, vcc_lo, v12, v8
	s_delay_alu instid0(VALU_DEP_1) | instskip(NEXT) | instid1(VALU_DEP_1)
	v_cmp_le_u32_e64 s2, s4, v8
	v_cndmask_b32_e64 v12, 0, -1, s2
	s_delay_alu instid0(VALU_DEP_4) | instskip(SKIP_1) | instid1(VALU_DEP_2)
	v_sub_nc_u32_e32 v3, v14, v9
	v_sub_co_ci_u32_e64 v9, null, v14, v9, vcc_lo
	v_subrev_co_ci_u32_e64 v3, null, s5, v3, vcc_lo
	v_sub_co_u32 v10, vcc_lo, v8, s4
	s_delay_alu instid0(VALU_DEP_1) | instskip(NEXT) | instid1(VALU_DEP_2)
	v_subrev_co_ci_u32_e64 v11, null, 0, v3, vcc_lo
	v_cmp_le_u32_e64 s2, s4, v10
	v_subrev_co_ci_u32_e64 v3, null, s5, v3, vcc_lo
	v_cmp_le_u32_e32 vcc_lo, s5, v9
	s_delay_alu instid0(VALU_DEP_3) | instskip(SKIP_3) | instid1(VALU_DEP_3)
	v_cndmask_b32_e64 v13, 0, -1, s2
	v_cmp_le_u32_e64 s2, s5, v11
	v_cndmask_b32_e64 v15, 0, -1, vcc_lo
	v_cmp_eq_u32_e32 vcc_lo, s5, v11
	v_cndmask_b32_e64 v14, 0, -1, s2
	v_cmp_eq_u32_e64 s2, s5, v9
	s_delay_alu instid0(VALU_DEP_2) | instskip(SKIP_1) | instid1(VALU_DEP_1)
	v_cndmask_b32_e32 v13, v14, v13, vcc_lo
	v_sub_co_u32 v14, vcc_lo, v10, s4
	v_subrev_co_ci_u32_e64 v3, null, 0, v3, vcc_lo
	s_delay_alu instid0(VALU_DEP_3) | instskip(SKIP_1) | instid1(VALU_DEP_3)
	v_cmp_ne_u32_e32 vcc_lo, 0, v13
	v_cndmask_b32_e64 v12, v15, v12, s2
	v_dual_cndmask_b32 v3, v11, v3 :: v_dual_cndmask_b32 v10, v10, v14
	s_delay_alu instid0(VALU_DEP_2) | instskip(NEXT) | instid1(VALU_DEP_2)
	v_cmp_ne_u32_e32 vcc_lo, 0, v12
	v_dual_cndmask_b32 v3, v9, v3 :: v_dual_cndmask_b32 v8, v8, v10
	s_delay_alu instid0(VALU_DEP_1) | instskip(NEXT) | instid1(VALU_DEP_2)
	v_xor_b32_e32 v9, v3, v6
	v_xor_b32_e32 v8, v8, v6
	s_delay_alu instid0(VALU_DEP_1)
	v_sub_nc_u64_e32 v[6:7], v[8:9], v[6:7]
.LBB71_7:
	s_or_saveexec_b32 s2, s3
	s_clause 0x1
	s_load_b64 s[34:35], s[0:1], 0xa8
	s_load_b256 s[20:27], s[0:1], 0x88
	s_xor_b32 exec_lo, exec_lo, s2
	s_cbranch_execz .LBB71_9
; %bb.8:
	v_cvt_f32_u32_e32 v3, s6
	s_sub_co_i32 s3, 0, s6
	v_mov_b32_e32 v7, 0
	s_delay_alu instid0(VALU_DEP_2) | instskip(SKIP_1) | instid1(TRANS32_DEP_1)
	v_rcp_iflag_f32_e32 v3, v3
	v_nop
	v_mul_f32_e32 v3, 0x4f7ffffe, v3
	s_delay_alu instid0(VALU_DEP_1) | instskip(NEXT) | instid1(VALU_DEP_1)
	v_cvt_u32_f32_e32 v3, v3
	v_mul_lo_u32 v6, s3, v3
	s_delay_alu instid0(VALU_DEP_1) | instskip(NEXT) | instid1(VALU_DEP_1)
	v_mul_hi_u32 v6, v3, v6
	v_add_nc_u32_e32 v3, v3, v6
	s_delay_alu instid0(VALU_DEP_1) | instskip(NEXT) | instid1(VALU_DEP_1)
	v_mul_hi_u32 v3, v4, v3
	v_mul_lo_u32 v3, v3, s6
	s_delay_alu instid0(VALU_DEP_1) | instskip(NEXT) | instid1(VALU_DEP_1)
	v_sub_nc_u32_e32 v3, v4, v3
	v_subrev_nc_u32_e32 v6, s6, v3
	v_cmp_le_u32_e32 vcc_lo, s6, v3
	s_delay_alu instid0(VALU_DEP_2) | instskip(NEXT) | instid1(VALU_DEP_1)
	v_cndmask_b32_e32 v3, v3, v6, vcc_lo
	v_subrev_nc_u32_e32 v6, s6, v3
	v_cmp_le_u32_e32 vcc_lo, s6, v3
	s_delay_alu instid0(VALU_DEP_2)
	v_cndmask_b32_e32 v6, v3, v6, vcc_lo
.LBB71_9:
	s_or_b32 exec_lo, exec_lo, s2
	v_dual_mov_b32 v10, 0 :: v_dual_bitop2_b32 v11, s31, v1 bitop3:0x54
                                        ; implicit-def: $vgpr8_vgpr9
	s_mov_b32 s2, exec_lo
	s_delay_alu instid0(VALU_DEP_1)
	v_cmpx_ne_u64_e32 0, v[10:11]
	s_xor_b32 s3, exec_lo, s2
	s_cbranch_execz .LBB71_11
; %bb.10:
	s_ashr_i32 s4, s31, 31
	s_mov_b32 s15, 0
	s_mov_b32 s5, s4
	v_dual_mov_b32 v3, v2 :: v_dual_mov_b32 v13, v10
	s_add_nc_u64 s[6:7], s[30:31], s[4:5]
	v_mov_b32_e32 v11, v10
	s_xor_b64 s[6:7], s[6:7], s[4:5]
	s_delay_alu instid0(VALU_DEP_2) | instskip(SKIP_4) | instid1(SALU_CYCLE_1)
	v_add_nc_u64_e32 v[8:9], v[0:1], v[2:3]
	s_cvt_f32_u32 s2, s6
	s_cvt_f32_u32 s5, s7
	s_sub_nc_u64 s[10:11], 0, s[6:7]
	v_dual_mov_b32 v15, v10 :: v_dual_mov_b32 v21, v10
	s_fmamk_f32 s2, s5, 0x4f800000, s2
	s_delay_alu instid0(VALU_DEP_2) | instskip(SKIP_3) | instid1(TRANS32_DEP_1)
	v_xor_b32_e32 v12, v8, v2
	v_xor_b32_e32 v14, v9, v2
	;; [unrolled: 1-line block ×3, first 2 shown]
	v_s_rcp_f32 s2, s2
	s_mul_f32 s2, s2, 0x5f7ffffc
	s_delay_alu instid0(SALU_CYCLE_3) | instskip(NEXT) | instid1(SALU_CYCLE_3)
	s_mul_f32 s5, s2, 0x2f800000
	s_trunc_f32 s5, s5
	s_delay_alu instid0(SALU_CYCLE_3) | instskip(SKIP_1) | instid1(SALU_CYCLE_2)
	s_fmamk_f32 s2, s5, 0xcf800000, s2
	s_cvt_u32_f32 s9, s5
	s_cvt_u32_f32 s8, s2
	s_delay_alu instid0(SALU_CYCLE_3) | instskip(NEXT) | instid1(SALU_CYCLE_1)
	s_mul_u64 s[12:13], s[10:11], s[8:9]
	s_mul_hi_u32 s17, s8, s13
	s_mul_i32 s16, s8, s13
	s_mul_hi_u32 s14, s8, s12
	s_mul_i32 s5, s9, s12
	s_add_nc_u64 s[16:17], s[14:15], s[16:17]
	s_mul_hi_u32 s2, s9, s12
	s_mul_hi_u32 s18, s9, s13
	s_add_co_u32 s5, s16, s5
	s_add_co_ci_u32 s14, s17, s2
	s_mul_i32 s12, s9, s13
	s_add_co_ci_u32 s13, s18, 0
	s_delay_alu instid0(SALU_CYCLE_1) | instskip(NEXT) | instid1(SALU_CYCLE_1)
	s_add_nc_u64 s[12:13], s[14:15], s[12:13]
	s_add_co_u32 s8, s8, s12
	s_cselect_b32 s2, -1, 0
	s_delay_alu instid0(SALU_CYCLE_1) | instskip(SKIP_1) | instid1(SALU_CYCLE_1)
	s_cmp_lg_u32 s2, 0
	s_add_co_ci_u32 s9, s9, s13
	s_mul_u64 s[10:11], s[10:11], s[8:9]
	s_delay_alu instid0(SALU_CYCLE_1)
	s_mul_hi_u32 s13, s8, s11
	s_mul_i32 s12, s8, s11
	s_mul_hi_u32 s14, s8, s10
	s_mul_i32 s5, s9, s10
	s_add_nc_u64 s[12:13], s[14:15], s[12:13]
	s_mul_hi_u32 s2, s9, s10
	s_mul_hi_u32 s16, s9, s11
	s_add_co_u32 s5, s12, s5
	s_add_co_ci_u32 s14, s13, s2
	s_mul_i32 s10, s9, s11
	s_add_co_ci_u32 s11, s16, 0
	s_delay_alu instid0(SALU_CYCLE_1) | instskip(NEXT) | instid1(SALU_CYCLE_1)
	s_add_nc_u64 s[10:11], s[14:15], s[10:11]
	s_add_co_u32 s2, s8, s10
	s_cselect_b32 s5, -1, 0
	v_nop
	v_mul_hi_u32 v20, v12, s2
	s_cmp_lg_u32 s5, 0
	s_add_co_ci_u32 s14, s9, s11
	s_mov_b64 s[8:9], 0xffffffff
	v_mul_u64_e32 v[16:17], s[14:15], v[12:13]
	s_and_b64 s[8:9], s[2:3], s[8:9]
	v_mul_u64_e32 v[18:19], s[14:15], v[14:15]
	v_mul_u64_e32 v[8:9], s[8:9], v[14:15]
	s_delay_alu instid0(VALU_DEP_3) | instskip(NEXT) | instid1(VALU_DEP_1)
	v_add_nc_u64_e32 v[16:17], v[20:21], v[16:17]
	v_add_co_u32 v3, vcc_lo, v16, v8
	s_delay_alu instid0(VALU_DEP_2) | instskip(SKIP_1) | instid1(VALU_DEP_1)
	v_add_co_ci_u32_e32 v10, vcc_lo, v17, v9, vcc_lo
	v_add_co_ci_u32_e32 v19, vcc_lo, 0, v19, vcc_lo
	v_add_nc_u64_e32 v[8:9], v[10:11], v[18:19]
	s_delay_alu instid0(VALU_DEP_1) | instskip(NEXT) | instid1(VALU_DEP_1)
	v_mul_u64_e32 v[10:11], s[6:7], v[8:9]
	v_sub_nc_u32_e32 v3, v14, v11
	s_delay_alu instid0(VALU_DEP_2) | instskip(NEXT) | instid1(VALU_DEP_1)
	v_sub_co_u32 v10, vcc_lo, v12, v10
	v_sub_co_ci_u32_e64 v14, null, v14, v11, vcc_lo
	s_delay_alu instid0(VALU_DEP_3) | instskip(NEXT) | instid1(VALU_DEP_3)
	v_subrev_co_ci_u32_e64 v3, null, s7, v3, vcc_lo
	v_sub_co_u32 v12, s2, v10, s6
	s_delay_alu instid0(VALU_DEP_1) | instskip(NEXT) | instid1(VALU_DEP_2)
	v_subrev_co_ci_u32_e64 v3, null, 0, v3, s2
	v_cmp_le_u32_e32 vcc_lo, s6, v12
	v_cndmask_b32_e64 v11, 0, -1, vcc_lo
	s_delay_alu instid0(VALU_DEP_3)
	v_cmp_le_u32_e32 vcc_lo, s7, v3
	v_cndmask_b32_e64 v12, 0, -1, vcc_lo
	v_cmp_le_u32_e32 vcc_lo, s6, v10
	v_cndmask_b32_e64 v15, 0, -1, vcc_lo
	;; [unrolled: 2-line block ×3, first 2 shown]
	v_cmp_eq_u32_e32 vcc_lo, s7, v3
	v_cndmask_b32_e32 v3, v12, v11, vcc_lo
	v_cmp_eq_u32_e32 vcc_lo, s7, v14
	v_add_nc_u64_e32 v[10:11], 2, v[8:9]
	v_add_nc_u64_e32 v[12:13], 1, v[8:9]
	v_cndmask_b32_e32 v14, v16, v15, vcc_lo
	v_cmp_ne_u32_e32 vcc_lo, 0, v3
	s_delay_alu instid0(VALU_DEP_2) | instskip(NEXT) | instid1(VALU_DEP_4)
	v_cmp_ne_u32_e64 s2, 0, v14
	v_dual_cndmask_b32 v10, v12, v10 :: v_dual_cndmask_b32 v3, v13, v11
	s_delay_alu instid0(VALU_DEP_1) | instskip(NEXT) | instid1(VALU_DEP_1)
	v_dual_cndmask_b32 v8, v8, v10, s2 :: v_dual_cndmask_b32 v9, v9, v3, s2
	v_dual_mov_b32 v3, v2 :: v_dual_bitop2_b32 v8, v8, v2 bitop3:0x14
	s_delay_alu instid0(VALU_DEP_2) | instskip(NEXT) | instid1(VALU_DEP_1)
	v_xor_b32_e32 v9, v9, v2
	v_sub_nc_u64_e32 v[8:9], v[8:9], v[2:3]
.LBB71_11:
	s_or_saveexec_b32 s31, s3
	s_clause 0x2
	s_load_b64 s[44:45], s[0:1], 0x58
	s_load_b64 s[2:3], s[0:1], 0x0
	s_load_b512 s[4:19], s[0:1], 0x18
	s_xor_b32 exec_lo, exec_lo, s31
	s_cbranch_execz .LBB71_13
; %bb.12:
	v_cvt_f32_u32_e32 v2, s30
	s_sub_co_i32 s36, 0, s30
	s_delay_alu instid0(VALU_DEP_1) | instskip(SKIP_1) | instid1(TRANS32_DEP_1)
	v_rcp_iflag_f32_e32 v2, v2
	v_nop
	v_mul_f32_e32 v2, 0x4f7ffffe, v2
	s_delay_alu instid0(VALU_DEP_1) | instskip(NEXT) | instid1(VALU_DEP_1)
	v_cvt_u32_f32_e32 v2, v2
	v_mul_lo_u32 v3, s36, v2
	s_delay_alu instid0(VALU_DEP_1) | instskip(NEXT) | instid1(VALU_DEP_1)
	v_mul_hi_u32 v3, v2, v3
	v_add_nc_u32_e32 v2, v2, v3
	s_delay_alu instid0(VALU_DEP_1) | instskip(NEXT) | instid1(VALU_DEP_1)
	v_mul_hi_u32 v2, v0, v2
	v_mul_lo_u32 v3, v2, s30
	s_delay_alu instid0(VALU_DEP_1) | instskip(NEXT) | instid1(VALU_DEP_1)
	v_dual_add_nc_u32 v8, 1, v2 :: v_dual_sub_nc_u32 v3, v0, v3
	v_subrev_nc_u32_e32 v9, s30, v3
	v_cmp_le_u32_e32 vcc_lo, s30, v3
	s_delay_alu instid0(VALU_DEP_2) | instskip(NEXT) | instid1(VALU_DEP_4)
	v_dual_cndmask_b32 v3, v3, v9, vcc_lo :: v_dual_mov_b32 v9, 0
	v_cndmask_b32_e32 v2, v2, v8, vcc_lo
	s_delay_alu instid0(VALU_DEP_2) | instskip(NEXT) | instid1(VALU_DEP_2)
	v_cmp_le_u32_e32 vcc_lo, s30, v3
	v_add_nc_u32_e32 v8, 1, v2
	s_delay_alu instid0(VALU_DEP_1)
	v_cndmask_b32_e32 v8, v2, v8, vcc_lo
.LBB71_13:
	s_or_b32 exec_lo, exec_lo, s31
	v_mul_u64_e32 v[2:3], s[28:29], v[4:5]
	s_clause 0x1
	s_load_b256 s[36:43], s[0:1], 0xb0
	s_load_b64 s[28:29], s[0:1], 0xd0
	s_wait_kmcnt 0x0
	v_mul_u64_e32 v[4:5], s[24:25], v[8:9]
	s_bfe_u32 s46, ttmp6, 0x40014
	s_lshr_b32 s47, ttmp7, 16
	s_add_co_i32 s46, s46, 1
	s_lshl_b64 s[0:1], s[36:37], 1
	s_lshl_b64 s[24:25], s[38:39], 1
	;; [unrolled: 1-line block ×3, first 2 shown]
	v_max_i64 v[12:13], s[38:39], 0
	v_max_i64 v[14:15], s[36:37], 0
	v_sub_nc_u64_e64 v[30:31], v[8:9], s[40:41]
	v_sub_nc_u64_e64 v[32:33], v[6:7], s[38:39]
	s_delay_alu instid0(VALU_DEP_2)
	v_sub_nc_u64_e32 v[34:35], 0, v[30:31]
	v_sub_nc_u64_e32 v[0:1], v[0:1], v[2:3]
	v_mul_u64_e32 v[2:3], s[26:27], v[6:7]
	s_bfe_u32 s27, ttmp6, 0x40010
	s_mul_i32 s26, s47, s46
	s_and_b32 s46, ttmp7, 0xffff
	s_add_co_i32 s27, s27, 1
	v_max_i64 v[30:31], v[30:31], v[34:35]
	v_mul_u64_e32 v[10:11], s[34:35], v[0:1]
	s_bfe_u32 s34, ttmp6, 0x40008
	s_mul_i32 s27, s46, s27
	s_bfe_u32 s35, ttmp6, 0x40004
	s_add_co_i32 s34, s34, s26
	s_add_co_i32 s26, s35, s27
	s_cmp_eq_u32 s33, 0
	s_mov_b32 s27, 0
	s_cselect_b32 s34, s47, s34
	s_mov_b32 s35, s27
	s_cselect_b32 s26, s46, s26
	s_add_nc_u64 s[28:29], s[28:29], s[34:35]
	s_add_nc_u64 s[26:27], s[42:43], s[26:27]
	s_mul_u64 s[20:21], s[20:21], s[28:29]
	s_mul_u64 s[22:23], s[22:23], s[26:27]
	s_lshl_b64 s[20:21], s[20:21], 3
	s_lshl_b64 s[22:23], s[22:23], 3
	s_add_nc_u64 s[20:21], s[44:45], s[20:21]
	s_sub_nc_u64 s[34:35], 0, s[40:41]
	s_add_nc_u64 s[20:21], s[20:21], s[22:23]
	v_max_i64 v[22:23], s[34:35], 0
	v_lshl_add_u64 v[4:5], v[4:5], 3, s[20:21]
	s_sub_nc_u64 s[20:21], 0, s[36:37]
	s_sub_nc_u64 s[22:23], 0, s[38:39]
	v_not_b32_e32 v12, v12
	v_max_i64 v[18:19], s[22:23], 0
	v_lshl_add_u64 v[2:3], v[2:3], 3, v[4:5]
	v_max_i64 v[4:5], s[40:41], 0
	v_not_b32_e32 v13, v13
	v_not_b32_e32 v14, v14
	;; [unrolled: 1-line block ×3, first 2 shown]
	v_lshl_add_u64 v[2:3], v[10:11], 3, v[2:3]
	v_max_i64 v[10:11], s[20:21], 0
	s_add_nc_u64 s[20:21], s[40:41], s[4:5]
	v_add_nc_u64_e32 v[12:13], s[24:25], v[12:13]
	v_sub_nc_u64_e64 v[16:17], v[8:9], s[20:21]
	global_load_b64 v[2:3], v[2:3], off
	s_add_nc_u64 s[20:21], s[38:39], s[6:7]
	v_add_nc_u64_e32 v[14:15], s[0:1], v[14:15]
	v_sub_nc_u64_e64 v[20:21], v[6:7], s[20:21]
	s_add_nc_u64 s[20:21], s[36:37], s[8:9]
	s_mul_u64 s[0:1], s[10:11], s[28:29]
	v_add_nc_u64_e32 v[26:27], 1, v[16:17]
	v_not_b32_e32 v17, v17
	v_not_b32_e32 v16, v16
	v_sub_nc_u64_e64 v[24:25], v[0:1], s[20:21]
	v_add_nc_u64_e32 v[28:29], 1, v[20:21]
	v_not_b32_e32 v21, v21
	v_not_b32_e32 v20, v20
	v_max_i64 v[16:17], v[26:27], v[16:17]
	s_lshl_b64 s[0:1], s[0:1], 3
	v_add_nc_u64_e32 v[26:27], 1, v[24:25]
	v_not_b32_e32 v25, v25
	v_not_b32_e32 v24, v24
	v_max_i64 v[20:21], v[28:29], v[20:21]
	v_sub_nc_u64_e64 v[28:29], v[0:1], s[36:37]
	v_add_nc_u64_e32 v[12:13], v[12:13], v[18:19]
	v_not_b32_e32 v4, v4
	v_max_i64 v[24:25], v[26:27], v[24:25]
	v_sub_nc_u64_e32 v[26:27], 0, v[32:33]
	v_not_b32_e32 v5, v5
	s_add_nc_u64 s[0:1], s[2:3], s[0:1]
	v_sub_nc_u64_e32 v[36:37], 0, v[28:29]
	v_add_nc_u64_e32 v[10:11], v[14:15], v[10:11]
	v_add_nc_u64_e32 v[12:13], s[6:7], v[12:13]
	v_add_nc_u64_e32 v[4:5], s[30:31], v[4:5]
	v_max_i64 v[26:27], v[32:33], v[26:27]
	v_max_i64 v[28:29], v[28:29], v[36:37]
	s_delay_alu instid0(VALU_DEP_3) | instskip(NEXT) | instid1(VALU_DEP_1)
	v_add_nc_u64_e32 v[4:5], v[4:5], v[22:23]
	v_add_nc_u64_e32 v[4:5], s[4:5], v[4:5]
	;; [unrolled: 1-line block ×3, first 2 shown]
	s_mul_u64 s[4:5], s[12:13], s[26:27]
	s_delay_alu instid0(SALU_CYCLE_1) | instskip(NEXT) | instid1(SALU_CYCLE_1)
	s_lshl_b64 s[2:3], s[4:5], 3
	s_add_nc_u64 s[0:1], s[0:1], s[2:3]
	v_add_nc_u64_e32 v[6:7], v[6:7], v[20:21]
	s_delay_alu instid0(VALU_DEP_2) | instskip(SKIP_2) | instid1(VALU_DEP_4)
	v_sub_nc_u64_e32 v[4:5], v[4:5], v[8:9]
	v_add_nc_u64_e32 v[8:9], s[8:9], v[10:11]
	v_add_nc_u64_e32 v[0:1], v[0:1], v[24:25]
	v_sub_nc_u64_e32 v[6:7], v[12:13], v[6:7]
	s_delay_alu instid0(VALU_DEP_4) | instskip(NEXT) | instid1(VALU_DEP_3)
	v_add_nc_u64_e32 v[4:5], v[4:5], v[30:31]
	v_sub_nc_u64_e32 v[0:1], v[8:9], v[0:1]
	s_delay_alu instid0(VALU_DEP_3) | instskip(NEXT) | instid1(VALU_DEP_3)
	v_add_nc_u64_e32 v[6:7], v[6:7], v[26:27]
	v_mul_u64_e32 v[4:5], s[14:15], v[4:5]
	s_delay_alu instid0(VALU_DEP_3) | instskip(NEXT) | instid1(VALU_DEP_3)
	v_add_nc_u64_e32 v[0:1], v[0:1], v[28:29]
	v_mul_u64_e32 v[6:7], s[16:17], v[6:7]
	s_delay_alu instid0(VALU_DEP_2) | instskip(NEXT) | instid1(VALU_DEP_4)
	v_mul_u64_e32 v[0:1], s[18:19], v[0:1]
	v_lshl_add_u64 v[4:5], v[4:5], 3, s[0:1]
	s_delay_alu instid0(VALU_DEP_1) | instskip(NEXT) | instid1(VALU_DEP_1)
	v_lshl_add_u64 v[4:5], v[6:7], 3, v[4:5]
	v_lshl_add_u64 v[0:1], v[0:1], 3, v[4:5]
	s_wait_xcnt 0x0
	s_wait_loadcnt 0x0
	global_atomic_add_f32 v[0:1], v2, off scope:SCOPE_DEV
	s_wait_xcnt 0x0
	global_atomic_add_f32 v[0:1], v3, off offset:4 scope:SCOPE_DEV
.LBB71_14:
	s_endpgm
	.section	.rodata,"a",@progbits
	.p2align	6, 0x0
	.amdhsa_kernel _ZN2at6native12_GLOBAL__N_136reflection_pad3d_backward_out_kernelIN3c107complexIfEEEEvN5torch10headeronly6detail27GenericPackedTensorAccessorINS8_14TensorAccessorINS3_8ArrayRefIlEET_Lm4ENS7_16DefaultPtrTraitsElEENS_6detail16IndexBoundsCheckILm5ElEESD_Lm5ESE_lEENS9_INSA_ISC_KSD_Lm4ESE_lEESI_SK_Lm5ESE_lEElllll
		.amdhsa_group_segment_fixed_size 0
		.amdhsa_private_segment_fixed_size 0
		.amdhsa_kernarg_size 472
		.amdhsa_user_sgpr_count 2
		.amdhsa_user_sgpr_dispatch_ptr 0
		.amdhsa_user_sgpr_queue_ptr 0
		.amdhsa_user_sgpr_kernarg_segment_ptr 1
		.amdhsa_user_sgpr_dispatch_id 0
		.amdhsa_user_sgpr_kernarg_preload_length 0
		.amdhsa_user_sgpr_kernarg_preload_offset 0
		.amdhsa_user_sgpr_private_segment_size 0
		.amdhsa_wavefront_size32 1
		.amdhsa_uses_dynamic_stack 0
		.amdhsa_enable_private_segment 0
		.amdhsa_system_sgpr_workgroup_id_x 1
		.amdhsa_system_sgpr_workgroup_id_y 1
		.amdhsa_system_sgpr_workgroup_id_z 1
		.amdhsa_system_sgpr_workgroup_info 0
		.amdhsa_system_vgpr_workitem_id 0
		.amdhsa_next_free_vgpr 38
		.amdhsa_next_free_sgpr 48
		.amdhsa_named_barrier_count 0
		.amdhsa_reserve_vcc 1
		.amdhsa_float_round_mode_32 0
		.amdhsa_float_round_mode_16_64 0
		.amdhsa_float_denorm_mode_32 3
		.amdhsa_float_denorm_mode_16_64 3
		.amdhsa_fp16_overflow 0
		.amdhsa_memory_ordered 1
		.amdhsa_forward_progress 1
		.amdhsa_inst_pref_size 25
		.amdhsa_round_robin_scheduling 0
		.amdhsa_exception_fp_ieee_invalid_op 0
		.amdhsa_exception_fp_denorm_src 0
		.amdhsa_exception_fp_ieee_div_zero 0
		.amdhsa_exception_fp_ieee_overflow 0
		.amdhsa_exception_fp_ieee_underflow 0
		.amdhsa_exception_fp_ieee_inexact 0
		.amdhsa_exception_int_div_zero 0
	.end_amdhsa_kernel
	.section	.text._ZN2at6native12_GLOBAL__N_136reflection_pad3d_backward_out_kernelIN3c107complexIfEEEEvN5torch10headeronly6detail27GenericPackedTensorAccessorINS8_14TensorAccessorINS3_8ArrayRefIlEET_Lm4ENS7_16DefaultPtrTraitsElEENS_6detail16IndexBoundsCheckILm5ElEESD_Lm5ESE_lEENS9_INSA_ISC_KSD_Lm4ESE_lEESI_SK_Lm5ESE_lEElllll,"axG",@progbits,_ZN2at6native12_GLOBAL__N_136reflection_pad3d_backward_out_kernelIN3c107complexIfEEEEvN5torch10headeronly6detail27GenericPackedTensorAccessorINS8_14TensorAccessorINS3_8ArrayRefIlEET_Lm4ENS7_16DefaultPtrTraitsElEENS_6detail16IndexBoundsCheckILm5ElEESD_Lm5ESE_lEENS9_INSA_ISC_KSD_Lm4ESE_lEESI_SK_Lm5ESE_lEElllll,comdat
.Lfunc_end71:
	.size	_ZN2at6native12_GLOBAL__N_136reflection_pad3d_backward_out_kernelIN3c107complexIfEEEEvN5torch10headeronly6detail27GenericPackedTensorAccessorINS8_14TensorAccessorINS3_8ArrayRefIlEET_Lm4ENS7_16DefaultPtrTraitsElEENS_6detail16IndexBoundsCheckILm5ElEESD_Lm5ESE_lEENS9_INSA_ISC_KSD_Lm4ESE_lEESI_SK_Lm5ESE_lEElllll, .Lfunc_end71-_ZN2at6native12_GLOBAL__N_136reflection_pad3d_backward_out_kernelIN3c107complexIfEEEEvN5torch10headeronly6detail27GenericPackedTensorAccessorINS8_14TensorAccessorINS3_8ArrayRefIlEET_Lm4ENS7_16DefaultPtrTraitsElEENS_6detail16IndexBoundsCheckILm5ElEESD_Lm5ESE_lEENS9_INSA_ISC_KSD_Lm4ESE_lEESI_SK_Lm5ESE_lEElllll
                                        ; -- End function
	.set _ZN2at6native12_GLOBAL__N_136reflection_pad3d_backward_out_kernelIN3c107complexIfEEEEvN5torch10headeronly6detail27GenericPackedTensorAccessorINS8_14TensorAccessorINS3_8ArrayRefIlEET_Lm4ENS7_16DefaultPtrTraitsElEENS_6detail16IndexBoundsCheckILm5ElEESD_Lm5ESE_lEENS9_INSA_ISC_KSD_Lm4ESE_lEESI_SK_Lm5ESE_lEElllll.num_vgpr, 38
	.set _ZN2at6native12_GLOBAL__N_136reflection_pad3d_backward_out_kernelIN3c107complexIfEEEEvN5torch10headeronly6detail27GenericPackedTensorAccessorINS8_14TensorAccessorINS3_8ArrayRefIlEET_Lm4ENS7_16DefaultPtrTraitsElEENS_6detail16IndexBoundsCheckILm5ElEESD_Lm5ESE_lEENS9_INSA_ISC_KSD_Lm4ESE_lEESI_SK_Lm5ESE_lEElllll.num_agpr, 0
	.set _ZN2at6native12_GLOBAL__N_136reflection_pad3d_backward_out_kernelIN3c107complexIfEEEEvN5torch10headeronly6detail27GenericPackedTensorAccessorINS8_14TensorAccessorINS3_8ArrayRefIlEET_Lm4ENS7_16DefaultPtrTraitsElEENS_6detail16IndexBoundsCheckILm5ElEESD_Lm5ESE_lEENS9_INSA_ISC_KSD_Lm4ESE_lEESI_SK_Lm5ESE_lEElllll.numbered_sgpr, 48
	.set _ZN2at6native12_GLOBAL__N_136reflection_pad3d_backward_out_kernelIN3c107complexIfEEEEvN5torch10headeronly6detail27GenericPackedTensorAccessorINS8_14TensorAccessorINS3_8ArrayRefIlEET_Lm4ENS7_16DefaultPtrTraitsElEENS_6detail16IndexBoundsCheckILm5ElEESD_Lm5ESE_lEENS9_INSA_ISC_KSD_Lm4ESE_lEESI_SK_Lm5ESE_lEElllll.num_named_barrier, 0
	.set _ZN2at6native12_GLOBAL__N_136reflection_pad3d_backward_out_kernelIN3c107complexIfEEEEvN5torch10headeronly6detail27GenericPackedTensorAccessorINS8_14TensorAccessorINS3_8ArrayRefIlEET_Lm4ENS7_16DefaultPtrTraitsElEENS_6detail16IndexBoundsCheckILm5ElEESD_Lm5ESE_lEENS9_INSA_ISC_KSD_Lm4ESE_lEESI_SK_Lm5ESE_lEElllll.private_seg_size, 0
	.set _ZN2at6native12_GLOBAL__N_136reflection_pad3d_backward_out_kernelIN3c107complexIfEEEEvN5torch10headeronly6detail27GenericPackedTensorAccessorINS8_14TensorAccessorINS3_8ArrayRefIlEET_Lm4ENS7_16DefaultPtrTraitsElEENS_6detail16IndexBoundsCheckILm5ElEESD_Lm5ESE_lEENS9_INSA_ISC_KSD_Lm4ESE_lEESI_SK_Lm5ESE_lEElllll.uses_vcc, 1
	.set _ZN2at6native12_GLOBAL__N_136reflection_pad3d_backward_out_kernelIN3c107complexIfEEEEvN5torch10headeronly6detail27GenericPackedTensorAccessorINS8_14TensorAccessorINS3_8ArrayRefIlEET_Lm4ENS7_16DefaultPtrTraitsElEENS_6detail16IndexBoundsCheckILm5ElEESD_Lm5ESE_lEENS9_INSA_ISC_KSD_Lm4ESE_lEESI_SK_Lm5ESE_lEElllll.uses_flat_scratch, 0
	.set _ZN2at6native12_GLOBAL__N_136reflection_pad3d_backward_out_kernelIN3c107complexIfEEEEvN5torch10headeronly6detail27GenericPackedTensorAccessorINS8_14TensorAccessorINS3_8ArrayRefIlEET_Lm4ENS7_16DefaultPtrTraitsElEENS_6detail16IndexBoundsCheckILm5ElEESD_Lm5ESE_lEENS9_INSA_ISC_KSD_Lm4ESE_lEESI_SK_Lm5ESE_lEElllll.has_dyn_sized_stack, 0
	.set _ZN2at6native12_GLOBAL__N_136reflection_pad3d_backward_out_kernelIN3c107complexIfEEEEvN5torch10headeronly6detail27GenericPackedTensorAccessorINS8_14TensorAccessorINS3_8ArrayRefIlEET_Lm4ENS7_16DefaultPtrTraitsElEENS_6detail16IndexBoundsCheckILm5ElEESD_Lm5ESE_lEENS9_INSA_ISC_KSD_Lm4ESE_lEESI_SK_Lm5ESE_lEElllll.has_recursion, 0
	.set _ZN2at6native12_GLOBAL__N_136reflection_pad3d_backward_out_kernelIN3c107complexIfEEEEvN5torch10headeronly6detail27GenericPackedTensorAccessorINS8_14TensorAccessorINS3_8ArrayRefIlEET_Lm4ENS7_16DefaultPtrTraitsElEENS_6detail16IndexBoundsCheckILm5ElEESD_Lm5ESE_lEENS9_INSA_ISC_KSD_Lm4ESE_lEESI_SK_Lm5ESE_lEElllll.has_indirect_call, 0
	.section	.AMDGPU.csdata,"",@progbits
; Kernel info:
; codeLenInByte = 3112
; TotalNumSgprs: 50
; NumVgprs: 38
; ScratchSize: 0
; MemoryBound: 0
; FloatMode: 240
; IeeeMode: 1
; LDSByteSize: 0 bytes/workgroup (compile time only)
; SGPRBlocks: 0
; VGPRBlocks: 2
; NumSGPRsForWavesPerEU: 50
; NumVGPRsForWavesPerEU: 38
; NamedBarCnt: 0
; Occupancy: 16
; WaveLimiterHint : 0
; COMPUTE_PGM_RSRC2:SCRATCH_EN: 0
; COMPUTE_PGM_RSRC2:USER_SGPR: 2
; COMPUTE_PGM_RSRC2:TRAP_HANDLER: 0
; COMPUTE_PGM_RSRC2:TGID_X_EN: 1
; COMPUTE_PGM_RSRC2:TGID_Y_EN: 1
; COMPUTE_PGM_RSRC2:TGID_Z_EN: 1
; COMPUTE_PGM_RSRC2:TIDIG_COMP_CNT: 0
	.section	.text._ZN2at6native12_GLOBAL__N_136reflection_pad3d_backward_out_kernelIN3c104HalfEEEvN5torch10headeronly6detail27GenericPackedTensorAccessorINS7_14TensorAccessorINS3_8ArrayRefIlEET_Lm4ENS6_16DefaultPtrTraitsElEENS_6detail16IndexBoundsCheckILm5ElEESC_Lm5ESD_lEENS8_INS9_ISB_KSC_Lm4ESD_lEESH_SJ_Lm5ESD_lEElllll,"axG",@progbits,_ZN2at6native12_GLOBAL__N_136reflection_pad3d_backward_out_kernelIN3c104HalfEEEvN5torch10headeronly6detail27GenericPackedTensorAccessorINS7_14TensorAccessorINS3_8ArrayRefIlEET_Lm4ENS6_16DefaultPtrTraitsElEENS_6detail16IndexBoundsCheckILm5ElEESC_Lm5ESD_lEENS8_INS9_ISB_KSC_Lm4ESD_lEESH_SJ_Lm5ESD_lEElllll,comdat
	.globl	_ZN2at6native12_GLOBAL__N_136reflection_pad3d_backward_out_kernelIN3c104HalfEEEvN5torch10headeronly6detail27GenericPackedTensorAccessorINS7_14TensorAccessorINS3_8ArrayRefIlEET_Lm4ENS6_16DefaultPtrTraitsElEENS_6detail16IndexBoundsCheckILm5ElEESC_Lm5ESD_lEENS8_INS9_ISB_KSC_Lm4ESD_lEESH_SJ_Lm5ESD_lEElllll ; -- Begin function _ZN2at6native12_GLOBAL__N_136reflection_pad3d_backward_out_kernelIN3c104HalfEEEvN5torch10headeronly6detail27GenericPackedTensorAccessorINS7_14TensorAccessorINS3_8ArrayRefIlEET_Lm4ENS6_16DefaultPtrTraitsElEENS_6detail16IndexBoundsCheckILm5ElEESC_Lm5ESD_lEENS8_INS9_ISB_KSC_Lm4ESD_lEESH_SJ_Lm5ESD_lEElllll
	.p2align	8
	.type	_ZN2at6native12_GLOBAL__N_136reflection_pad3d_backward_out_kernelIN3c104HalfEEEvN5torch10headeronly6detail27GenericPackedTensorAccessorINS7_14TensorAccessorINS3_8ArrayRefIlEET_Lm4ENS6_16DefaultPtrTraitsElEENS_6detail16IndexBoundsCheckILm5ElEESC_Lm5ESD_lEENS8_INS9_ISB_KSC_Lm4ESD_lEESH_SJ_Lm5ESD_lEElllll,@function
_ZN2at6native12_GLOBAL__N_136reflection_pad3d_backward_out_kernelIN3c104HalfEEEvN5torch10headeronly6detail27GenericPackedTensorAccessorINS7_14TensorAccessorINS3_8ArrayRefIlEET_Lm4ENS6_16DefaultPtrTraitsElEENS_6detail16IndexBoundsCheckILm5ElEESC_Lm5ESD_lEENS8_INS9_ISB_KSC_Lm4ESD_lEESH_SJ_Lm5ESD_lEElllll: ; @_ZN2at6native12_GLOBAL__N_136reflection_pad3d_backward_out_kernelIN3c104HalfEEEvN5torch10headeronly6detail27GenericPackedTensorAccessorINS7_14TensorAccessorINS3_8ArrayRefIlEET_Lm4ENS6_16DefaultPtrTraitsElEENS_6detail16IndexBoundsCheckILm5ElEESC_Lm5ESD_lEENS8_INS9_ISB_KSC_Lm4ESD_lEESH_SJ_Lm5ESD_lEElllll
; %bb.0:
	s_clause 0x2
	s_load_b32 s2, s[0:1], 0xe4
	s_load_b128 s[4:7], s[0:1], 0x70
	s_load_b64 s[28:29], s[0:1], 0x80
	s_bfe_u32 s3, ttmp6, 0x4000c
	v_mov_b32_e32 v2, 0
	s_add_co_i32 s3, s3, 1
	s_and_b32 s8, ttmp6, 15
	s_mul_i32 s3, ttmp9, s3
	s_getreg_b32 s33, hwreg(HW_REG_IB_STS2, 6, 4)
	v_mov_b32_e32 v1, v2
	s_add_co_i32 s8, s8, s3
	s_wait_kmcnt 0x0
	s_and_b32 s2, s2, 0xffff
	s_cmp_eq_u32 s33, 0
	s_mul_u64 s[30:31], s[28:29], s[6:7]
	s_cselect_b32 s3, ttmp9, s8
	s_delay_alu instid0(SALU_CYCLE_1)
	v_mad_nc_u64_u32 v[0:1], s2, s3, v[0:1]
	s_mul_u64 s[2:3], s[30:31], s[4:5]
	s_delay_alu instid0(VALU_DEP_1) | instid1(SALU_CYCLE_1)
	v_cmp_gt_i64_e32 vcc_lo, s[2:3], v[0:1]
	s_and_saveexec_b32 s2, vcc_lo
	s_cbranch_execz .LBB72_19
; %bb.1:
	v_or_b32_e32 v3, s29, v1
                                        ; implicit-def: $vgpr4_vgpr5
	s_delay_alu instid0(VALU_DEP_1) | instskip(SKIP_2) | instid1(SALU_CYCLE_1)
	v_cmp_ne_u64_e32 vcc_lo, 0, v[2:3]
	v_ashrrev_i32_e32 v2, 31, v1
	s_and_saveexec_b32 s2, vcc_lo
	s_xor_b32 s3, exec_lo, s2
	s_cbranch_execz .LBB72_3
; %bb.2:
	s_ashr_i32 s4, s29, 31
	s_mov_b32 s17, 0
	s_mov_b32 s5, s4
	v_dual_mov_b32 v3, v2 :: v_dual_mov_b32 v7, 0
	s_add_nc_u64 s[8:9], s[28:29], s[4:5]
	s_delay_alu instid0(SALU_CYCLE_1) | instskip(NEXT) | instid1(VALU_DEP_1)
	s_xor_b64 s[8:9], s[8:9], s[4:5]
	v_add_nc_u64_e32 v[4:5], v[0:1], v[2:3]
	s_cvt_f32_u32 s2, s8
	s_cvt_f32_u32 s5, s9
	s_sub_nc_u64 s[12:13], 0, s[8:9]
	v_dual_mov_b32 v9, v7 :: v_dual_mov_b32 v15, v7
	s_delay_alu instid0(SALU_CYCLE_1) | instskip(NEXT) | instid1(VALU_DEP_2)
	s_fmamk_f32 s2, s5, 0x4f800000, s2
	v_xor_b32_e32 v6, v4, v2
	v_xor_b32_e32 v8, v5, v2
	s_delay_alu instid0(SALU_CYCLE_1) | instskip(NEXT) | instid1(TRANS32_DEP_1)
	v_s_rcp_f32 s2, s2
	s_mul_f32 s2, s2, 0x5f7ffffc
	s_delay_alu instid0(SALU_CYCLE_3) | instskip(NEXT) | instid1(SALU_CYCLE_3)
	s_mul_f32 s5, s2, 0x2f800000
	s_trunc_f32 s5, s5
	s_delay_alu instid0(SALU_CYCLE_3) | instskip(SKIP_1) | instid1(SALU_CYCLE_2)
	s_fmamk_f32 s2, s5, 0xcf800000, s2
	s_cvt_u32_f32 s11, s5
	s_cvt_u32_f32 s10, s2
	s_delay_alu instid0(SALU_CYCLE_3) | instskip(NEXT) | instid1(SALU_CYCLE_1)
	s_mul_u64 s[14:15], s[12:13], s[10:11]
	s_mul_hi_u32 s19, s10, s15
	s_mul_i32 s18, s10, s15
	s_mul_hi_u32 s16, s10, s14
	s_mul_i32 s5, s11, s14
	s_add_nc_u64 s[18:19], s[16:17], s[18:19]
	s_mul_hi_u32 s2, s11, s14
	s_mul_hi_u32 s20, s11, s15
	s_add_co_u32 s5, s18, s5
	s_add_co_ci_u32 s16, s19, s2
	s_mul_i32 s14, s11, s15
	s_add_co_ci_u32 s15, s20, 0
	s_delay_alu instid0(SALU_CYCLE_1) | instskip(NEXT) | instid1(SALU_CYCLE_1)
	s_add_nc_u64 s[14:15], s[16:17], s[14:15]
	s_add_co_u32 s10, s10, s14
	s_cselect_b32 s2, -1, 0
	s_delay_alu instid0(SALU_CYCLE_1) | instskip(SKIP_1) | instid1(SALU_CYCLE_1)
	s_cmp_lg_u32 s2, 0
	s_add_co_ci_u32 s11, s11, s15
	s_mul_u64 s[12:13], s[12:13], s[10:11]
	s_delay_alu instid0(SALU_CYCLE_1)
	s_mul_hi_u32 s15, s10, s13
	s_mul_i32 s14, s10, s13
	s_mul_hi_u32 s16, s10, s12
	s_mul_i32 s5, s11, s12
	s_add_nc_u64 s[14:15], s[16:17], s[14:15]
	s_mul_hi_u32 s2, s11, s12
	s_mul_hi_u32 s18, s11, s13
	s_add_co_u32 s5, s14, s5
	s_add_co_ci_u32 s16, s15, s2
	s_mul_i32 s12, s11, s13
	s_add_co_ci_u32 s13, s18, 0
	s_delay_alu instid0(SALU_CYCLE_1) | instskip(NEXT) | instid1(SALU_CYCLE_1)
	s_add_nc_u64 s[12:13], s[16:17], s[12:13]
	s_add_co_u32 s2, s10, s12
	s_cselect_b32 s5, -1, 0
	v_nop
	v_mul_hi_u32 v14, v6, s2
	s_cmp_lg_u32 s5, 0
	s_add_co_ci_u32 s16, s11, s13
	s_mov_b64 s[10:11], 0xffffffff
	v_mul_u64_e32 v[10:11], s[16:17], v[6:7]
	s_and_b64 s[10:11], s[2:3], s[10:11]
	v_mul_u64_e32 v[12:13], s[16:17], v[8:9]
	v_mul_u64_e32 v[4:5], s[10:11], v[8:9]
	s_delay_alu instid0(VALU_DEP_3) | instskip(NEXT) | instid1(VALU_DEP_1)
	v_add_nc_u64_e32 v[10:11], v[14:15], v[10:11]
	v_add_co_u32 v3, vcc_lo, v10, v4
	s_delay_alu instid0(VALU_DEP_2) | instskip(SKIP_1) | instid1(VALU_DEP_1)
	v_add_co_ci_u32_e32 v14, vcc_lo, v11, v5, vcc_lo
	v_add_co_ci_u32_e32 v13, vcc_lo, 0, v13, vcc_lo
	v_add_nc_u64_e32 v[4:5], v[14:15], v[12:13]
	s_delay_alu instid0(VALU_DEP_1) | instskip(NEXT) | instid1(VALU_DEP_1)
	v_mul_u64_e32 v[10:11], s[8:9], v[4:5]
	v_sub_nc_u32_e32 v3, v8, v11
	s_delay_alu instid0(VALU_DEP_2) | instskip(NEXT) | instid1(VALU_DEP_1)
	v_sub_co_u32 v6, vcc_lo, v6, v10
	v_sub_co_ci_u32_e64 v10, null, v8, v11, vcc_lo
	s_delay_alu instid0(VALU_DEP_3) | instskip(NEXT) | instid1(VALU_DEP_3)
	v_subrev_co_ci_u32_e64 v3, null, s9, v3, vcc_lo
	v_sub_co_u32 v7, s2, v6, s8
	s_delay_alu instid0(VALU_DEP_1) | instskip(NEXT) | instid1(VALU_DEP_2)
	v_subrev_co_ci_u32_e64 v3, null, 0, v3, s2
	v_cmp_le_u32_e32 vcc_lo, s8, v7
	v_cndmask_b32_e64 v7, 0, -1, vcc_lo
	s_delay_alu instid0(VALU_DEP_3)
	v_cmp_le_u32_e32 vcc_lo, s9, v3
	v_cndmask_b32_e64 v8, 0, -1, vcc_lo
	v_cmp_le_u32_e32 vcc_lo, s8, v6
	v_cndmask_b32_e64 v11, 0, -1, vcc_lo
	;; [unrolled: 2-line block ×3, first 2 shown]
	v_cmp_eq_u32_e32 vcc_lo, s9, v3
	v_cndmask_b32_e32 v3, v8, v7, vcc_lo
	v_cmp_eq_u32_e32 vcc_lo, s9, v10
	v_add_nc_u64_e32 v[6:7], 2, v[4:5]
	v_add_nc_u64_e32 v[8:9], 1, v[4:5]
	v_cndmask_b32_e32 v10, v12, v11, vcc_lo
	v_cmp_ne_u32_e32 vcc_lo, 0, v3
	s_delay_alu instid0(VALU_DEP_2) | instskip(NEXT) | instid1(VALU_DEP_4)
	v_cmp_ne_u32_e64 s2, 0, v10
	v_dual_cndmask_b32 v3, v9, v7, vcc_lo :: v_dual_cndmask_b32 v7, v8, v6, vcc_lo
	s_delay_alu instid0(VALU_DEP_1) | instskip(NEXT) | instid1(VALU_DEP_1)
	v_dual_cndmask_b32 v4, v4, v7, s2 :: v_dual_bitop2_b32 v6, s4, v2 bitop3:0x14
	v_dual_cndmask_b32 v3, v5, v3, s2 :: v_dual_mov_b32 v7, v6
	s_delay_alu instid0(VALU_DEP_2) | instskip(NEXT) | instid1(VALU_DEP_2)
	v_xor_b32_e32 v4, v4, v6
	v_xor_b32_e32 v5, v3, v6
	s_delay_alu instid0(VALU_DEP_1)
	v_sub_nc_u64_e32 v[4:5], v[4:5], v[6:7]
.LBB72_3:
	s_and_not1_saveexec_b32 s2, s3
	s_cbranch_execz .LBB72_5
; %bb.4:
	v_cvt_f32_u32_e32 v3, s28
	s_sub_co_i32 s3, 0, s28
	s_delay_alu instid0(VALU_DEP_1) | instskip(SKIP_1) | instid1(TRANS32_DEP_1)
	v_rcp_iflag_f32_e32 v3, v3
	v_nop
	v_mul_f32_e32 v3, 0x4f7ffffe, v3
	s_delay_alu instid0(VALU_DEP_1) | instskip(NEXT) | instid1(VALU_DEP_1)
	v_cvt_u32_f32_e32 v3, v3
	v_mul_lo_u32 v4, s3, v3
	s_delay_alu instid0(VALU_DEP_1) | instskip(NEXT) | instid1(VALU_DEP_1)
	v_mul_hi_u32 v4, v3, v4
	v_add_nc_u32_e32 v3, v3, v4
	s_delay_alu instid0(VALU_DEP_1) | instskip(NEXT) | instid1(VALU_DEP_1)
	v_mul_hi_u32 v3, v0, v3
	v_mul_lo_u32 v4, v3, s28
	s_delay_alu instid0(VALU_DEP_1) | instskip(NEXT) | instid1(VALU_DEP_1)
	v_dual_add_nc_u32 v5, 1, v3 :: v_dual_sub_nc_u32 v4, v0, v4
	v_subrev_nc_u32_e32 v6, s28, v4
	v_cmp_le_u32_e32 vcc_lo, s28, v4
	s_delay_alu instid0(VALU_DEP_2) | instskip(NEXT) | instid1(VALU_DEP_1)
	v_dual_cndmask_b32 v4, v4, v6 :: v_dual_cndmask_b32 v3, v3, v5
	v_cmp_le_u32_e32 vcc_lo, s28, v4
	s_delay_alu instid0(VALU_DEP_2) | instskip(NEXT) | instid1(VALU_DEP_1)
	v_add_nc_u32_e32 v5, 1, v3
	v_dual_cndmask_b32 v4, v3, v5 :: v_dual_mov_b32 v5, 0
.LBB72_5:
	s_or_b32 exec_lo, exec_lo, s2
	s_delay_alu instid0(VALU_DEP_1) | instskip(SKIP_1) | instid1(VALU_DEP_1)
	v_dual_mov_b32 v8, 0 :: v_dual_bitop2_b32 v9, s7, v5 bitop3:0x54
                                        ; implicit-def: $vgpr6_vgpr7
	s_mov_b32 s2, exec_lo
	v_cmpx_ne_u64_e32 0, v[8:9]
	s_xor_b32 s3, exec_lo, s2
	s_cbranch_execz .LBB72_7
; %bb.6:
	s_ashr_i32 s4, s7, 31
	s_mov_b32 s15, 0
	s_mov_b32 s5, s4
	v_dual_mov_b32 v13, v8 :: v_dual_ashrrev_i32 v6, 31, v5
	s_add_nc_u64 s[8:9], s[6:7], s[4:5]
	v_mov_b32_e32 v15, v8
	s_xor_b64 s[4:5], s[8:9], s[4:5]
	s_delay_alu instid0(VALU_DEP_2)
	v_mov_b32_e32 v7, v6
	s_cvt_f32_u32 s2, s4
	s_cvt_f32_u32 s7, s5
	s_sub_nc_u64 s[10:11], 0, s[4:5]
	v_mov_b32_e32 v21, v8
	v_add_nc_u64_e32 v[10:11], v[4:5], v[6:7]
	s_fmamk_f32 s2, s7, 0x4f800000, s2
	v_mov_b32_e32 v9, v8
	s_delay_alu instid0(SALU_CYCLE_2) | instskip(NEXT) | instid1(VALU_DEP_2)
	v_s_rcp_f32 s2, s2
	v_xor_b32_e32 v12, v10, v6
	s_delay_alu instid0(VALU_DEP_3) | instskip(NEXT) | instid1(TRANS32_DEP_1)
	v_xor_b32_e32 v14, v11, v6
	s_mul_f32 s2, s2, 0x5f7ffffc
	s_delay_alu instid0(SALU_CYCLE_3) | instskip(NEXT) | instid1(SALU_CYCLE_3)
	s_mul_f32 s7, s2, 0x2f800000
	s_trunc_f32 s7, s7
	s_delay_alu instid0(SALU_CYCLE_3) | instskip(SKIP_1) | instid1(SALU_CYCLE_2)
	s_fmamk_f32 s2, s7, 0xcf800000, s2
	s_cvt_u32_f32 s9, s7
	s_cvt_u32_f32 s8, s2
	s_delay_alu instid0(SALU_CYCLE_3) | instskip(NEXT) | instid1(SALU_CYCLE_1)
	s_mul_u64 s[12:13], s[10:11], s[8:9]
	s_mul_hi_u32 s17, s8, s13
	s_mul_i32 s16, s8, s13
	s_mul_hi_u32 s14, s8, s12
	s_mul_i32 s7, s9, s12
	s_add_nc_u64 s[16:17], s[14:15], s[16:17]
	s_mul_hi_u32 s2, s9, s12
	s_mul_hi_u32 s18, s9, s13
	s_add_co_u32 s7, s16, s7
	s_add_co_ci_u32 s14, s17, s2
	s_mul_i32 s12, s9, s13
	s_add_co_ci_u32 s13, s18, 0
	s_delay_alu instid0(SALU_CYCLE_1) | instskip(NEXT) | instid1(SALU_CYCLE_1)
	s_add_nc_u64 s[12:13], s[14:15], s[12:13]
	s_add_co_u32 s8, s8, s12
	s_cselect_b32 s2, -1, 0
	s_delay_alu instid0(SALU_CYCLE_1) | instskip(SKIP_1) | instid1(SALU_CYCLE_1)
	s_cmp_lg_u32 s2, 0
	s_add_co_ci_u32 s9, s9, s13
	s_mul_u64 s[10:11], s[10:11], s[8:9]
	s_delay_alu instid0(SALU_CYCLE_1)
	s_mul_hi_u32 s13, s8, s11
	s_mul_i32 s12, s8, s11
	s_mul_hi_u32 s14, s8, s10
	s_mul_i32 s7, s9, s10
	s_add_nc_u64 s[12:13], s[14:15], s[12:13]
	s_mul_hi_u32 s2, s9, s10
	s_mul_hi_u32 s16, s9, s11
	s_add_co_u32 s7, s12, s7
	s_add_co_ci_u32 s14, s13, s2
	s_mul_i32 s10, s9, s11
	s_add_co_ci_u32 s11, s16, 0
	s_delay_alu instid0(SALU_CYCLE_1) | instskip(NEXT) | instid1(SALU_CYCLE_1)
	s_add_nc_u64 s[10:11], s[14:15], s[10:11]
	s_add_co_u32 s2, s8, s10
	s_cselect_b32 s7, -1, 0
	v_mul_hi_u32 v20, v12, s2
	s_cmp_lg_u32 s7, 0
	s_add_co_ci_u32 s14, s9, s11
	s_mov_b64 s[8:9], 0xffffffff
	v_mul_u64_e32 v[16:17], s[14:15], v[12:13]
	s_and_b64 s[8:9], s[2:3], s[8:9]
	v_mul_u64_e32 v[18:19], s[14:15], v[14:15]
	v_mul_u64_e32 v[10:11], s[8:9], v[14:15]
	s_delay_alu instid0(VALU_DEP_3) | instskip(NEXT) | instid1(VALU_DEP_1)
	v_add_nc_u64_e32 v[16:17], v[20:21], v[16:17]
	v_add_co_u32 v3, vcc_lo, v16, v10
	s_delay_alu instid0(VALU_DEP_2) | instskip(SKIP_1) | instid1(VALU_DEP_1)
	v_add_co_ci_u32_e32 v8, vcc_lo, v17, v11, vcc_lo
	v_add_co_ci_u32_e32 v19, vcc_lo, 0, v19, vcc_lo
	v_add_nc_u64_e32 v[8:9], v[8:9], v[18:19]
	s_delay_alu instid0(VALU_DEP_1) | instskip(NEXT) | instid1(VALU_DEP_1)
	v_mul_u64_e32 v[8:9], s[4:5], v[8:9]
	v_sub_co_u32 v8, vcc_lo, v12, v8
	s_delay_alu instid0(VALU_DEP_1) | instskip(NEXT) | instid1(VALU_DEP_1)
	v_cmp_le_u32_e64 s2, s4, v8
	v_cndmask_b32_e64 v12, 0, -1, s2
	s_delay_alu instid0(VALU_DEP_4) | instskip(SKIP_1) | instid1(VALU_DEP_2)
	v_sub_nc_u32_e32 v3, v14, v9
	v_sub_co_ci_u32_e64 v9, null, v14, v9, vcc_lo
	v_subrev_co_ci_u32_e64 v3, null, s5, v3, vcc_lo
	v_sub_co_u32 v10, vcc_lo, v8, s4
	s_delay_alu instid0(VALU_DEP_1) | instskip(NEXT) | instid1(VALU_DEP_2)
	v_subrev_co_ci_u32_e64 v11, null, 0, v3, vcc_lo
	v_cmp_le_u32_e64 s2, s4, v10
	v_subrev_co_ci_u32_e64 v3, null, s5, v3, vcc_lo
	v_cmp_le_u32_e32 vcc_lo, s5, v9
	s_delay_alu instid0(VALU_DEP_3) | instskip(SKIP_3) | instid1(VALU_DEP_3)
	v_cndmask_b32_e64 v13, 0, -1, s2
	v_cmp_le_u32_e64 s2, s5, v11
	v_cndmask_b32_e64 v15, 0, -1, vcc_lo
	v_cmp_eq_u32_e32 vcc_lo, s5, v11
	v_cndmask_b32_e64 v14, 0, -1, s2
	v_cmp_eq_u32_e64 s2, s5, v9
	s_delay_alu instid0(VALU_DEP_2) | instskip(SKIP_1) | instid1(VALU_DEP_1)
	v_cndmask_b32_e32 v13, v14, v13, vcc_lo
	v_sub_co_u32 v14, vcc_lo, v10, s4
	v_subrev_co_ci_u32_e64 v3, null, 0, v3, vcc_lo
	s_delay_alu instid0(VALU_DEP_3) | instskip(SKIP_1) | instid1(VALU_DEP_3)
	v_cmp_ne_u32_e32 vcc_lo, 0, v13
	v_cndmask_b32_e64 v12, v15, v12, s2
	v_dual_cndmask_b32 v3, v11, v3 :: v_dual_cndmask_b32 v10, v10, v14
	s_delay_alu instid0(VALU_DEP_2) | instskip(NEXT) | instid1(VALU_DEP_2)
	v_cmp_ne_u32_e32 vcc_lo, 0, v12
	v_dual_cndmask_b32 v3, v9, v3 :: v_dual_cndmask_b32 v8, v8, v10
	s_delay_alu instid0(VALU_DEP_1) | instskip(NEXT) | instid1(VALU_DEP_2)
	v_xor_b32_e32 v9, v3, v6
	v_xor_b32_e32 v8, v8, v6
	s_delay_alu instid0(VALU_DEP_1)
	v_sub_nc_u64_e32 v[6:7], v[8:9], v[6:7]
.LBB72_7:
	s_or_saveexec_b32 s2, s3
	s_clause 0x1
	s_load_b64 s[34:35], s[0:1], 0xa8
	s_load_b256 s[20:27], s[0:1], 0x88
	s_xor_b32 exec_lo, exec_lo, s2
	s_cbranch_execz .LBB72_9
; %bb.8:
	v_cvt_f32_u32_e32 v3, s6
	s_sub_co_i32 s3, 0, s6
	v_mov_b32_e32 v7, 0
	s_delay_alu instid0(VALU_DEP_2) | instskip(SKIP_1) | instid1(TRANS32_DEP_1)
	v_rcp_iflag_f32_e32 v3, v3
	v_nop
	v_mul_f32_e32 v3, 0x4f7ffffe, v3
	s_delay_alu instid0(VALU_DEP_1) | instskip(NEXT) | instid1(VALU_DEP_1)
	v_cvt_u32_f32_e32 v3, v3
	v_mul_lo_u32 v6, s3, v3
	s_delay_alu instid0(VALU_DEP_1) | instskip(NEXT) | instid1(VALU_DEP_1)
	v_mul_hi_u32 v6, v3, v6
	v_add_nc_u32_e32 v3, v3, v6
	s_delay_alu instid0(VALU_DEP_1) | instskip(NEXT) | instid1(VALU_DEP_1)
	v_mul_hi_u32 v3, v4, v3
	v_mul_lo_u32 v3, v3, s6
	s_delay_alu instid0(VALU_DEP_1) | instskip(NEXT) | instid1(VALU_DEP_1)
	v_sub_nc_u32_e32 v3, v4, v3
	v_subrev_nc_u32_e32 v6, s6, v3
	v_cmp_le_u32_e32 vcc_lo, s6, v3
	s_delay_alu instid0(VALU_DEP_2) | instskip(NEXT) | instid1(VALU_DEP_1)
	v_cndmask_b32_e32 v3, v3, v6, vcc_lo
	v_subrev_nc_u32_e32 v6, s6, v3
	v_cmp_le_u32_e32 vcc_lo, s6, v3
	s_delay_alu instid0(VALU_DEP_2)
	v_cndmask_b32_e32 v6, v3, v6, vcc_lo
.LBB72_9:
	s_or_b32 exec_lo, exec_lo, s2
	v_dual_mov_b32 v10, 0 :: v_dual_bitop2_b32 v11, s31, v1 bitop3:0x54
                                        ; implicit-def: $vgpr8_vgpr9
	s_mov_b32 s2, exec_lo
	s_delay_alu instid0(VALU_DEP_1)
	v_cmpx_ne_u64_e32 0, v[10:11]
	s_xor_b32 s3, exec_lo, s2
	s_cbranch_execz .LBB72_11
; %bb.10:
	s_ashr_i32 s4, s31, 31
	s_mov_b32 s15, 0
	s_mov_b32 s5, s4
	v_dual_mov_b32 v3, v2 :: v_dual_mov_b32 v13, v10
	s_add_nc_u64 s[6:7], s[30:31], s[4:5]
	v_mov_b32_e32 v11, v10
	s_xor_b64 s[6:7], s[6:7], s[4:5]
	s_delay_alu instid0(VALU_DEP_2) | instskip(SKIP_4) | instid1(SALU_CYCLE_1)
	v_add_nc_u64_e32 v[8:9], v[0:1], v[2:3]
	s_cvt_f32_u32 s2, s6
	s_cvt_f32_u32 s5, s7
	s_sub_nc_u64 s[10:11], 0, s[6:7]
	v_dual_mov_b32 v15, v10 :: v_dual_mov_b32 v21, v10
	s_fmamk_f32 s2, s5, 0x4f800000, s2
	s_delay_alu instid0(VALU_DEP_2) | instskip(SKIP_3) | instid1(TRANS32_DEP_1)
	v_xor_b32_e32 v12, v8, v2
	v_xor_b32_e32 v14, v9, v2
	;; [unrolled: 1-line block ×3, first 2 shown]
	v_s_rcp_f32 s2, s2
	s_mul_f32 s2, s2, 0x5f7ffffc
	s_delay_alu instid0(SALU_CYCLE_3) | instskip(NEXT) | instid1(SALU_CYCLE_3)
	s_mul_f32 s5, s2, 0x2f800000
	s_trunc_f32 s5, s5
	s_delay_alu instid0(SALU_CYCLE_3) | instskip(SKIP_1) | instid1(SALU_CYCLE_2)
	s_fmamk_f32 s2, s5, 0xcf800000, s2
	s_cvt_u32_f32 s9, s5
	s_cvt_u32_f32 s8, s2
	s_delay_alu instid0(SALU_CYCLE_3) | instskip(NEXT) | instid1(SALU_CYCLE_1)
	s_mul_u64 s[12:13], s[10:11], s[8:9]
	s_mul_hi_u32 s17, s8, s13
	s_mul_i32 s16, s8, s13
	s_mul_hi_u32 s14, s8, s12
	s_mul_i32 s5, s9, s12
	s_add_nc_u64 s[16:17], s[14:15], s[16:17]
	s_mul_hi_u32 s2, s9, s12
	s_mul_hi_u32 s18, s9, s13
	s_add_co_u32 s5, s16, s5
	s_add_co_ci_u32 s14, s17, s2
	s_mul_i32 s12, s9, s13
	s_add_co_ci_u32 s13, s18, 0
	s_delay_alu instid0(SALU_CYCLE_1) | instskip(NEXT) | instid1(SALU_CYCLE_1)
	s_add_nc_u64 s[12:13], s[14:15], s[12:13]
	s_add_co_u32 s8, s8, s12
	s_cselect_b32 s2, -1, 0
	s_delay_alu instid0(SALU_CYCLE_1) | instskip(SKIP_1) | instid1(SALU_CYCLE_1)
	s_cmp_lg_u32 s2, 0
	s_add_co_ci_u32 s9, s9, s13
	s_mul_u64 s[10:11], s[10:11], s[8:9]
	s_delay_alu instid0(SALU_CYCLE_1)
	s_mul_hi_u32 s13, s8, s11
	s_mul_i32 s12, s8, s11
	s_mul_hi_u32 s14, s8, s10
	s_mul_i32 s5, s9, s10
	s_add_nc_u64 s[12:13], s[14:15], s[12:13]
	s_mul_hi_u32 s2, s9, s10
	s_mul_hi_u32 s16, s9, s11
	s_add_co_u32 s5, s12, s5
	s_add_co_ci_u32 s14, s13, s2
	s_mul_i32 s10, s9, s11
	s_add_co_ci_u32 s11, s16, 0
	s_delay_alu instid0(SALU_CYCLE_1) | instskip(NEXT) | instid1(SALU_CYCLE_1)
	s_add_nc_u64 s[10:11], s[14:15], s[10:11]
	s_add_co_u32 s2, s8, s10
	s_cselect_b32 s5, -1, 0
	v_nop
	v_mul_hi_u32 v20, v12, s2
	s_cmp_lg_u32 s5, 0
	s_add_co_ci_u32 s14, s9, s11
	s_mov_b64 s[8:9], 0xffffffff
	v_mul_u64_e32 v[16:17], s[14:15], v[12:13]
	s_and_b64 s[8:9], s[2:3], s[8:9]
	v_mul_u64_e32 v[18:19], s[14:15], v[14:15]
	v_mul_u64_e32 v[8:9], s[8:9], v[14:15]
	s_delay_alu instid0(VALU_DEP_3) | instskip(NEXT) | instid1(VALU_DEP_1)
	v_add_nc_u64_e32 v[16:17], v[20:21], v[16:17]
	v_add_co_u32 v3, vcc_lo, v16, v8
	s_delay_alu instid0(VALU_DEP_2) | instskip(SKIP_1) | instid1(VALU_DEP_1)
	v_add_co_ci_u32_e32 v10, vcc_lo, v17, v9, vcc_lo
	v_add_co_ci_u32_e32 v19, vcc_lo, 0, v19, vcc_lo
	v_add_nc_u64_e32 v[8:9], v[10:11], v[18:19]
	s_delay_alu instid0(VALU_DEP_1) | instskip(NEXT) | instid1(VALU_DEP_1)
	v_mul_u64_e32 v[10:11], s[6:7], v[8:9]
	v_sub_nc_u32_e32 v3, v14, v11
	s_delay_alu instid0(VALU_DEP_2) | instskip(NEXT) | instid1(VALU_DEP_1)
	v_sub_co_u32 v10, vcc_lo, v12, v10
	v_sub_co_ci_u32_e64 v14, null, v14, v11, vcc_lo
	s_delay_alu instid0(VALU_DEP_3) | instskip(NEXT) | instid1(VALU_DEP_3)
	v_subrev_co_ci_u32_e64 v3, null, s7, v3, vcc_lo
	v_sub_co_u32 v12, s2, v10, s6
	s_delay_alu instid0(VALU_DEP_1) | instskip(NEXT) | instid1(VALU_DEP_2)
	v_subrev_co_ci_u32_e64 v3, null, 0, v3, s2
	v_cmp_le_u32_e32 vcc_lo, s6, v12
	v_cndmask_b32_e64 v11, 0, -1, vcc_lo
	s_delay_alu instid0(VALU_DEP_3)
	v_cmp_le_u32_e32 vcc_lo, s7, v3
	v_cndmask_b32_e64 v12, 0, -1, vcc_lo
	v_cmp_le_u32_e32 vcc_lo, s6, v10
	v_cndmask_b32_e64 v15, 0, -1, vcc_lo
	v_cmp_le_u32_e32 vcc_lo, s7, v14
	v_cndmask_b32_e64 v16, 0, -1, vcc_lo
	v_cmp_eq_u32_e32 vcc_lo, s7, v3
	v_cndmask_b32_e32 v3, v12, v11, vcc_lo
	v_cmp_eq_u32_e32 vcc_lo, s7, v14
	v_add_nc_u64_e32 v[10:11], 2, v[8:9]
	v_add_nc_u64_e32 v[12:13], 1, v[8:9]
	v_cndmask_b32_e32 v14, v16, v15, vcc_lo
	v_cmp_ne_u32_e32 vcc_lo, 0, v3
	s_delay_alu instid0(VALU_DEP_2) | instskip(NEXT) | instid1(VALU_DEP_4)
	v_cmp_ne_u32_e64 s2, 0, v14
	v_dual_cndmask_b32 v10, v12, v10 :: v_dual_cndmask_b32 v3, v13, v11
	s_delay_alu instid0(VALU_DEP_1) | instskip(NEXT) | instid1(VALU_DEP_1)
	v_dual_cndmask_b32 v8, v8, v10, s2 :: v_dual_cndmask_b32 v9, v9, v3, s2
	v_dual_mov_b32 v3, v2 :: v_dual_bitop2_b32 v8, v8, v2 bitop3:0x14
	s_delay_alu instid0(VALU_DEP_2) | instskip(NEXT) | instid1(VALU_DEP_1)
	v_xor_b32_e32 v9, v9, v2
	v_sub_nc_u64_e32 v[8:9], v[8:9], v[2:3]
.LBB72_11:
	s_or_saveexec_b32 s31, s3
	s_clause 0x2
	s_load_b64 s[2:3], s[0:1], 0x58
	s_load_b64 s[44:45], s[0:1], 0x0
	s_load_b512 s[4:19], s[0:1], 0x18
	s_xor_b32 exec_lo, exec_lo, s31
	s_cbranch_execz .LBB72_13
; %bb.12:
	v_cvt_f32_u32_e32 v2, s30
	s_sub_co_i32 s36, 0, s30
	s_delay_alu instid0(VALU_DEP_1) | instskip(SKIP_1) | instid1(TRANS32_DEP_1)
	v_rcp_iflag_f32_e32 v2, v2
	v_nop
	v_mul_f32_e32 v2, 0x4f7ffffe, v2
	s_delay_alu instid0(VALU_DEP_1) | instskip(NEXT) | instid1(VALU_DEP_1)
	v_cvt_u32_f32_e32 v2, v2
	v_mul_lo_u32 v3, s36, v2
	s_delay_alu instid0(VALU_DEP_1) | instskip(NEXT) | instid1(VALU_DEP_1)
	v_mul_hi_u32 v3, v2, v3
	v_add_nc_u32_e32 v2, v2, v3
	s_delay_alu instid0(VALU_DEP_1) | instskip(NEXT) | instid1(VALU_DEP_1)
	v_mul_hi_u32 v2, v0, v2
	v_mul_lo_u32 v3, v2, s30
	s_delay_alu instid0(VALU_DEP_1) | instskip(NEXT) | instid1(VALU_DEP_1)
	v_dual_add_nc_u32 v8, 1, v2 :: v_dual_sub_nc_u32 v3, v0, v3
	v_subrev_nc_u32_e32 v9, s30, v3
	v_cmp_le_u32_e32 vcc_lo, s30, v3
	s_delay_alu instid0(VALU_DEP_2) | instskip(NEXT) | instid1(VALU_DEP_4)
	v_dual_cndmask_b32 v3, v3, v9, vcc_lo :: v_dual_mov_b32 v9, 0
	v_cndmask_b32_e32 v2, v2, v8, vcc_lo
	s_delay_alu instid0(VALU_DEP_2) | instskip(NEXT) | instid1(VALU_DEP_2)
	v_cmp_le_u32_e32 vcc_lo, s30, v3
	v_add_nc_u32_e32 v8, 1, v2
	s_delay_alu instid0(VALU_DEP_1)
	v_cndmask_b32_e32 v8, v2, v8, vcc_lo
.LBB72_13:
	s_or_b32 exec_lo, exec_lo, s31
	v_mul_u64_e32 v[2:3], s[28:29], v[4:5]
	s_load_b256 s[36:43], s[0:1], 0xb0
	s_wait_kmcnt 0x0
	v_max_i64 v[4:5], s[40:41], 0
	s_add_nc_u64 s[50:51], s[40:41], s[4:5]
	v_max_i64 v[10:11], s[38:39], 0
	v_sub_nc_u64_e64 v[14:15], v[8:9], s[50:51]
	s_add_nc_u64 s[48:49], s[38:39], s[6:7]
	s_sub_nc_u64 s[46:47], 0, s[40:41]
	v_sub_nc_u64_e64 v[12:13], v[6:7], s[48:49]
	v_max_i64 v[16:17], s[36:37], 0
	s_add_nc_u64 s[48:49], s[36:37], s[8:9]
	s_sub_nc_u64 s[30:31], 0, s[38:39]
	v_add_nc_u64_e32 v[22:23], 1, v[14:15]
	v_sub_nc_u64_e32 v[0:1], v[0:1], v[2:3]
	v_max_i64 v[2:3], s[46:47], 0
	v_not_b32_e32 v15, v15
	v_not_b32_e32 v14, v14
	v_add_nc_u64_e32 v[20:21], 1, v[12:13]
	v_not_b32_e32 v13, v13
	v_not_b32_e32 v12, v12
	v_sub_nc_u64_e64 v[24:25], v[0:1], s[48:49]
	v_max_i64 v[26:27], s[30:31], 0
	v_max_i64 v[14:15], v[22:23], v[14:15]
	v_sub_nc_u64_e64 v[22:23], v[8:9], s[40:41]
	s_sub_nc_u64 s[28:29], 0, s[36:37]
	v_max_i64 v[12:13], v[20:21], v[12:13]
	v_max_i64 v[28:29], s[28:29], 0
	v_add_nc_u64_e32 v[20:21], 1, v[24:25]
	v_sub_nc_u64_e64 v[18:19], v[6:7], s[38:39]
	v_not_b32_e32 v25, v25
	v_not_b32_e32 v24, v24
	v_sub_nc_u64_e32 v[30:31], 0, v[22:23]
	v_sub_nc_u64_e64 v[32:33], v[0:1], s[36:37]
	s_lshl_b64 s[30:31], s[40:41], 1
	v_not_b32_e32 v4, v4
	v_max_i64 v[20:21], v[20:21], v[24:25]
	v_sub_nc_u64_e32 v[24:25], 0, v[18:19]
	v_not_b32_e32 v5, v5
	v_max_i64 v[22:23], v[22:23], v[30:31]
	v_sub_nc_u64_e32 v[30:31], 0, v[32:33]
	v_not_b32_e32 v10, v10
	v_not_b32_e32 v11, v11
	v_add_nc_u64_e32 v[4:5], s[30:31], v[4:5]
	v_max_i64 v[18:19], v[18:19], v[24:25]
	s_lshl_b64 s[30:31], s[38:39], 1
	v_not_b32_e32 v16, v16
	v_not_b32_e32 v17, v17
	v_add_nc_u64_e32 v[10:11], s[30:31], v[10:11]
	v_max_i64 v[24:25], v[32:33], v[30:31]
	v_add_nc_u64_e32 v[2:3], v[4:5], v[2:3]
	s_lshl_b64 s[28:29], s[36:37], 1
	s_load_b64 s[0:1], s[0:1], 0xd0
	v_add_nc_u64_e32 v[4:5], s[28:29], v[16:17]
	s_delay_alu instid0(VALU_DEP_4) | instskip(SKIP_1) | instid1(VALU_DEP_4)
	v_add_nc_u64_e32 v[10:11], v[10:11], v[26:27]
	v_add_nc_u64_e32 v[14:15], v[8:9], v[14:15]
	;; [unrolled: 1-line block ×4, first 2 shown]
	s_lshr_b32 s4, ttmp7, 16
	v_add_nc_u64_e32 v[4:5], v[4:5], v[28:29]
	s_mov_b32 s5, 0
	v_add_nc_u64_e32 v[10:11], s[6:7], v[10:11]
	s_bfe_u32 s6, ttmp6, 0x40014
	v_sub_nc_u64_e32 v[2:3], v[2:3], v[14:15]
	s_add_co_i32 s6, s6, 1
	s_bfe_u32 s7, ttmp6, 0x40008
	v_add_nc_u64_e32 v[4:5], s[8:9], v[4:5]
	v_add_nc_u64_e32 v[14:15], v[0:1], v[20:21]
	v_sub_nc_u64_e32 v[10:11], v[10:11], v[12:13]
	s_bfe_u32 s9, ttmp6, 0x40010
	v_add_nc_u64_e32 v[2:3], v[2:3], v[22:23]
	s_and_b32 s8, ttmp7, 0xffff
	s_add_co_i32 s9, s9, 1
	s_mul_i32 s6, s4, s6
	v_sub_nc_u64_e32 v[4:5], v[4:5], v[14:15]
	v_add_nc_u64_e32 v[10:11], v[10:11], v[18:19]
	s_mul_i32 s9, s8, s9
	v_mul_u64_e32 v[2:3], s[14:15], v[2:3]
	s_bfe_u32 s14, ttmp6, 0x40004
	s_add_co_i32 s6, s7, s6
	s_add_co_i32 s14, s14, s9
	v_add_nc_u64_e32 v[4:5], v[4:5], v[24:25]
	v_mul_u64_e32 v[10:11], s[16:17], v[10:11]
	v_mul_u64_e32 v[8:9], s[24:25], v[8:9]
	s_cmp_eq_u32 s33, 0
	s_mov_b32 s7, s5
	s_cselect_b32 s6, s4, s6
	s_cselect_b32 s4, s8, s14
	v_mul_u64_e32 v[4:5], s[18:19], v[4:5]
	s_wait_kmcnt 0x0
	s_add_nc_u64 s[0:1], s[0:1], s[6:7]
	v_mul_u64_e32 v[6:7], s[26:27], v[6:7]
	s_add_nc_u64 s[6:7], s[42:43], s[4:5]
	s_mul_u64 s[8:9], s[10:11], s[0:1]
	s_mul_u64 s[10:11], s[12:13], s[6:7]
	s_lshl_b64 s[8:9], s[8:9], 1
	s_lshl_b64 s[10:11], s[10:11], 1
	s_add_nc_u64 s[8:9], s[44:45], s[8:9]
	v_mul_u64_e32 v[12:13], s[34:35], v[0:1]
	s_add_nc_u64 s[8:9], s[8:9], s[10:11]
	s_mul_u64 s[0:1], s[20:21], s[0:1]
	s_mul_u64 s[6:7], s[22:23], s[6:7]
	s_lshl_b64 s[0:1], s[0:1], 1
	s_lshl_b64 s[6:7], s[6:7], 1
	s_add_nc_u64 s[0:1], s[2:3], s[0:1]
	s_delay_alu instid0(SALU_CYCLE_1) | instskip(SKIP_1) | instid1(VALU_DEP_1)
	s_add_nc_u64 s[0:1], s[0:1], s[6:7]
	v_lshl_add_u64 v[0:1], v[2:3], 1, s[8:9]
	v_lshl_add_u64 v[0:1], v[10:11], 1, v[0:1]
	;; [unrolled: 1-line block ×3, first 2 shown]
	v_mov_b32_e32 v11, 0
	s_delay_alu instid0(VALU_DEP_3) | instskip(NEXT) | instid1(VALU_DEP_3)
	v_lshl_add_u64 v[0:1], v[4:5], 1, v[0:1]
	v_lshl_add_u64 v[2:3], v[6:7], 1, v[2:3]
	s_delay_alu instid0(VALU_DEP_2) | instskip(NEXT) | instid1(VALU_DEP_2)
	v_and_b32_e32 v10, 2, v0
	v_lshl_add_u64 v[6:7], v[12:13], 1, v[2:3]
	s_delay_alu instid0(VALU_DEP_2) | instskip(SKIP_2) | instid1(VALU_DEP_3)
	v_sub_nc_u64_e32 v[4:5], 0, v[10:11]
	v_cmp_ne_u32_e64 s0, 0, v10
	v_cmp_eq_u64_e32 vcc_lo, 0, v[10:11]
	v_add_nc_u64_e32 v[0:1], v[0:1], v[4:5]
	global_load_u16 v4, v[6:7], off
	global_load_b32 v3, v[0:1], off
	s_branch .LBB72_15
.LBB72_14:                              ;   in Loop: Header=BB72_15 Depth=1
	s_or_b32 exec_lo, exec_lo, s1
	global_atomic_cmpswap_b32 v2, v[0:1], v[2:3], off th:TH_ATOMIC_RETURN scope:SCOPE_DEV
	s_wait_loadcnt 0x0
	v_cmp_eq_u32_e64 s1, v3, v2
	v_mov_b32_e32 v3, v2
	s_or_b32 s5, s1, s5
	s_delay_alu instid0(SALU_CYCLE_1)
	s_and_not1_b32 exec_lo, exec_lo, s5
	s_cbranch_execz .LBB72_19
.LBB72_15:                              ; =>This Inner Loop Header: Depth=1
	s_wait_loadcnt 0x0
	v_lshrrev_b32_e32 v2, 16, v3
	s_delay_alu instid0(VALU_DEP_1) | instskip(NEXT) | instid1(VALU_DEP_1)
	v_cndmask_b32_e32 v2, v2, v3, vcc_lo
	v_add_f16_e32 v2, v4, v2
	s_delay_alu instid0(VALU_DEP_1) | instskip(SKIP_1) | instid1(SALU_CYCLE_1)
	v_and_b32_e32 v5, 0xffff, v2
	s_and_saveexec_b32 s1, s0
	s_xor_b32 s1, exec_lo, s1
; %bb.16:                               ;   in Loop: Header=BB72_15 Depth=1
	v_and_b32_e32 v2, 0xffff, v3
	s_delay_alu instid0(VALU_DEP_1)
	v_lshl_or_b32 v2, v5, 16, v2
                                        ; implicit-def: $vgpr5
; %bb.17:                               ;   in Loop: Header=BB72_15 Depth=1
	s_and_not1_saveexec_b32 s1, s1
	s_cbranch_execz .LBB72_14
; %bb.18:                               ;   in Loop: Header=BB72_15 Depth=1
	v_and_or_b32 v2, 0xffff0000, v3, v5
	s_branch .LBB72_14
.LBB72_19:
	s_endpgm
	.section	.rodata,"a",@progbits
	.p2align	6, 0x0
	.amdhsa_kernel _ZN2at6native12_GLOBAL__N_136reflection_pad3d_backward_out_kernelIN3c104HalfEEEvN5torch10headeronly6detail27GenericPackedTensorAccessorINS7_14TensorAccessorINS3_8ArrayRefIlEET_Lm4ENS6_16DefaultPtrTraitsElEENS_6detail16IndexBoundsCheckILm5ElEESC_Lm5ESD_lEENS8_INS9_ISB_KSC_Lm4ESD_lEESH_SJ_Lm5ESD_lEElllll
		.amdhsa_group_segment_fixed_size 0
		.amdhsa_private_segment_fixed_size 0
		.amdhsa_kernarg_size 472
		.amdhsa_user_sgpr_count 2
		.amdhsa_user_sgpr_dispatch_ptr 0
		.amdhsa_user_sgpr_queue_ptr 0
		.amdhsa_user_sgpr_kernarg_segment_ptr 1
		.amdhsa_user_sgpr_dispatch_id 0
		.amdhsa_user_sgpr_kernarg_preload_length 0
		.amdhsa_user_sgpr_kernarg_preload_offset 0
		.amdhsa_user_sgpr_private_segment_size 0
		.amdhsa_wavefront_size32 1
		.amdhsa_uses_dynamic_stack 0
		.amdhsa_enable_private_segment 0
		.amdhsa_system_sgpr_workgroup_id_x 1
		.amdhsa_system_sgpr_workgroup_id_y 1
		.amdhsa_system_sgpr_workgroup_id_z 1
		.amdhsa_system_sgpr_workgroup_info 0
		.amdhsa_system_vgpr_workitem_id 0
		.amdhsa_next_free_vgpr 34
		.amdhsa_next_free_sgpr 52
		.amdhsa_named_barrier_count 0
		.amdhsa_reserve_vcc 1
		.amdhsa_float_round_mode_32 0
		.amdhsa_float_round_mode_16_64 0
		.amdhsa_float_denorm_mode_32 3
		.amdhsa_float_denorm_mode_16_64 3
		.amdhsa_fp16_overflow 0
		.amdhsa_memory_ordered 1
		.amdhsa_forward_progress 1
		.amdhsa_inst_pref_size 26
		.amdhsa_round_robin_scheduling 0
		.amdhsa_exception_fp_ieee_invalid_op 0
		.amdhsa_exception_fp_denorm_src 0
		.amdhsa_exception_fp_ieee_div_zero 0
		.amdhsa_exception_fp_ieee_overflow 0
		.amdhsa_exception_fp_ieee_underflow 0
		.amdhsa_exception_fp_ieee_inexact 0
		.amdhsa_exception_int_div_zero 0
	.end_amdhsa_kernel
	.section	.text._ZN2at6native12_GLOBAL__N_136reflection_pad3d_backward_out_kernelIN3c104HalfEEEvN5torch10headeronly6detail27GenericPackedTensorAccessorINS7_14TensorAccessorINS3_8ArrayRefIlEET_Lm4ENS6_16DefaultPtrTraitsElEENS_6detail16IndexBoundsCheckILm5ElEESC_Lm5ESD_lEENS8_INS9_ISB_KSC_Lm4ESD_lEESH_SJ_Lm5ESD_lEElllll,"axG",@progbits,_ZN2at6native12_GLOBAL__N_136reflection_pad3d_backward_out_kernelIN3c104HalfEEEvN5torch10headeronly6detail27GenericPackedTensorAccessorINS7_14TensorAccessorINS3_8ArrayRefIlEET_Lm4ENS6_16DefaultPtrTraitsElEENS_6detail16IndexBoundsCheckILm5ElEESC_Lm5ESD_lEENS8_INS9_ISB_KSC_Lm4ESD_lEESH_SJ_Lm5ESD_lEElllll,comdat
.Lfunc_end72:
	.size	_ZN2at6native12_GLOBAL__N_136reflection_pad3d_backward_out_kernelIN3c104HalfEEEvN5torch10headeronly6detail27GenericPackedTensorAccessorINS7_14TensorAccessorINS3_8ArrayRefIlEET_Lm4ENS6_16DefaultPtrTraitsElEENS_6detail16IndexBoundsCheckILm5ElEESC_Lm5ESD_lEENS8_INS9_ISB_KSC_Lm4ESD_lEESH_SJ_Lm5ESD_lEElllll, .Lfunc_end72-_ZN2at6native12_GLOBAL__N_136reflection_pad3d_backward_out_kernelIN3c104HalfEEEvN5torch10headeronly6detail27GenericPackedTensorAccessorINS7_14TensorAccessorINS3_8ArrayRefIlEET_Lm4ENS6_16DefaultPtrTraitsElEENS_6detail16IndexBoundsCheckILm5ElEESC_Lm5ESD_lEENS8_INS9_ISB_KSC_Lm4ESD_lEESH_SJ_Lm5ESD_lEElllll
                                        ; -- End function
	.set _ZN2at6native12_GLOBAL__N_136reflection_pad3d_backward_out_kernelIN3c104HalfEEEvN5torch10headeronly6detail27GenericPackedTensorAccessorINS7_14TensorAccessorINS3_8ArrayRefIlEET_Lm4ENS6_16DefaultPtrTraitsElEENS_6detail16IndexBoundsCheckILm5ElEESC_Lm5ESD_lEENS8_INS9_ISB_KSC_Lm4ESD_lEESH_SJ_Lm5ESD_lEElllll.num_vgpr, 34
	.set _ZN2at6native12_GLOBAL__N_136reflection_pad3d_backward_out_kernelIN3c104HalfEEEvN5torch10headeronly6detail27GenericPackedTensorAccessorINS7_14TensorAccessorINS3_8ArrayRefIlEET_Lm4ENS6_16DefaultPtrTraitsElEENS_6detail16IndexBoundsCheckILm5ElEESC_Lm5ESD_lEENS8_INS9_ISB_KSC_Lm4ESD_lEESH_SJ_Lm5ESD_lEElllll.num_agpr, 0
	.set _ZN2at6native12_GLOBAL__N_136reflection_pad3d_backward_out_kernelIN3c104HalfEEEvN5torch10headeronly6detail27GenericPackedTensorAccessorINS7_14TensorAccessorINS3_8ArrayRefIlEET_Lm4ENS6_16DefaultPtrTraitsElEENS_6detail16IndexBoundsCheckILm5ElEESC_Lm5ESD_lEENS8_INS9_ISB_KSC_Lm4ESD_lEESH_SJ_Lm5ESD_lEElllll.numbered_sgpr, 52
	.set _ZN2at6native12_GLOBAL__N_136reflection_pad3d_backward_out_kernelIN3c104HalfEEEvN5torch10headeronly6detail27GenericPackedTensorAccessorINS7_14TensorAccessorINS3_8ArrayRefIlEET_Lm4ENS6_16DefaultPtrTraitsElEENS_6detail16IndexBoundsCheckILm5ElEESC_Lm5ESD_lEENS8_INS9_ISB_KSC_Lm4ESD_lEESH_SJ_Lm5ESD_lEElllll.num_named_barrier, 0
	.set _ZN2at6native12_GLOBAL__N_136reflection_pad3d_backward_out_kernelIN3c104HalfEEEvN5torch10headeronly6detail27GenericPackedTensorAccessorINS7_14TensorAccessorINS3_8ArrayRefIlEET_Lm4ENS6_16DefaultPtrTraitsElEENS_6detail16IndexBoundsCheckILm5ElEESC_Lm5ESD_lEENS8_INS9_ISB_KSC_Lm4ESD_lEESH_SJ_Lm5ESD_lEElllll.private_seg_size, 0
	.set _ZN2at6native12_GLOBAL__N_136reflection_pad3d_backward_out_kernelIN3c104HalfEEEvN5torch10headeronly6detail27GenericPackedTensorAccessorINS7_14TensorAccessorINS3_8ArrayRefIlEET_Lm4ENS6_16DefaultPtrTraitsElEENS_6detail16IndexBoundsCheckILm5ElEESC_Lm5ESD_lEENS8_INS9_ISB_KSC_Lm4ESD_lEESH_SJ_Lm5ESD_lEElllll.uses_vcc, 1
	.set _ZN2at6native12_GLOBAL__N_136reflection_pad3d_backward_out_kernelIN3c104HalfEEEvN5torch10headeronly6detail27GenericPackedTensorAccessorINS7_14TensorAccessorINS3_8ArrayRefIlEET_Lm4ENS6_16DefaultPtrTraitsElEENS_6detail16IndexBoundsCheckILm5ElEESC_Lm5ESD_lEENS8_INS9_ISB_KSC_Lm4ESD_lEESH_SJ_Lm5ESD_lEElllll.uses_flat_scratch, 0
	.set _ZN2at6native12_GLOBAL__N_136reflection_pad3d_backward_out_kernelIN3c104HalfEEEvN5torch10headeronly6detail27GenericPackedTensorAccessorINS7_14TensorAccessorINS3_8ArrayRefIlEET_Lm4ENS6_16DefaultPtrTraitsElEENS_6detail16IndexBoundsCheckILm5ElEESC_Lm5ESD_lEENS8_INS9_ISB_KSC_Lm4ESD_lEESH_SJ_Lm5ESD_lEElllll.has_dyn_sized_stack, 0
	.set _ZN2at6native12_GLOBAL__N_136reflection_pad3d_backward_out_kernelIN3c104HalfEEEvN5torch10headeronly6detail27GenericPackedTensorAccessorINS7_14TensorAccessorINS3_8ArrayRefIlEET_Lm4ENS6_16DefaultPtrTraitsElEENS_6detail16IndexBoundsCheckILm5ElEESC_Lm5ESD_lEENS8_INS9_ISB_KSC_Lm4ESD_lEESH_SJ_Lm5ESD_lEElllll.has_recursion, 0
	.set _ZN2at6native12_GLOBAL__N_136reflection_pad3d_backward_out_kernelIN3c104HalfEEEvN5torch10headeronly6detail27GenericPackedTensorAccessorINS7_14TensorAccessorINS3_8ArrayRefIlEET_Lm4ENS6_16DefaultPtrTraitsElEENS_6detail16IndexBoundsCheckILm5ElEESC_Lm5ESD_lEENS8_INS9_ISB_KSC_Lm4ESD_lEESH_SJ_Lm5ESD_lEElllll.has_indirect_call, 0
	.section	.AMDGPU.csdata,"",@progbits
; Kernel info:
; codeLenInByte = 3236
; TotalNumSgprs: 54
; NumVgprs: 34
; ScratchSize: 0
; MemoryBound: 0
; FloatMode: 240
; IeeeMode: 1
; LDSByteSize: 0 bytes/workgroup (compile time only)
; SGPRBlocks: 0
; VGPRBlocks: 2
; NumSGPRsForWavesPerEU: 54
; NumVGPRsForWavesPerEU: 34
; NamedBarCnt: 0
; Occupancy: 16
; WaveLimiterHint : 0
; COMPUTE_PGM_RSRC2:SCRATCH_EN: 0
; COMPUTE_PGM_RSRC2:USER_SGPR: 2
; COMPUTE_PGM_RSRC2:TRAP_HANDLER: 0
; COMPUTE_PGM_RSRC2:TGID_X_EN: 1
; COMPUTE_PGM_RSRC2:TGID_Y_EN: 1
; COMPUTE_PGM_RSRC2:TGID_Z_EN: 1
; COMPUTE_PGM_RSRC2:TIDIG_COMP_CNT: 0
	.section	.text._ZN2at6native12_GLOBAL__N_136reflection_pad3d_backward_out_kernelIN3c108BFloat16EEEvN5torch10headeronly6detail27GenericPackedTensorAccessorINS7_14TensorAccessorINS3_8ArrayRefIlEET_Lm4ENS6_16DefaultPtrTraitsElEENS_6detail16IndexBoundsCheckILm5ElEESC_Lm5ESD_lEENS8_INS9_ISB_KSC_Lm4ESD_lEESH_SJ_Lm5ESD_lEElllll,"axG",@progbits,_ZN2at6native12_GLOBAL__N_136reflection_pad3d_backward_out_kernelIN3c108BFloat16EEEvN5torch10headeronly6detail27GenericPackedTensorAccessorINS7_14TensorAccessorINS3_8ArrayRefIlEET_Lm4ENS6_16DefaultPtrTraitsElEENS_6detail16IndexBoundsCheckILm5ElEESC_Lm5ESD_lEENS8_INS9_ISB_KSC_Lm4ESD_lEESH_SJ_Lm5ESD_lEElllll,comdat
	.globl	_ZN2at6native12_GLOBAL__N_136reflection_pad3d_backward_out_kernelIN3c108BFloat16EEEvN5torch10headeronly6detail27GenericPackedTensorAccessorINS7_14TensorAccessorINS3_8ArrayRefIlEET_Lm4ENS6_16DefaultPtrTraitsElEENS_6detail16IndexBoundsCheckILm5ElEESC_Lm5ESD_lEENS8_INS9_ISB_KSC_Lm4ESD_lEESH_SJ_Lm5ESD_lEElllll ; -- Begin function _ZN2at6native12_GLOBAL__N_136reflection_pad3d_backward_out_kernelIN3c108BFloat16EEEvN5torch10headeronly6detail27GenericPackedTensorAccessorINS7_14TensorAccessorINS3_8ArrayRefIlEET_Lm4ENS6_16DefaultPtrTraitsElEENS_6detail16IndexBoundsCheckILm5ElEESC_Lm5ESD_lEENS8_INS9_ISB_KSC_Lm4ESD_lEESH_SJ_Lm5ESD_lEElllll
	.p2align	8
	.type	_ZN2at6native12_GLOBAL__N_136reflection_pad3d_backward_out_kernelIN3c108BFloat16EEEvN5torch10headeronly6detail27GenericPackedTensorAccessorINS7_14TensorAccessorINS3_8ArrayRefIlEET_Lm4ENS6_16DefaultPtrTraitsElEENS_6detail16IndexBoundsCheckILm5ElEESC_Lm5ESD_lEENS8_INS9_ISB_KSC_Lm4ESD_lEESH_SJ_Lm5ESD_lEElllll,@function
_ZN2at6native12_GLOBAL__N_136reflection_pad3d_backward_out_kernelIN3c108BFloat16EEEvN5torch10headeronly6detail27GenericPackedTensorAccessorINS7_14TensorAccessorINS3_8ArrayRefIlEET_Lm4ENS6_16DefaultPtrTraitsElEENS_6detail16IndexBoundsCheckILm5ElEESC_Lm5ESD_lEENS8_INS9_ISB_KSC_Lm4ESD_lEESH_SJ_Lm5ESD_lEElllll: ; @_ZN2at6native12_GLOBAL__N_136reflection_pad3d_backward_out_kernelIN3c108BFloat16EEEvN5torch10headeronly6detail27GenericPackedTensorAccessorINS7_14TensorAccessorINS3_8ArrayRefIlEET_Lm4ENS6_16DefaultPtrTraitsElEENS_6detail16IndexBoundsCheckILm5ElEESC_Lm5ESD_lEENS8_INS9_ISB_KSC_Lm4ESD_lEESH_SJ_Lm5ESD_lEElllll
; %bb.0:
	s_clause 0x2
	s_load_b32 s2, s[0:1], 0xe4
	s_load_b128 s[4:7], s[0:1], 0x70
	s_load_b64 s[28:29], s[0:1], 0x80
	s_bfe_u32 s3, ttmp6, 0x4000c
	v_mov_b32_e32 v2, 0
	s_add_co_i32 s3, s3, 1
	s_and_b32 s8, ttmp6, 15
	s_mul_i32 s3, ttmp9, s3
	s_getreg_b32 s33, hwreg(HW_REG_IB_STS2, 6, 4)
	v_mov_b32_e32 v1, v2
	s_add_co_i32 s8, s8, s3
	s_wait_kmcnt 0x0
	s_and_b32 s2, s2, 0xffff
	s_cmp_eq_u32 s33, 0
	s_mul_u64 s[30:31], s[28:29], s[6:7]
	s_cselect_b32 s3, ttmp9, s8
	s_delay_alu instid0(SALU_CYCLE_1)
	v_mad_nc_u64_u32 v[0:1], s2, s3, v[0:1]
	s_mul_u64 s[2:3], s[30:31], s[4:5]
	s_delay_alu instid0(VALU_DEP_1) | instid1(SALU_CYCLE_1)
	v_cmp_gt_i64_e32 vcc_lo, s[2:3], v[0:1]
	s_and_saveexec_b32 s2, vcc_lo
	s_cbranch_execz .LBB73_15
; %bb.1:
	v_or_b32_e32 v3, s29, v1
                                        ; implicit-def: $vgpr4_vgpr5
	s_delay_alu instid0(VALU_DEP_1) | instskip(SKIP_2) | instid1(SALU_CYCLE_1)
	v_cmp_ne_u64_e32 vcc_lo, 0, v[2:3]
	v_ashrrev_i32_e32 v2, 31, v1
	s_and_saveexec_b32 s2, vcc_lo
	s_xor_b32 s3, exec_lo, s2
	s_cbranch_execz .LBB73_3
; %bb.2:
	s_ashr_i32 s4, s29, 31
	s_mov_b32 s17, 0
	s_mov_b32 s5, s4
	v_dual_mov_b32 v3, v2 :: v_dual_mov_b32 v7, 0
	s_add_nc_u64 s[8:9], s[28:29], s[4:5]
	s_delay_alu instid0(SALU_CYCLE_1) | instskip(NEXT) | instid1(VALU_DEP_1)
	s_xor_b64 s[8:9], s[8:9], s[4:5]
	v_add_nc_u64_e32 v[4:5], v[0:1], v[2:3]
	s_cvt_f32_u32 s2, s8
	s_cvt_f32_u32 s5, s9
	s_sub_nc_u64 s[12:13], 0, s[8:9]
	v_dual_mov_b32 v9, v7 :: v_dual_mov_b32 v15, v7
	s_delay_alu instid0(SALU_CYCLE_1) | instskip(NEXT) | instid1(VALU_DEP_2)
	s_fmamk_f32 s2, s5, 0x4f800000, s2
	v_xor_b32_e32 v6, v4, v2
	v_xor_b32_e32 v8, v5, v2
	s_delay_alu instid0(SALU_CYCLE_1) | instskip(NEXT) | instid1(TRANS32_DEP_1)
	v_s_rcp_f32 s2, s2
	s_mul_f32 s2, s2, 0x5f7ffffc
	s_delay_alu instid0(SALU_CYCLE_3) | instskip(NEXT) | instid1(SALU_CYCLE_3)
	s_mul_f32 s5, s2, 0x2f800000
	s_trunc_f32 s5, s5
	s_delay_alu instid0(SALU_CYCLE_3) | instskip(SKIP_1) | instid1(SALU_CYCLE_2)
	s_fmamk_f32 s2, s5, 0xcf800000, s2
	s_cvt_u32_f32 s11, s5
	s_cvt_u32_f32 s10, s2
	s_delay_alu instid0(SALU_CYCLE_3) | instskip(NEXT) | instid1(SALU_CYCLE_1)
	s_mul_u64 s[14:15], s[12:13], s[10:11]
	s_mul_hi_u32 s19, s10, s15
	s_mul_i32 s18, s10, s15
	s_mul_hi_u32 s16, s10, s14
	s_mul_i32 s5, s11, s14
	s_add_nc_u64 s[18:19], s[16:17], s[18:19]
	s_mul_hi_u32 s2, s11, s14
	s_mul_hi_u32 s20, s11, s15
	s_add_co_u32 s5, s18, s5
	s_add_co_ci_u32 s16, s19, s2
	s_mul_i32 s14, s11, s15
	s_add_co_ci_u32 s15, s20, 0
	s_delay_alu instid0(SALU_CYCLE_1) | instskip(NEXT) | instid1(SALU_CYCLE_1)
	s_add_nc_u64 s[14:15], s[16:17], s[14:15]
	s_add_co_u32 s10, s10, s14
	s_cselect_b32 s2, -1, 0
	s_delay_alu instid0(SALU_CYCLE_1) | instskip(SKIP_1) | instid1(SALU_CYCLE_1)
	s_cmp_lg_u32 s2, 0
	s_add_co_ci_u32 s11, s11, s15
	s_mul_u64 s[12:13], s[12:13], s[10:11]
	s_delay_alu instid0(SALU_CYCLE_1)
	s_mul_hi_u32 s15, s10, s13
	s_mul_i32 s14, s10, s13
	s_mul_hi_u32 s16, s10, s12
	s_mul_i32 s5, s11, s12
	s_add_nc_u64 s[14:15], s[16:17], s[14:15]
	s_mul_hi_u32 s2, s11, s12
	s_mul_hi_u32 s18, s11, s13
	s_add_co_u32 s5, s14, s5
	s_add_co_ci_u32 s16, s15, s2
	s_mul_i32 s12, s11, s13
	s_add_co_ci_u32 s13, s18, 0
	s_delay_alu instid0(SALU_CYCLE_1) | instskip(NEXT) | instid1(SALU_CYCLE_1)
	s_add_nc_u64 s[12:13], s[16:17], s[12:13]
	s_add_co_u32 s2, s10, s12
	s_cselect_b32 s5, -1, 0
	v_nop
	v_mul_hi_u32 v14, v6, s2
	s_cmp_lg_u32 s5, 0
	s_add_co_ci_u32 s16, s11, s13
	s_mov_b64 s[10:11], 0xffffffff
	v_mul_u64_e32 v[10:11], s[16:17], v[6:7]
	s_and_b64 s[10:11], s[2:3], s[10:11]
	v_mul_u64_e32 v[12:13], s[16:17], v[8:9]
	v_mul_u64_e32 v[4:5], s[10:11], v[8:9]
	s_delay_alu instid0(VALU_DEP_3) | instskip(NEXT) | instid1(VALU_DEP_1)
	v_add_nc_u64_e32 v[10:11], v[14:15], v[10:11]
	v_add_co_u32 v3, vcc_lo, v10, v4
	s_delay_alu instid0(VALU_DEP_2) | instskip(SKIP_1) | instid1(VALU_DEP_1)
	v_add_co_ci_u32_e32 v14, vcc_lo, v11, v5, vcc_lo
	v_add_co_ci_u32_e32 v13, vcc_lo, 0, v13, vcc_lo
	v_add_nc_u64_e32 v[4:5], v[14:15], v[12:13]
	s_delay_alu instid0(VALU_DEP_1) | instskip(NEXT) | instid1(VALU_DEP_1)
	v_mul_u64_e32 v[10:11], s[8:9], v[4:5]
	v_sub_nc_u32_e32 v3, v8, v11
	s_delay_alu instid0(VALU_DEP_2) | instskip(NEXT) | instid1(VALU_DEP_1)
	v_sub_co_u32 v6, vcc_lo, v6, v10
	v_sub_co_ci_u32_e64 v10, null, v8, v11, vcc_lo
	s_delay_alu instid0(VALU_DEP_3) | instskip(NEXT) | instid1(VALU_DEP_3)
	v_subrev_co_ci_u32_e64 v3, null, s9, v3, vcc_lo
	v_sub_co_u32 v7, s2, v6, s8
	s_delay_alu instid0(VALU_DEP_1) | instskip(NEXT) | instid1(VALU_DEP_2)
	v_subrev_co_ci_u32_e64 v3, null, 0, v3, s2
	v_cmp_le_u32_e32 vcc_lo, s8, v7
	v_cndmask_b32_e64 v7, 0, -1, vcc_lo
	s_delay_alu instid0(VALU_DEP_3)
	v_cmp_le_u32_e32 vcc_lo, s9, v3
	v_cndmask_b32_e64 v8, 0, -1, vcc_lo
	v_cmp_le_u32_e32 vcc_lo, s8, v6
	v_cndmask_b32_e64 v11, 0, -1, vcc_lo
	;; [unrolled: 2-line block ×3, first 2 shown]
	v_cmp_eq_u32_e32 vcc_lo, s9, v3
	v_cndmask_b32_e32 v3, v8, v7, vcc_lo
	v_cmp_eq_u32_e32 vcc_lo, s9, v10
	v_add_nc_u64_e32 v[6:7], 2, v[4:5]
	v_add_nc_u64_e32 v[8:9], 1, v[4:5]
	v_cndmask_b32_e32 v10, v12, v11, vcc_lo
	v_cmp_ne_u32_e32 vcc_lo, 0, v3
	s_delay_alu instid0(VALU_DEP_2) | instskip(NEXT) | instid1(VALU_DEP_4)
	v_cmp_ne_u32_e64 s2, 0, v10
	v_dual_cndmask_b32 v3, v9, v7, vcc_lo :: v_dual_cndmask_b32 v7, v8, v6, vcc_lo
	s_delay_alu instid0(VALU_DEP_1) | instskip(NEXT) | instid1(VALU_DEP_1)
	v_dual_cndmask_b32 v4, v4, v7, s2 :: v_dual_bitop2_b32 v6, s4, v2 bitop3:0x14
	v_dual_cndmask_b32 v3, v5, v3, s2 :: v_dual_mov_b32 v7, v6
	s_delay_alu instid0(VALU_DEP_2) | instskip(NEXT) | instid1(VALU_DEP_2)
	v_xor_b32_e32 v4, v4, v6
	v_xor_b32_e32 v5, v3, v6
	s_delay_alu instid0(VALU_DEP_1)
	v_sub_nc_u64_e32 v[4:5], v[4:5], v[6:7]
.LBB73_3:
	s_and_not1_saveexec_b32 s2, s3
	s_cbranch_execz .LBB73_5
; %bb.4:
	v_cvt_f32_u32_e32 v3, s28
	s_sub_co_i32 s3, 0, s28
	s_delay_alu instid0(VALU_DEP_1) | instskip(SKIP_1) | instid1(TRANS32_DEP_1)
	v_rcp_iflag_f32_e32 v3, v3
	v_nop
	v_mul_f32_e32 v3, 0x4f7ffffe, v3
	s_delay_alu instid0(VALU_DEP_1) | instskip(NEXT) | instid1(VALU_DEP_1)
	v_cvt_u32_f32_e32 v3, v3
	v_mul_lo_u32 v4, s3, v3
	s_delay_alu instid0(VALU_DEP_1) | instskip(NEXT) | instid1(VALU_DEP_1)
	v_mul_hi_u32 v4, v3, v4
	v_add_nc_u32_e32 v3, v3, v4
	s_delay_alu instid0(VALU_DEP_1) | instskip(NEXT) | instid1(VALU_DEP_1)
	v_mul_hi_u32 v3, v0, v3
	v_mul_lo_u32 v4, v3, s28
	s_delay_alu instid0(VALU_DEP_1) | instskip(NEXT) | instid1(VALU_DEP_1)
	v_dual_add_nc_u32 v5, 1, v3 :: v_dual_sub_nc_u32 v4, v0, v4
	v_subrev_nc_u32_e32 v6, s28, v4
	v_cmp_le_u32_e32 vcc_lo, s28, v4
	s_delay_alu instid0(VALU_DEP_2) | instskip(NEXT) | instid1(VALU_DEP_1)
	v_dual_cndmask_b32 v4, v4, v6 :: v_dual_cndmask_b32 v3, v3, v5
	v_cmp_le_u32_e32 vcc_lo, s28, v4
	s_delay_alu instid0(VALU_DEP_2) | instskip(NEXT) | instid1(VALU_DEP_1)
	v_add_nc_u32_e32 v5, 1, v3
	v_dual_cndmask_b32 v4, v3, v5 :: v_dual_mov_b32 v5, 0
.LBB73_5:
	s_or_b32 exec_lo, exec_lo, s2
	s_delay_alu instid0(VALU_DEP_1) | instskip(SKIP_1) | instid1(VALU_DEP_1)
	v_dual_mov_b32 v8, 0 :: v_dual_bitop2_b32 v9, s7, v5 bitop3:0x54
                                        ; implicit-def: $vgpr6_vgpr7
	s_mov_b32 s2, exec_lo
	v_cmpx_ne_u64_e32 0, v[8:9]
	s_xor_b32 s3, exec_lo, s2
	s_cbranch_execz .LBB73_7
; %bb.6:
	s_ashr_i32 s4, s7, 31
	s_mov_b32 s15, 0
	s_mov_b32 s5, s4
	v_dual_mov_b32 v13, v8 :: v_dual_ashrrev_i32 v6, 31, v5
	s_add_nc_u64 s[8:9], s[6:7], s[4:5]
	v_mov_b32_e32 v15, v8
	s_xor_b64 s[4:5], s[8:9], s[4:5]
	s_delay_alu instid0(VALU_DEP_2)
	v_mov_b32_e32 v7, v6
	s_cvt_f32_u32 s2, s4
	s_cvt_f32_u32 s7, s5
	s_sub_nc_u64 s[10:11], 0, s[4:5]
	v_mov_b32_e32 v21, v8
	v_add_nc_u64_e32 v[10:11], v[4:5], v[6:7]
	s_fmamk_f32 s2, s7, 0x4f800000, s2
	v_mov_b32_e32 v9, v8
	s_delay_alu instid0(SALU_CYCLE_2) | instskip(NEXT) | instid1(VALU_DEP_2)
	v_s_rcp_f32 s2, s2
	v_xor_b32_e32 v12, v10, v6
	s_delay_alu instid0(VALU_DEP_3) | instskip(NEXT) | instid1(TRANS32_DEP_1)
	v_xor_b32_e32 v14, v11, v6
	s_mul_f32 s2, s2, 0x5f7ffffc
	s_delay_alu instid0(SALU_CYCLE_3) | instskip(NEXT) | instid1(SALU_CYCLE_3)
	s_mul_f32 s7, s2, 0x2f800000
	s_trunc_f32 s7, s7
	s_delay_alu instid0(SALU_CYCLE_3) | instskip(SKIP_1) | instid1(SALU_CYCLE_2)
	s_fmamk_f32 s2, s7, 0xcf800000, s2
	s_cvt_u32_f32 s9, s7
	s_cvt_u32_f32 s8, s2
	s_delay_alu instid0(SALU_CYCLE_3) | instskip(NEXT) | instid1(SALU_CYCLE_1)
	s_mul_u64 s[12:13], s[10:11], s[8:9]
	s_mul_hi_u32 s17, s8, s13
	s_mul_i32 s16, s8, s13
	s_mul_hi_u32 s14, s8, s12
	s_mul_i32 s7, s9, s12
	s_add_nc_u64 s[16:17], s[14:15], s[16:17]
	s_mul_hi_u32 s2, s9, s12
	s_mul_hi_u32 s18, s9, s13
	s_add_co_u32 s7, s16, s7
	s_add_co_ci_u32 s14, s17, s2
	s_mul_i32 s12, s9, s13
	s_add_co_ci_u32 s13, s18, 0
	s_delay_alu instid0(SALU_CYCLE_1) | instskip(NEXT) | instid1(SALU_CYCLE_1)
	s_add_nc_u64 s[12:13], s[14:15], s[12:13]
	s_add_co_u32 s8, s8, s12
	s_cselect_b32 s2, -1, 0
	s_delay_alu instid0(SALU_CYCLE_1) | instskip(SKIP_1) | instid1(SALU_CYCLE_1)
	s_cmp_lg_u32 s2, 0
	s_add_co_ci_u32 s9, s9, s13
	s_mul_u64 s[10:11], s[10:11], s[8:9]
	s_delay_alu instid0(SALU_CYCLE_1)
	s_mul_hi_u32 s13, s8, s11
	s_mul_i32 s12, s8, s11
	s_mul_hi_u32 s14, s8, s10
	s_mul_i32 s7, s9, s10
	s_add_nc_u64 s[12:13], s[14:15], s[12:13]
	s_mul_hi_u32 s2, s9, s10
	s_mul_hi_u32 s16, s9, s11
	s_add_co_u32 s7, s12, s7
	s_add_co_ci_u32 s14, s13, s2
	s_mul_i32 s10, s9, s11
	s_add_co_ci_u32 s11, s16, 0
	s_delay_alu instid0(SALU_CYCLE_1) | instskip(NEXT) | instid1(SALU_CYCLE_1)
	s_add_nc_u64 s[10:11], s[14:15], s[10:11]
	s_add_co_u32 s2, s8, s10
	s_cselect_b32 s7, -1, 0
	v_mul_hi_u32 v20, v12, s2
	s_cmp_lg_u32 s7, 0
	s_add_co_ci_u32 s14, s9, s11
	s_mov_b64 s[8:9], 0xffffffff
	v_mul_u64_e32 v[16:17], s[14:15], v[12:13]
	s_and_b64 s[8:9], s[2:3], s[8:9]
	v_mul_u64_e32 v[18:19], s[14:15], v[14:15]
	v_mul_u64_e32 v[10:11], s[8:9], v[14:15]
	s_delay_alu instid0(VALU_DEP_3) | instskip(NEXT) | instid1(VALU_DEP_1)
	v_add_nc_u64_e32 v[16:17], v[20:21], v[16:17]
	v_add_co_u32 v3, vcc_lo, v16, v10
	s_delay_alu instid0(VALU_DEP_2) | instskip(SKIP_1) | instid1(VALU_DEP_1)
	v_add_co_ci_u32_e32 v8, vcc_lo, v17, v11, vcc_lo
	v_add_co_ci_u32_e32 v19, vcc_lo, 0, v19, vcc_lo
	v_add_nc_u64_e32 v[8:9], v[8:9], v[18:19]
	s_delay_alu instid0(VALU_DEP_1) | instskip(NEXT) | instid1(VALU_DEP_1)
	v_mul_u64_e32 v[8:9], s[4:5], v[8:9]
	v_sub_co_u32 v8, vcc_lo, v12, v8
	s_delay_alu instid0(VALU_DEP_1) | instskip(NEXT) | instid1(VALU_DEP_1)
	v_cmp_le_u32_e64 s2, s4, v8
	v_cndmask_b32_e64 v12, 0, -1, s2
	s_delay_alu instid0(VALU_DEP_4) | instskip(SKIP_1) | instid1(VALU_DEP_2)
	v_sub_nc_u32_e32 v3, v14, v9
	v_sub_co_ci_u32_e64 v9, null, v14, v9, vcc_lo
	v_subrev_co_ci_u32_e64 v3, null, s5, v3, vcc_lo
	v_sub_co_u32 v10, vcc_lo, v8, s4
	s_delay_alu instid0(VALU_DEP_1) | instskip(NEXT) | instid1(VALU_DEP_2)
	v_subrev_co_ci_u32_e64 v11, null, 0, v3, vcc_lo
	v_cmp_le_u32_e64 s2, s4, v10
	v_subrev_co_ci_u32_e64 v3, null, s5, v3, vcc_lo
	v_cmp_le_u32_e32 vcc_lo, s5, v9
	s_delay_alu instid0(VALU_DEP_3) | instskip(SKIP_3) | instid1(VALU_DEP_3)
	v_cndmask_b32_e64 v13, 0, -1, s2
	v_cmp_le_u32_e64 s2, s5, v11
	v_cndmask_b32_e64 v15, 0, -1, vcc_lo
	v_cmp_eq_u32_e32 vcc_lo, s5, v11
	v_cndmask_b32_e64 v14, 0, -1, s2
	v_cmp_eq_u32_e64 s2, s5, v9
	s_delay_alu instid0(VALU_DEP_2) | instskip(SKIP_1) | instid1(VALU_DEP_1)
	v_cndmask_b32_e32 v13, v14, v13, vcc_lo
	v_sub_co_u32 v14, vcc_lo, v10, s4
	v_subrev_co_ci_u32_e64 v3, null, 0, v3, vcc_lo
	s_delay_alu instid0(VALU_DEP_3) | instskip(SKIP_1) | instid1(VALU_DEP_3)
	v_cmp_ne_u32_e32 vcc_lo, 0, v13
	v_cndmask_b32_e64 v12, v15, v12, s2
	v_dual_cndmask_b32 v3, v11, v3 :: v_dual_cndmask_b32 v10, v10, v14
	s_delay_alu instid0(VALU_DEP_2) | instskip(NEXT) | instid1(VALU_DEP_2)
	v_cmp_ne_u32_e32 vcc_lo, 0, v12
	v_dual_cndmask_b32 v3, v9, v3 :: v_dual_cndmask_b32 v8, v8, v10
	s_delay_alu instid0(VALU_DEP_1) | instskip(NEXT) | instid1(VALU_DEP_2)
	v_xor_b32_e32 v9, v3, v6
	v_xor_b32_e32 v8, v8, v6
	s_delay_alu instid0(VALU_DEP_1)
	v_sub_nc_u64_e32 v[6:7], v[8:9], v[6:7]
.LBB73_7:
	s_or_saveexec_b32 s2, s3
	s_clause 0x1
	s_load_b64 s[34:35], s[0:1], 0xa8
	s_load_b256 s[20:27], s[0:1], 0x88
	s_xor_b32 exec_lo, exec_lo, s2
	s_cbranch_execz .LBB73_9
; %bb.8:
	v_cvt_f32_u32_e32 v3, s6
	s_sub_co_i32 s3, 0, s6
	v_mov_b32_e32 v7, 0
	s_delay_alu instid0(VALU_DEP_2) | instskip(SKIP_1) | instid1(TRANS32_DEP_1)
	v_rcp_iflag_f32_e32 v3, v3
	v_nop
	v_mul_f32_e32 v3, 0x4f7ffffe, v3
	s_delay_alu instid0(VALU_DEP_1) | instskip(NEXT) | instid1(VALU_DEP_1)
	v_cvt_u32_f32_e32 v3, v3
	v_mul_lo_u32 v6, s3, v3
	s_delay_alu instid0(VALU_DEP_1) | instskip(NEXT) | instid1(VALU_DEP_1)
	v_mul_hi_u32 v6, v3, v6
	v_add_nc_u32_e32 v3, v3, v6
	s_delay_alu instid0(VALU_DEP_1) | instskip(NEXT) | instid1(VALU_DEP_1)
	v_mul_hi_u32 v3, v4, v3
	v_mul_lo_u32 v3, v3, s6
	s_delay_alu instid0(VALU_DEP_1) | instskip(NEXT) | instid1(VALU_DEP_1)
	v_sub_nc_u32_e32 v3, v4, v3
	v_subrev_nc_u32_e32 v6, s6, v3
	v_cmp_le_u32_e32 vcc_lo, s6, v3
	s_delay_alu instid0(VALU_DEP_2) | instskip(NEXT) | instid1(VALU_DEP_1)
	v_cndmask_b32_e32 v3, v3, v6, vcc_lo
	v_subrev_nc_u32_e32 v6, s6, v3
	v_cmp_le_u32_e32 vcc_lo, s6, v3
	s_delay_alu instid0(VALU_DEP_2)
	v_cndmask_b32_e32 v6, v3, v6, vcc_lo
.LBB73_9:
	s_or_b32 exec_lo, exec_lo, s2
	v_dual_mov_b32 v10, 0 :: v_dual_bitop2_b32 v11, s31, v1 bitop3:0x54
                                        ; implicit-def: $vgpr8_vgpr9
	s_mov_b32 s2, exec_lo
	s_delay_alu instid0(VALU_DEP_1)
	v_cmpx_ne_u64_e32 0, v[10:11]
	s_xor_b32 s3, exec_lo, s2
	s_cbranch_execz .LBB73_11
; %bb.10:
	s_ashr_i32 s4, s31, 31
	s_mov_b32 s15, 0
	s_mov_b32 s5, s4
	v_dual_mov_b32 v3, v2 :: v_dual_mov_b32 v13, v10
	s_add_nc_u64 s[6:7], s[30:31], s[4:5]
	v_mov_b32_e32 v11, v10
	s_xor_b64 s[6:7], s[6:7], s[4:5]
	s_delay_alu instid0(VALU_DEP_2) | instskip(SKIP_4) | instid1(SALU_CYCLE_1)
	v_add_nc_u64_e32 v[8:9], v[0:1], v[2:3]
	s_cvt_f32_u32 s2, s6
	s_cvt_f32_u32 s5, s7
	s_sub_nc_u64 s[10:11], 0, s[6:7]
	v_dual_mov_b32 v15, v10 :: v_dual_mov_b32 v21, v10
	s_fmamk_f32 s2, s5, 0x4f800000, s2
	s_delay_alu instid0(VALU_DEP_2) | instskip(SKIP_3) | instid1(TRANS32_DEP_1)
	v_xor_b32_e32 v12, v8, v2
	v_xor_b32_e32 v14, v9, v2
	;; [unrolled: 1-line block ×3, first 2 shown]
	v_s_rcp_f32 s2, s2
	s_mul_f32 s2, s2, 0x5f7ffffc
	s_delay_alu instid0(SALU_CYCLE_3) | instskip(NEXT) | instid1(SALU_CYCLE_3)
	s_mul_f32 s5, s2, 0x2f800000
	s_trunc_f32 s5, s5
	s_delay_alu instid0(SALU_CYCLE_3) | instskip(SKIP_1) | instid1(SALU_CYCLE_2)
	s_fmamk_f32 s2, s5, 0xcf800000, s2
	s_cvt_u32_f32 s9, s5
	s_cvt_u32_f32 s8, s2
	s_delay_alu instid0(SALU_CYCLE_3) | instskip(NEXT) | instid1(SALU_CYCLE_1)
	s_mul_u64 s[12:13], s[10:11], s[8:9]
	s_mul_hi_u32 s17, s8, s13
	s_mul_i32 s16, s8, s13
	s_mul_hi_u32 s14, s8, s12
	s_mul_i32 s5, s9, s12
	s_add_nc_u64 s[16:17], s[14:15], s[16:17]
	s_mul_hi_u32 s2, s9, s12
	s_mul_hi_u32 s18, s9, s13
	s_add_co_u32 s5, s16, s5
	s_add_co_ci_u32 s14, s17, s2
	s_mul_i32 s12, s9, s13
	s_add_co_ci_u32 s13, s18, 0
	s_delay_alu instid0(SALU_CYCLE_1) | instskip(NEXT) | instid1(SALU_CYCLE_1)
	s_add_nc_u64 s[12:13], s[14:15], s[12:13]
	s_add_co_u32 s8, s8, s12
	s_cselect_b32 s2, -1, 0
	s_delay_alu instid0(SALU_CYCLE_1) | instskip(SKIP_1) | instid1(SALU_CYCLE_1)
	s_cmp_lg_u32 s2, 0
	s_add_co_ci_u32 s9, s9, s13
	s_mul_u64 s[10:11], s[10:11], s[8:9]
	s_delay_alu instid0(SALU_CYCLE_1)
	s_mul_hi_u32 s13, s8, s11
	s_mul_i32 s12, s8, s11
	s_mul_hi_u32 s14, s8, s10
	s_mul_i32 s5, s9, s10
	s_add_nc_u64 s[12:13], s[14:15], s[12:13]
	s_mul_hi_u32 s2, s9, s10
	s_mul_hi_u32 s16, s9, s11
	s_add_co_u32 s5, s12, s5
	s_add_co_ci_u32 s14, s13, s2
	s_mul_i32 s10, s9, s11
	s_add_co_ci_u32 s11, s16, 0
	s_delay_alu instid0(SALU_CYCLE_1) | instskip(NEXT) | instid1(SALU_CYCLE_1)
	s_add_nc_u64 s[10:11], s[14:15], s[10:11]
	s_add_co_u32 s2, s8, s10
	s_cselect_b32 s5, -1, 0
	v_nop
	v_mul_hi_u32 v20, v12, s2
	s_cmp_lg_u32 s5, 0
	s_add_co_ci_u32 s14, s9, s11
	s_mov_b64 s[8:9], 0xffffffff
	v_mul_u64_e32 v[16:17], s[14:15], v[12:13]
	s_and_b64 s[8:9], s[2:3], s[8:9]
	v_mul_u64_e32 v[18:19], s[14:15], v[14:15]
	v_mul_u64_e32 v[8:9], s[8:9], v[14:15]
	s_delay_alu instid0(VALU_DEP_3) | instskip(NEXT) | instid1(VALU_DEP_1)
	v_add_nc_u64_e32 v[16:17], v[20:21], v[16:17]
	v_add_co_u32 v3, vcc_lo, v16, v8
	s_delay_alu instid0(VALU_DEP_2) | instskip(SKIP_1) | instid1(VALU_DEP_1)
	v_add_co_ci_u32_e32 v10, vcc_lo, v17, v9, vcc_lo
	v_add_co_ci_u32_e32 v19, vcc_lo, 0, v19, vcc_lo
	v_add_nc_u64_e32 v[8:9], v[10:11], v[18:19]
	s_delay_alu instid0(VALU_DEP_1) | instskip(NEXT) | instid1(VALU_DEP_1)
	v_mul_u64_e32 v[10:11], s[6:7], v[8:9]
	v_sub_nc_u32_e32 v3, v14, v11
	s_delay_alu instid0(VALU_DEP_2) | instskip(NEXT) | instid1(VALU_DEP_1)
	v_sub_co_u32 v10, vcc_lo, v12, v10
	v_sub_co_ci_u32_e64 v14, null, v14, v11, vcc_lo
	s_delay_alu instid0(VALU_DEP_3) | instskip(NEXT) | instid1(VALU_DEP_3)
	v_subrev_co_ci_u32_e64 v3, null, s7, v3, vcc_lo
	v_sub_co_u32 v12, s2, v10, s6
	s_delay_alu instid0(VALU_DEP_1) | instskip(NEXT) | instid1(VALU_DEP_2)
	v_subrev_co_ci_u32_e64 v3, null, 0, v3, s2
	v_cmp_le_u32_e32 vcc_lo, s6, v12
	v_cndmask_b32_e64 v11, 0, -1, vcc_lo
	s_delay_alu instid0(VALU_DEP_3)
	v_cmp_le_u32_e32 vcc_lo, s7, v3
	v_cndmask_b32_e64 v12, 0, -1, vcc_lo
	v_cmp_le_u32_e32 vcc_lo, s6, v10
	v_cndmask_b32_e64 v15, 0, -1, vcc_lo
	;; [unrolled: 2-line block ×3, first 2 shown]
	v_cmp_eq_u32_e32 vcc_lo, s7, v3
	v_cndmask_b32_e32 v3, v12, v11, vcc_lo
	v_cmp_eq_u32_e32 vcc_lo, s7, v14
	v_add_nc_u64_e32 v[10:11], 2, v[8:9]
	v_add_nc_u64_e32 v[12:13], 1, v[8:9]
	v_cndmask_b32_e32 v14, v16, v15, vcc_lo
	v_cmp_ne_u32_e32 vcc_lo, 0, v3
	s_delay_alu instid0(VALU_DEP_2) | instskip(NEXT) | instid1(VALU_DEP_4)
	v_cmp_ne_u32_e64 s2, 0, v14
	v_dual_cndmask_b32 v10, v12, v10 :: v_dual_cndmask_b32 v3, v13, v11
	s_delay_alu instid0(VALU_DEP_1) | instskip(NEXT) | instid1(VALU_DEP_1)
	v_dual_cndmask_b32 v8, v8, v10, s2 :: v_dual_cndmask_b32 v9, v9, v3, s2
	v_dual_mov_b32 v3, v2 :: v_dual_bitop2_b32 v8, v8, v2 bitop3:0x14
	s_delay_alu instid0(VALU_DEP_2) | instskip(NEXT) | instid1(VALU_DEP_1)
	v_xor_b32_e32 v9, v9, v2
	v_sub_nc_u64_e32 v[8:9], v[8:9], v[2:3]
.LBB73_11:
	s_or_saveexec_b32 s31, s3
	s_clause 0x2
	s_load_b64 s[2:3], s[0:1], 0x58
	s_load_b64 s[44:45], s[0:1], 0x0
	s_load_b512 s[4:19], s[0:1], 0x18
	s_xor_b32 exec_lo, exec_lo, s31
	s_cbranch_execz .LBB73_13
; %bb.12:
	v_cvt_f32_u32_e32 v2, s30
	s_sub_co_i32 s36, 0, s30
	s_delay_alu instid0(VALU_DEP_1) | instskip(SKIP_1) | instid1(TRANS32_DEP_1)
	v_rcp_iflag_f32_e32 v2, v2
	v_nop
	v_mul_f32_e32 v2, 0x4f7ffffe, v2
	s_delay_alu instid0(VALU_DEP_1) | instskip(NEXT) | instid1(VALU_DEP_1)
	v_cvt_u32_f32_e32 v2, v2
	v_mul_lo_u32 v3, s36, v2
	s_delay_alu instid0(VALU_DEP_1) | instskip(NEXT) | instid1(VALU_DEP_1)
	v_mul_hi_u32 v3, v2, v3
	v_add_nc_u32_e32 v2, v2, v3
	s_delay_alu instid0(VALU_DEP_1) | instskip(NEXT) | instid1(VALU_DEP_1)
	v_mul_hi_u32 v2, v0, v2
	v_mul_lo_u32 v3, v2, s30
	s_delay_alu instid0(VALU_DEP_1) | instskip(NEXT) | instid1(VALU_DEP_1)
	v_dual_add_nc_u32 v8, 1, v2 :: v_dual_sub_nc_u32 v3, v0, v3
	v_subrev_nc_u32_e32 v9, s30, v3
	v_cmp_le_u32_e32 vcc_lo, s30, v3
	s_delay_alu instid0(VALU_DEP_2) | instskip(NEXT) | instid1(VALU_DEP_4)
	v_dual_cndmask_b32 v3, v3, v9, vcc_lo :: v_dual_mov_b32 v9, 0
	v_cndmask_b32_e32 v2, v2, v8, vcc_lo
	s_delay_alu instid0(VALU_DEP_2) | instskip(NEXT) | instid1(VALU_DEP_2)
	v_cmp_le_u32_e32 vcc_lo, s30, v3
	v_add_nc_u32_e32 v8, 1, v2
	s_delay_alu instid0(VALU_DEP_1)
	v_cndmask_b32_e32 v8, v2, v8, vcc_lo
.LBB73_13:
	s_or_b32 exec_lo, exec_lo, s31
	v_mul_u64_e32 v[2:3], s[28:29], v[4:5]
	s_load_b256 s[36:43], s[0:1], 0xb0
	s_wait_kmcnt 0x0
	v_max_i64 v[4:5], s[40:41], 0
	s_add_nc_u64 s[50:51], s[40:41], s[4:5]
	v_max_i64 v[10:11], s[38:39], 0
	v_sub_nc_u64_e64 v[14:15], v[8:9], s[50:51]
	s_add_nc_u64 s[48:49], s[38:39], s[6:7]
	s_sub_nc_u64 s[46:47], 0, s[40:41]
	v_sub_nc_u64_e64 v[12:13], v[6:7], s[48:49]
	v_max_i64 v[16:17], s[36:37], 0
	s_add_nc_u64 s[48:49], s[36:37], s[8:9]
	s_sub_nc_u64 s[30:31], 0, s[38:39]
	v_add_nc_u64_e32 v[22:23], 1, v[14:15]
	v_sub_nc_u64_e32 v[0:1], v[0:1], v[2:3]
	v_max_i64 v[2:3], s[46:47], 0
	v_not_b32_e32 v15, v15
	v_not_b32_e32 v14, v14
	v_add_nc_u64_e32 v[20:21], 1, v[12:13]
	v_not_b32_e32 v13, v13
	v_not_b32_e32 v12, v12
	v_sub_nc_u64_e64 v[24:25], v[0:1], s[48:49]
	v_max_i64 v[26:27], s[30:31], 0
	v_max_i64 v[14:15], v[22:23], v[14:15]
	v_sub_nc_u64_e64 v[22:23], v[8:9], s[40:41]
	s_sub_nc_u64 s[28:29], 0, s[36:37]
	v_max_i64 v[12:13], v[20:21], v[12:13]
	v_max_i64 v[28:29], s[28:29], 0
	v_add_nc_u64_e32 v[20:21], 1, v[24:25]
	v_sub_nc_u64_e64 v[18:19], v[6:7], s[38:39]
	v_not_b32_e32 v25, v25
	v_not_b32_e32 v24, v24
	v_sub_nc_u64_e32 v[30:31], 0, v[22:23]
	v_sub_nc_u64_e64 v[32:33], v[0:1], s[36:37]
	s_lshl_b64 s[30:31], s[40:41], 1
	v_not_b32_e32 v4, v4
	v_max_i64 v[20:21], v[20:21], v[24:25]
	v_sub_nc_u64_e32 v[24:25], 0, v[18:19]
	v_not_b32_e32 v5, v5
	v_max_i64 v[22:23], v[22:23], v[30:31]
	v_sub_nc_u64_e32 v[30:31], 0, v[32:33]
	v_not_b32_e32 v10, v10
	v_not_b32_e32 v11, v11
	v_add_nc_u64_e32 v[4:5], s[30:31], v[4:5]
	v_max_i64 v[18:19], v[18:19], v[24:25]
	s_lshl_b64 s[30:31], s[38:39], 1
	v_not_b32_e32 v16, v16
	v_not_b32_e32 v17, v17
	v_add_nc_u64_e32 v[10:11], s[30:31], v[10:11]
	v_max_i64 v[24:25], v[32:33], v[30:31]
	v_add_nc_u64_e32 v[2:3], v[4:5], v[2:3]
	s_lshl_b64 s[28:29], s[36:37], 1
	s_delay_alu instid0(SALU_CYCLE_1) | instskip(NEXT) | instid1(VALU_DEP_4)
	v_add_nc_u64_e32 v[4:5], s[28:29], v[16:17]
	v_add_nc_u64_e32 v[10:11], v[10:11], v[26:27]
	;; [unrolled: 1-line block ×3, first 2 shown]
	s_delay_alu instid0(VALU_DEP_4)
	v_add_nc_u64_e32 v[2:3], s[4:5], v[2:3]
	v_add_nc_u64_e32 v[12:13], v[6:7], v[12:13]
	s_load_b64 s[4:5], s[0:1], 0xd0
	v_add_nc_u64_e32 v[4:5], v[4:5], v[28:29]
	s_wait_xcnt 0x0
	s_lshr_b32 s0, ttmp7, 16
	v_add_nc_u64_e32 v[10:11], s[6:7], v[10:11]
	s_bfe_u32 s6, ttmp6, 0x40014
	v_sub_nc_u64_e32 v[2:3], v[2:3], v[14:15]
	s_add_co_i32 s6, s6, 1
	s_bfe_u32 s7, ttmp6, 0x40008
	v_add_nc_u64_e32 v[4:5], s[8:9], v[4:5]
	v_add_nc_u64_e32 v[14:15], v[0:1], v[20:21]
	v_sub_nc_u64_e32 v[10:11], v[10:11], v[12:13]
	s_bfe_u32 s9, ttmp6, 0x40010
	v_add_nc_u64_e32 v[2:3], v[2:3], v[22:23]
	s_and_b32 s8, ttmp7, 0xffff
	s_add_co_i32 s9, s9, 1
	v_mul_u64_e32 v[8:9], s[24:25], v[8:9]
	v_sub_nc_u64_e32 v[4:5], v[4:5], v[14:15]
	v_add_nc_u64_e32 v[10:11], v[10:11], v[18:19]
	s_mul_i32 s6, s0, s6
	v_mul_u64_e32 v[2:3], s[14:15], v[2:3]
	s_bfe_u32 s14, ttmp6, 0x40004
	s_mul_i32 s9, s8, s9
	s_add_co_i32 s6, s7, s6
	v_add_nc_u64_e32 v[4:5], v[4:5], v[24:25]
	v_mul_u64_e32 v[10:11], s[16:17], v[10:11]
	s_add_co_i32 s14, s14, s9
	s_mov_b32 s1, 0
	s_cmp_eq_u32 s33, 0
	v_mul_u64_e32 v[6:7], s[26:27], v[6:7]
	s_mov_b32 s7, s1
	v_mul_u64_e32 v[4:5], s[18:19], v[4:5]
	s_cselect_b32 s6, s0, s6
	s_cselect_b32 s0, s8, s14
	s_wait_kmcnt 0x0
	s_add_nc_u64 s[4:5], s[4:5], s[6:7]
	s_add_nc_u64 s[6:7], s[42:43], s[0:1]
	s_mul_u64 s[8:9], s[10:11], s[4:5]
	s_mul_u64 s[10:11], s[12:13], s[6:7]
	s_lshl_b64 s[8:9], s[8:9], 1
	v_mul_u64_e32 v[0:1], s[34:35], v[0:1]
	s_lshl_b64 s[10:11], s[10:11], 1
	s_add_nc_u64 s[8:9], s[44:45], s[8:9]
	s_mul_u64 s[4:5], s[20:21], s[4:5]
	s_add_nc_u64 s[8:9], s[8:9], s[10:11]
	s_mul_u64 s[6:7], s[22:23], s[6:7]
	s_lshl_b64 s[4:5], s[4:5], 1
	s_lshl_b64 s[6:7], s[6:7], 1
	s_add_nc_u64 s[2:3], s[2:3], s[4:5]
	s_delay_alu instid0(SALU_CYCLE_1) | instskip(SKIP_1) | instid1(VALU_DEP_1)
	s_add_nc_u64 s[2:3], s[2:3], s[6:7]
	v_lshl_add_u64 v[2:3], v[2:3], 1, s[8:9]
	v_lshl_add_u64 v[2:3], v[10:11], 1, v[2:3]
	s_delay_alu instid0(VALU_DEP_1) | instskip(SKIP_1) | instid1(VALU_DEP_2)
	v_lshl_add_u64 v[2:3], v[4:5], 1, v[2:3]
	v_lshl_add_u64 v[4:5], v[8:9], 1, s[2:3]
	v_dual_mov_b32 v9, 0 :: v_dual_bitop2_b32 v8, 2, v2 bitop3:0x40
	s_delay_alu instid0(VALU_DEP_2) | instskip(NEXT) | instid1(VALU_DEP_2)
	v_lshl_add_u64 v[4:5], v[6:7], 1, v[4:5]
	v_sub_nc_u64_e32 v[6:7], 0, v[8:9]
	s_delay_alu instid0(VALU_DEP_2) | instskip(SKIP_1) | instid1(VALU_DEP_3)
	v_lshl_add_u64 v[4:5], v[0:1], 1, v[4:5]
	v_cmp_eq_u64_e32 vcc_lo, 0, v[8:9]
	v_add_nc_u64_e32 v[0:1], v[2:3], v[6:7]
	global_load_u16 v2, v[4:5], off
	global_load_b32 v3, v[0:1], off
	s_wait_loadcnt 0x1
	s_wait_xcnt 0x1
	v_lshlrev_b32_e32 v4, 16, v2
.LBB73_14:                              ; =>This Inner Loop Header: Depth=1
	s_wait_loadcnt 0x0
	v_lshrrev_b32_e32 v2, 16, v3
	v_and_b32_e32 v5, 0xffff, v3
	s_delay_alu instid0(VALU_DEP_1) | instskip(NEXT) | instid1(VALU_DEP_1)
	v_cndmask_b32_e32 v2, v2, v5, vcc_lo
	v_lshlrev_b32_e32 v2, 16, v2
	s_delay_alu instid0(VALU_DEP_1) | instskip(NEXT) | instid1(VALU_DEP_1)
	v_add_f32_e32 v2, v4, v2
	v_bfe_u32 v6, v2, 16, 1
	v_cmp_o_f32_e64 s0, v2, v2
	s_delay_alu instid0(VALU_DEP_2) | instskip(NEXT) | instid1(VALU_DEP_1)
	v_add3_u32 v6, v2, v6, 0x7fff
	v_lshrrev_b32_e32 v6, 16, v6
	s_delay_alu instid0(VALU_DEP_1) | instskip(NEXT) | instid1(VALU_DEP_1)
	v_cndmask_b32_e64 v2, 0x7fc0, v6, s0
	v_lshl_or_b32 v5, v2, 16, v5
	v_and_or_b32 v2, 0xffff0000, v3, v2
	s_delay_alu instid0(VALU_DEP_1)
	v_cndmask_b32_e32 v2, v5, v2, vcc_lo
	global_atomic_cmpswap_b32 v2, v[0:1], v[2:3], off th:TH_ATOMIC_RETURN scope:SCOPE_DEV
	s_wait_loadcnt 0x0
	v_cmp_eq_u32_e64 s0, v3, v2
	v_mov_b32_e32 v3, v2
	s_or_b32 s1, s0, s1
	s_delay_alu instid0(SALU_CYCLE_1)
	s_and_not1_b32 exec_lo, exec_lo, s1
	s_cbranch_execnz .LBB73_14
.LBB73_15:
	s_endpgm
	.section	.rodata,"a",@progbits
	.p2align	6, 0x0
	.amdhsa_kernel _ZN2at6native12_GLOBAL__N_136reflection_pad3d_backward_out_kernelIN3c108BFloat16EEEvN5torch10headeronly6detail27GenericPackedTensorAccessorINS7_14TensorAccessorINS3_8ArrayRefIlEET_Lm4ENS6_16DefaultPtrTraitsElEENS_6detail16IndexBoundsCheckILm5ElEESC_Lm5ESD_lEENS8_INS9_ISB_KSC_Lm4ESD_lEESH_SJ_Lm5ESD_lEElllll
		.amdhsa_group_segment_fixed_size 0
		.amdhsa_private_segment_fixed_size 0
		.amdhsa_kernarg_size 472
		.amdhsa_user_sgpr_count 2
		.amdhsa_user_sgpr_dispatch_ptr 0
		.amdhsa_user_sgpr_queue_ptr 0
		.amdhsa_user_sgpr_kernarg_segment_ptr 1
		.amdhsa_user_sgpr_dispatch_id 0
		.amdhsa_user_sgpr_kernarg_preload_length 0
		.amdhsa_user_sgpr_kernarg_preload_offset 0
		.amdhsa_user_sgpr_private_segment_size 0
		.amdhsa_wavefront_size32 1
		.amdhsa_uses_dynamic_stack 0
		.amdhsa_enable_private_segment 0
		.amdhsa_system_sgpr_workgroup_id_x 1
		.amdhsa_system_sgpr_workgroup_id_y 1
		.amdhsa_system_sgpr_workgroup_id_z 1
		.amdhsa_system_sgpr_workgroup_info 0
		.amdhsa_system_vgpr_workitem_id 0
		.amdhsa_next_free_vgpr 34
		.amdhsa_next_free_sgpr 52
		.amdhsa_named_barrier_count 0
		.amdhsa_reserve_vcc 1
		.amdhsa_float_round_mode_32 0
		.amdhsa_float_round_mode_16_64 0
		.amdhsa_float_denorm_mode_32 3
		.amdhsa_float_denorm_mode_16_64 3
		.amdhsa_fp16_overflow 0
		.amdhsa_memory_ordered 1
		.amdhsa_forward_progress 1
		.amdhsa_inst_pref_size 26
		.amdhsa_round_robin_scheduling 0
		.amdhsa_exception_fp_ieee_invalid_op 0
		.amdhsa_exception_fp_denorm_src 0
		.amdhsa_exception_fp_ieee_div_zero 0
		.amdhsa_exception_fp_ieee_overflow 0
		.amdhsa_exception_fp_ieee_underflow 0
		.amdhsa_exception_fp_ieee_inexact 0
		.amdhsa_exception_int_div_zero 0
	.end_amdhsa_kernel
	.section	.text._ZN2at6native12_GLOBAL__N_136reflection_pad3d_backward_out_kernelIN3c108BFloat16EEEvN5torch10headeronly6detail27GenericPackedTensorAccessorINS7_14TensorAccessorINS3_8ArrayRefIlEET_Lm4ENS6_16DefaultPtrTraitsElEENS_6detail16IndexBoundsCheckILm5ElEESC_Lm5ESD_lEENS8_INS9_ISB_KSC_Lm4ESD_lEESH_SJ_Lm5ESD_lEElllll,"axG",@progbits,_ZN2at6native12_GLOBAL__N_136reflection_pad3d_backward_out_kernelIN3c108BFloat16EEEvN5torch10headeronly6detail27GenericPackedTensorAccessorINS7_14TensorAccessorINS3_8ArrayRefIlEET_Lm4ENS6_16DefaultPtrTraitsElEENS_6detail16IndexBoundsCheckILm5ElEESC_Lm5ESD_lEENS8_INS9_ISB_KSC_Lm4ESD_lEESH_SJ_Lm5ESD_lEElllll,comdat
.Lfunc_end73:
	.size	_ZN2at6native12_GLOBAL__N_136reflection_pad3d_backward_out_kernelIN3c108BFloat16EEEvN5torch10headeronly6detail27GenericPackedTensorAccessorINS7_14TensorAccessorINS3_8ArrayRefIlEET_Lm4ENS6_16DefaultPtrTraitsElEENS_6detail16IndexBoundsCheckILm5ElEESC_Lm5ESD_lEENS8_INS9_ISB_KSC_Lm4ESD_lEESH_SJ_Lm5ESD_lEElllll, .Lfunc_end73-_ZN2at6native12_GLOBAL__N_136reflection_pad3d_backward_out_kernelIN3c108BFloat16EEEvN5torch10headeronly6detail27GenericPackedTensorAccessorINS7_14TensorAccessorINS3_8ArrayRefIlEET_Lm4ENS6_16DefaultPtrTraitsElEENS_6detail16IndexBoundsCheckILm5ElEESC_Lm5ESD_lEENS8_INS9_ISB_KSC_Lm4ESD_lEESH_SJ_Lm5ESD_lEElllll
                                        ; -- End function
	.set _ZN2at6native12_GLOBAL__N_136reflection_pad3d_backward_out_kernelIN3c108BFloat16EEEvN5torch10headeronly6detail27GenericPackedTensorAccessorINS7_14TensorAccessorINS3_8ArrayRefIlEET_Lm4ENS6_16DefaultPtrTraitsElEENS_6detail16IndexBoundsCheckILm5ElEESC_Lm5ESD_lEENS8_INS9_ISB_KSC_Lm4ESD_lEESH_SJ_Lm5ESD_lEElllll.num_vgpr, 34
	.set _ZN2at6native12_GLOBAL__N_136reflection_pad3d_backward_out_kernelIN3c108BFloat16EEEvN5torch10headeronly6detail27GenericPackedTensorAccessorINS7_14TensorAccessorINS3_8ArrayRefIlEET_Lm4ENS6_16DefaultPtrTraitsElEENS_6detail16IndexBoundsCheckILm5ElEESC_Lm5ESD_lEENS8_INS9_ISB_KSC_Lm4ESD_lEESH_SJ_Lm5ESD_lEElllll.num_agpr, 0
	.set _ZN2at6native12_GLOBAL__N_136reflection_pad3d_backward_out_kernelIN3c108BFloat16EEEvN5torch10headeronly6detail27GenericPackedTensorAccessorINS7_14TensorAccessorINS3_8ArrayRefIlEET_Lm4ENS6_16DefaultPtrTraitsElEENS_6detail16IndexBoundsCheckILm5ElEESC_Lm5ESD_lEENS8_INS9_ISB_KSC_Lm4ESD_lEESH_SJ_Lm5ESD_lEElllll.numbered_sgpr, 52
	.set _ZN2at6native12_GLOBAL__N_136reflection_pad3d_backward_out_kernelIN3c108BFloat16EEEvN5torch10headeronly6detail27GenericPackedTensorAccessorINS7_14TensorAccessorINS3_8ArrayRefIlEET_Lm4ENS6_16DefaultPtrTraitsElEENS_6detail16IndexBoundsCheckILm5ElEESC_Lm5ESD_lEENS8_INS9_ISB_KSC_Lm4ESD_lEESH_SJ_Lm5ESD_lEElllll.num_named_barrier, 0
	.set _ZN2at6native12_GLOBAL__N_136reflection_pad3d_backward_out_kernelIN3c108BFloat16EEEvN5torch10headeronly6detail27GenericPackedTensorAccessorINS7_14TensorAccessorINS3_8ArrayRefIlEET_Lm4ENS6_16DefaultPtrTraitsElEENS_6detail16IndexBoundsCheckILm5ElEESC_Lm5ESD_lEENS8_INS9_ISB_KSC_Lm4ESD_lEESH_SJ_Lm5ESD_lEElllll.private_seg_size, 0
	.set _ZN2at6native12_GLOBAL__N_136reflection_pad3d_backward_out_kernelIN3c108BFloat16EEEvN5torch10headeronly6detail27GenericPackedTensorAccessorINS7_14TensorAccessorINS3_8ArrayRefIlEET_Lm4ENS6_16DefaultPtrTraitsElEENS_6detail16IndexBoundsCheckILm5ElEESC_Lm5ESD_lEENS8_INS9_ISB_KSC_Lm4ESD_lEESH_SJ_Lm5ESD_lEElllll.uses_vcc, 1
	.set _ZN2at6native12_GLOBAL__N_136reflection_pad3d_backward_out_kernelIN3c108BFloat16EEEvN5torch10headeronly6detail27GenericPackedTensorAccessorINS7_14TensorAccessorINS3_8ArrayRefIlEET_Lm4ENS6_16DefaultPtrTraitsElEENS_6detail16IndexBoundsCheckILm5ElEESC_Lm5ESD_lEENS8_INS9_ISB_KSC_Lm4ESD_lEESH_SJ_Lm5ESD_lEElllll.uses_flat_scratch, 0
	.set _ZN2at6native12_GLOBAL__N_136reflection_pad3d_backward_out_kernelIN3c108BFloat16EEEvN5torch10headeronly6detail27GenericPackedTensorAccessorINS7_14TensorAccessorINS3_8ArrayRefIlEET_Lm4ENS6_16DefaultPtrTraitsElEENS_6detail16IndexBoundsCheckILm5ElEESC_Lm5ESD_lEENS8_INS9_ISB_KSC_Lm4ESD_lEESH_SJ_Lm5ESD_lEElllll.has_dyn_sized_stack, 0
	.set _ZN2at6native12_GLOBAL__N_136reflection_pad3d_backward_out_kernelIN3c108BFloat16EEEvN5torch10headeronly6detail27GenericPackedTensorAccessorINS7_14TensorAccessorINS3_8ArrayRefIlEET_Lm4ENS6_16DefaultPtrTraitsElEENS_6detail16IndexBoundsCheckILm5ElEESC_Lm5ESD_lEENS8_INS9_ISB_KSC_Lm4ESD_lEESH_SJ_Lm5ESD_lEElllll.has_recursion, 0
	.set _ZN2at6native12_GLOBAL__N_136reflection_pad3d_backward_out_kernelIN3c108BFloat16EEEvN5torch10headeronly6detail27GenericPackedTensorAccessorINS7_14TensorAccessorINS3_8ArrayRefIlEET_Lm4ENS6_16DefaultPtrTraitsElEENS_6detail16IndexBoundsCheckILm5ElEESC_Lm5ESD_lEENS8_INS9_ISB_KSC_Lm4ESD_lEESH_SJ_Lm5ESD_lEElllll.has_indirect_call, 0
	.section	.AMDGPU.csdata,"",@progbits
; Kernel info:
; codeLenInByte = 3276
; TotalNumSgprs: 54
; NumVgprs: 34
; ScratchSize: 0
; MemoryBound: 0
; FloatMode: 240
; IeeeMode: 1
; LDSByteSize: 0 bytes/workgroup (compile time only)
; SGPRBlocks: 0
; VGPRBlocks: 2
; NumSGPRsForWavesPerEU: 54
; NumVGPRsForWavesPerEU: 34
; NamedBarCnt: 0
; Occupancy: 16
; WaveLimiterHint : 0
; COMPUTE_PGM_RSRC2:SCRATCH_EN: 0
; COMPUTE_PGM_RSRC2:USER_SGPR: 2
; COMPUTE_PGM_RSRC2:TRAP_HANDLER: 0
; COMPUTE_PGM_RSRC2:TGID_X_EN: 1
; COMPUTE_PGM_RSRC2:TGID_Y_EN: 1
; COMPUTE_PGM_RSRC2:TGID_Z_EN: 1
; COMPUTE_PGM_RSRC2:TIDIG_COMP_CNT: 0
	.section	.AMDGPU.gpr_maximums,"",@progbits
	.set amdgpu.max_num_vgpr, 0
	.set amdgpu.max_num_agpr, 0
	.set amdgpu.max_num_sgpr, 0
	.section	.AMDGPU.csdata,"",@progbits
	.type	__hip_cuid_5f7a5d23163999d2,@object ; @__hip_cuid_5f7a5d23163999d2
	.section	.bss,"aw",@nobits
	.globl	__hip_cuid_5f7a5d23163999d2
__hip_cuid_5f7a5d23163999d2:
	.byte	0                               ; 0x0
	.size	__hip_cuid_5f7a5d23163999d2, 1

	.ident	"AMD clang version 22.0.0git (https://github.com/RadeonOpenCompute/llvm-project roc-7.2.4 26084 f58b06dce1f9c15707c5f808fd002e18c2accf7e)"
	.section	".note.GNU-stack","",@progbits
	.addrsig
	.addrsig_sym __hip_cuid_5f7a5d23163999d2
	.amdgpu_metadata
---
amdhsa.kernels:
  - .args:
      - .address_space:  global
        .offset:         0
        .size:           8
        .value_kind:     global_buffer
      - .address_space:  global
        .offset:         8
        .size:           8
        .value_kind:     global_buffer
      - .offset:         16
        .size:           8
        .value_kind:     by_value
      - .offset:         24
        .size:           8
        .value_kind:     by_value
      - .offset:         32
        .size:           4
        .value_kind:     by_value
      - .offset:         36
        .size:           4
        .value_kind:     by_value
      - .offset:         40
        .size:           4
        .value_kind:     by_value
      - .offset:         44
        .size:           4
        .value_kind:     by_value
      - .offset:         48
        .size:           4
        .value_kind:     by_value
      - .offset:         52
        .size:           4
        .value_kind:     by_value
      - .offset:         56
        .size:           4
        .value_kind:     by_value
      - .offset:         64
        .size:           4
        .value_kind:     hidden_block_count_x
      - .offset:         68
        .size:           4
        .value_kind:     hidden_block_count_y
      - .offset:         72
        .size:           4
        .value_kind:     hidden_block_count_z
      - .offset:         76
        .size:           2
        .value_kind:     hidden_group_size_x
      - .offset:         78
        .size:           2
        .value_kind:     hidden_group_size_y
      - .offset:         80
        .size:           2
        .value_kind:     hidden_group_size_z
      - .offset:         82
        .size:           2
        .value_kind:     hidden_remainder_x
      - .offset:         84
        .size:           2
        .value_kind:     hidden_remainder_y
      - .offset:         86
        .size:           2
        .value_kind:     hidden_remainder_z
      - .offset:         104
        .size:           8
        .value_kind:     hidden_global_offset_x
      - .offset:         112
        .size:           8
        .value_kind:     hidden_global_offset_y
      - .offset:         120
        .size:           8
        .value_kind:     hidden_global_offset_z
      - .offset:         128
        .size:           2
        .value_kind:     hidden_grid_dims
    .group_segment_fixed_size: 0
    .kernarg_segment_align: 8
    .kernarg_segment_size: 320
    .language:       OpenCL C
    .language_version:
      - 2
      - 0
    .max_flat_workgroup_size: 1024
    .name:           _ZN2at6native12_GLOBAL__N_127reflection_pad2d_out_kernelIhEEvPKT_PS3_lliiiiiii
    .private_segment_fixed_size: 0
    .sgpr_count:     43
    .sgpr_spill_count: 0
    .symbol:         _ZN2at6native12_GLOBAL__N_127reflection_pad2d_out_kernelIhEEvPKT_PS3_lliiiiiii.kd
    .uniform_work_group_size: 1
    .uses_dynamic_stack: false
    .vgpr_count:     24
    .vgpr_spill_count: 0
    .wavefront_size: 32
  - .args:
      - .address_space:  global
        .offset:         0
        .size:           8
        .value_kind:     global_buffer
      - .address_space:  global
        .offset:         8
        .size:           8
        .value_kind:     global_buffer
      - .offset:         16
        .size:           8
        .value_kind:     by_value
      - .offset:         24
        .size:           8
        .value_kind:     by_value
      - .offset:         32
        .size:           4
        .value_kind:     by_value
      - .offset:         36
        .size:           4
        .value_kind:     by_value
      - .offset:         40
        .size:           4
        .value_kind:     by_value
      - .offset:         44
        .size:           4
        .value_kind:     by_value
      - .offset:         48
        .size:           4
        .value_kind:     by_value
      - .offset:         52
        .size:           4
        .value_kind:     by_value
      - .offset:         56
        .size:           4
        .value_kind:     by_value
      - .offset:         64
        .size:           4
        .value_kind:     hidden_block_count_x
      - .offset:         68
        .size:           4
        .value_kind:     hidden_block_count_y
      - .offset:         72
        .size:           4
        .value_kind:     hidden_block_count_z
      - .offset:         76
        .size:           2
        .value_kind:     hidden_group_size_x
      - .offset:         78
        .size:           2
        .value_kind:     hidden_group_size_y
      - .offset:         80
        .size:           2
        .value_kind:     hidden_group_size_z
      - .offset:         82
        .size:           2
        .value_kind:     hidden_remainder_x
      - .offset:         84
        .size:           2
        .value_kind:     hidden_remainder_y
      - .offset:         86
        .size:           2
        .value_kind:     hidden_remainder_z
      - .offset:         104
        .size:           8
        .value_kind:     hidden_global_offset_x
      - .offset:         112
        .size:           8
        .value_kind:     hidden_global_offset_y
      - .offset:         120
        .size:           8
        .value_kind:     hidden_global_offset_z
      - .offset:         128
        .size:           2
        .value_kind:     hidden_grid_dims
    .group_segment_fixed_size: 0
    .kernarg_segment_align: 8
    .kernarg_segment_size: 320
    .language:       OpenCL C
    .language_version:
      - 2
      - 0
    .max_flat_workgroup_size: 1024
    .name:           _ZN2at6native12_GLOBAL__N_127reflection_pad2d_out_kernelIaEEvPKT_PS3_lliiiiiii
    .private_segment_fixed_size: 0
    .sgpr_count:     43
    .sgpr_spill_count: 0
    .symbol:         _ZN2at6native12_GLOBAL__N_127reflection_pad2d_out_kernelIaEEvPKT_PS3_lliiiiiii.kd
    .uniform_work_group_size: 1
    .uses_dynamic_stack: false
    .vgpr_count:     24
    .vgpr_spill_count: 0
    .wavefront_size: 32
  - .args:
      - .address_space:  global
        .offset:         0
        .size:           8
        .value_kind:     global_buffer
      - .address_space:  global
        .offset:         8
        .size:           8
        .value_kind:     global_buffer
      - .offset:         16
        .size:           8
        .value_kind:     by_value
      - .offset:         24
        .size:           8
        .value_kind:     by_value
      - .offset:         32
        .size:           4
        .value_kind:     by_value
      - .offset:         36
        .size:           4
        .value_kind:     by_value
      - .offset:         40
        .size:           4
        .value_kind:     by_value
      - .offset:         44
        .size:           4
        .value_kind:     by_value
      - .offset:         48
        .size:           4
        .value_kind:     by_value
      - .offset:         52
        .size:           4
        .value_kind:     by_value
      - .offset:         56
        .size:           4
        .value_kind:     by_value
      - .offset:         64
        .size:           4
        .value_kind:     hidden_block_count_x
      - .offset:         68
        .size:           4
        .value_kind:     hidden_block_count_y
      - .offset:         72
        .size:           4
        .value_kind:     hidden_block_count_z
      - .offset:         76
        .size:           2
        .value_kind:     hidden_group_size_x
      - .offset:         78
        .size:           2
        .value_kind:     hidden_group_size_y
      - .offset:         80
        .size:           2
        .value_kind:     hidden_group_size_z
      - .offset:         82
        .size:           2
        .value_kind:     hidden_remainder_x
      - .offset:         84
        .size:           2
        .value_kind:     hidden_remainder_y
      - .offset:         86
        .size:           2
        .value_kind:     hidden_remainder_z
      - .offset:         104
        .size:           8
        .value_kind:     hidden_global_offset_x
      - .offset:         112
        .size:           8
        .value_kind:     hidden_global_offset_y
      - .offset:         120
        .size:           8
        .value_kind:     hidden_global_offset_z
      - .offset:         128
        .size:           2
        .value_kind:     hidden_grid_dims
    .group_segment_fixed_size: 0
    .kernarg_segment_align: 8
    .kernarg_segment_size: 320
    .language:       OpenCL C
    .language_version:
      - 2
      - 0
    .max_flat_workgroup_size: 1024
    .name:           _ZN2at6native12_GLOBAL__N_127reflection_pad2d_out_kernelIiEEvPKT_PS3_lliiiiiii
    .private_segment_fixed_size: 0
    .sgpr_count:     43
    .sgpr_spill_count: 0
    .symbol:         _ZN2at6native12_GLOBAL__N_127reflection_pad2d_out_kernelIiEEvPKT_PS3_lliiiiiii.kd
    .uniform_work_group_size: 1
    .uses_dynamic_stack: false
    .vgpr_count:     18
    .vgpr_spill_count: 0
    .wavefront_size: 32
  - .args:
      - .address_space:  global
        .offset:         0
        .size:           8
        .value_kind:     global_buffer
      - .address_space:  global
        .offset:         8
        .size:           8
        .value_kind:     global_buffer
      - .offset:         16
        .size:           8
        .value_kind:     by_value
      - .offset:         24
        .size:           8
        .value_kind:     by_value
      - .offset:         32
        .size:           4
        .value_kind:     by_value
      - .offset:         36
        .size:           4
        .value_kind:     by_value
      - .offset:         40
        .size:           4
        .value_kind:     by_value
      - .offset:         44
        .size:           4
        .value_kind:     by_value
      - .offset:         48
        .size:           4
        .value_kind:     by_value
      - .offset:         52
        .size:           4
        .value_kind:     by_value
      - .offset:         56
        .size:           4
        .value_kind:     by_value
      - .offset:         64
        .size:           4
        .value_kind:     hidden_block_count_x
      - .offset:         68
        .size:           4
        .value_kind:     hidden_block_count_y
      - .offset:         72
        .size:           4
        .value_kind:     hidden_block_count_z
      - .offset:         76
        .size:           2
        .value_kind:     hidden_group_size_x
      - .offset:         78
        .size:           2
        .value_kind:     hidden_group_size_y
      - .offset:         80
        .size:           2
        .value_kind:     hidden_group_size_z
      - .offset:         82
        .size:           2
        .value_kind:     hidden_remainder_x
      - .offset:         84
        .size:           2
        .value_kind:     hidden_remainder_y
      - .offset:         86
        .size:           2
        .value_kind:     hidden_remainder_z
      - .offset:         104
        .size:           8
        .value_kind:     hidden_global_offset_x
      - .offset:         112
        .size:           8
        .value_kind:     hidden_global_offset_y
      - .offset:         120
        .size:           8
        .value_kind:     hidden_global_offset_z
      - .offset:         128
        .size:           2
        .value_kind:     hidden_grid_dims
    .group_segment_fixed_size: 0
    .kernarg_segment_align: 8
    .kernarg_segment_size: 320
    .language:       OpenCL C
    .language_version:
      - 2
      - 0
    .max_flat_workgroup_size: 1024
    .name:           _ZN2at6native12_GLOBAL__N_127reflection_pad2d_out_kernelIlEEvPKT_PS3_lliiiiiii
    .private_segment_fixed_size: 0
    .sgpr_count:     43
    .sgpr_spill_count: 0
    .symbol:         _ZN2at6native12_GLOBAL__N_127reflection_pad2d_out_kernelIlEEvPKT_PS3_lliiiiiii.kd
    .uniform_work_group_size: 1
    .uses_dynamic_stack: false
    .vgpr_count:     18
    .vgpr_spill_count: 0
    .wavefront_size: 32
  - .args:
      - .address_space:  global
        .offset:         0
        .size:           8
        .value_kind:     global_buffer
      - .address_space:  global
        .offset:         8
        .size:           8
        .value_kind:     global_buffer
      - .offset:         16
        .size:           8
        .value_kind:     by_value
      - .offset:         24
        .size:           8
        .value_kind:     by_value
      - .offset:         32
        .size:           4
        .value_kind:     by_value
      - .offset:         36
        .size:           4
        .value_kind:     by_value
      - .offset:         40
        .size:           4
        .value_kind:     by_value
      - .offset:         44
        .size:           4
        .value_kind:     by_value
      - .offset:         48
        .size:           4
        .value_kind:     by_value
      - .offset:         52
        .size:           4
        .value_kind:     by_value
      - .offset:         56
        .size:           4
        .value_kind:     by_value
      - .offset:         64
        .size:           4
        .value_kind:     hidden_block_count_x
      - .offset:         68
        .size:           4
        .value_kind:     hidden_block_count_y
      - .offset:         72
        .size:           4
        .value_kind:     hidden_block_count_z
      - .offset:         76
        .size:           2
        .value_kind:     hidden_group_size_x
      - .offset:         78
        .size:           2
        .value_kind:     hidden_group_size_y
      - .offset:         80
        .size:           2
        .value_kind:     hidden_group_size_z
      - .offset:         82
        .size:           2
        .value_kind:     hidden_remainder_x
      - .offset:         84
        .size:           2
        .value_kind:     hidden_remainder_y
      - .offset:         86
        .size:           2
        .value_kind:     hidden_remainder_z
      - .offset:         104
        .size:           8
        .value_kind:     hidden_global_offset_x
      - .offset:         112
        .size:           8
        .value_kind:     hidden_global_offset_y
      - .offset:         120
        .size:           8
        .value_kind:     hidden_global_offset_z
      - .offset:         128
        .size:           2
        .value_kind:     hidden_grid_dims
    .group_segment_fixed_size: 0
    .kernarg_segment_align: 8
    .kernarg_segment_size: 320
    .language:       OpenCL C
    .language_version:
      - 2
      - 0
    .max_flat_workgroup_size: 1024
    .name:           _ZN2at6native12_GLOBAL__N_127reflection_pad2d_out_kernelIsEEvPKT_PS3_lliiiiiii
    .private_segment_fixed_size: 0
    .sgpr_count:     43
    .sgpr_spill_count: 0
    .symbol:         _ZN2at6native12_GLOBAL__N_127reflection_pad2d_out_kernelIsEEvPKT_PS3_lliiiiiii.kd
    .uniform_work_group_size: 1
    .uses_dynamic_stack: false
    .vgpr_count:     18
    .vgpr_spill_count: 0
    .wavefront_size: 32
  - .args:
      - .address_space:  global
        .offset:         0
        .size:           8
        .value_kind:     global_buffer
      - .address_space:  global
        .offset:         8
        .size:           8
        .value_kind:     global_buffer
      - .offset:         16
        .size:           8
        .value_kind:     by_value
      - .offset:         24
        .size:           8
        .value_kind:     by_value
      - .offset:         32
        .size:           4
        .value_kind:     by_value
      - .offset:         36
        .size:           4
        .value_kind:     by_value
      - .offset:         40
        .size:           4
        .value_kind:     by_value
      - .offset:         44
        .size:           4
        .value_kind:     by_value
      - .offset:         48
        .size:           4
        .value_kind:     by_value
      - .offset:         52
        .size:           4
        .value_kind:     by_value
      - .offset:         56
        .size:           4
        .value_kind:     by_value
      - .offset:         64
        .size:           4
        .value_kind:     hidden_block_count_x
      - .offset:         68
        .size:           4
        .value_kind:     hidden_block_count_y
      - .offset:         72
        .size:           4
        .value_kind:     hidden_block_count_z
      - .offset:         76
        .size:           2
        .value_kind:     hidden_group_size_x
      - .offset:         78
        .size:           2
        .value_kind:     hidden_group_size_y
      - .offset:         80
        .size:           2
        .value_kind:     hidden_group_size_z
      - .offset:         82
        .size:           2
        .value_kind:     hidden_remainder_x
      - .offset:         84
        .size:           2
        .value_kind:     hidden_remainder_y
      - .offset:         86
        .size:           2
        .value_kind:     hidden_remainder_z
      - .offset:         104
        .size:           8
        .value_kind:     hidden_global_offset_x
      - .offset:         112
        .size:           8
        .value_kind:     hidden_global_offset_y
      - .offset:         120
        .size:           8
        .value_kind:     hidden_global_offset_z
      - .offset:         128
        .size:           2
        .value_kind:     hidden_grid_dims
    .group_segment_fixed_size: 0
    .kernarg_segment_align: 8
    .kernarg_segment_size: 320
    .language:       OpenCL C
    .language_version:
      - 2
      - 0
    .max_flat_workgroup_size: 1024
    .name:           _ZN2at6native12_GLOBAL__N_127reflection_pad2d_out_kernelIdEEvPKT_PS3_lliiiiiii
    .private_segment_fixed_size: 0
    .sgpr_count:     43
    .sgpr_spill_count: 0
    .symbol:         _ZN2at6native12_GLOBAL__N_127reflection_pad2d_out_kernelIdEEvPKT_PS3_lliiiiiii.kd
    .uniform_work_group_size: 1
    .uses_dynamic_stack: false
    .vgpr_count:     18
    .vgpr_spill_count: 0
    .wavefront_size: 32
  - .args:
      - .address_space:  global
        .offset:         0
        .size:           8
        .value_kind:     global_buffer
      - .address_space:  global
        .offset:         8
        .size:           8
        .value_kind:     global_buffer
      - .offset:         16
        .size:           8
        .value_kind:     by_value
      - .offset:         24
        .size:           8
        .value_kind:     by_value
      - .offset:         32
        .size:           4
        .value_kind:     by_value
      - .offset:         36
        .size:           4
        .value_kind:     by_value
      - .offset:         40
        .size:           4
        .value_kind:     by_value
      - .offset:         44
        .size:           4
        .value_kind:     by_value
      - .offset:         48
        .size:           4
        .value_kind:     by_value
      - .offset:         52
        .size:           4
        .value_kind:     by_value
      - .offset:         56
        .size:           4
        .value_kind:     by_value
      - .offset:         64
        .size:           4
        .value_kind:     hidden_block_count_x
      - .offset:         68
        .size:           4
        .value_kind:     hidden_block_count_y
      - .offset:         72
        .size:           4
        .value_kind:     hidden_block_count_z
      - .offset:         76
        .size:           2
        .value_kind:     hidden_group_size_x
      - .offset:         78
        .size:           2
        .value_kind:     hidden_group_size_y
      - .offset:         80
        .size:           2
        .value_kind:     hidden_group_size_z
      - .offset:         82
        .size:           2
        .value_kind:     hidden_remainder_x
      - .offset:         84
        .size:           2
        .value_kind:     hidden_remainder_y
      - .offset:         86
        .size:           2
        .value_kind:     hidden_remainder_z
      - .offset:         104
        .size:           8
        .value_kind:     hidden_global_offset_x
      - .offset:         112
        .size:           8
        .value_kind:     hidden_global_offset_y
      - .offset:         120
        .size:           8
        .value_kind:     hidden_global_offset_z
      - .offset:         128
        .size:           2
        .value_kind:     hidden_grid_dims
    .group_segment_fixed_size: 0
    .kernarg_segment_align: 8
    .kernarg_segment_size: 320
    .language:       OpenCL C
    .language_version:
      - 2
      - 0
    .max_flat_workgroup_size: 1024
    .name:           _ZN2at6native12_GLOBAL__N_127reflection_pad2d_out_kernelIfEEvPKT_PS3_lliiiiiii
    .private_segment_fixed_size: 0
    .sgpr_count:     43
    .sgpr_spill_count: 0
    .symbol:         _ZN2at6native12_GLOBAL__N_127reflection_pad2d_out_kernelIfEEvPKT_PS3_lliiiiiii.kd
    .uniform_work_group_size: 1
    .uses_dynamic_stack: false
    .vgpr_count:     18
    .vgpr_spill_count: 0
    .wavefront_size: 32
  - .args:
      - .address_space:  global
        .offset:         0
        .size:           8
        .value_kind:     global_buffer
      - .address_space:  global
        .offset:         8
        .size:           8
        .value_kind:     global_buffer
      - .offset:         16
        .size:           8
        .value_kind:     by_value
      - .offset:         24
        .size:           8
        .value_kind:     by_value
      - .offset:         32
        .size:           4
        .value_kind:     by_value
      - .offset:         36
        .size:           4
        .value_kind:     by_value
      - .offset:         40
        .size:           4
        .value_kind:     by_value
      - .offset:         44
        .size:           4
        .value_kind:     by_value
      - .offset:         48
        .size:           4
        .value_kind:     by_value
      - .offset:         52
        .size:           4
        .value_kind:     by_value
      - .offset:         56
        .size:           4
        .value_kind:     by_value
      - .offset:         64
        .size:           4
        .value_kind:     hidden_block_count_x
      - .offset:         68
        .size:           4
        .value_kind:     hidden_block_count_y
      - .offset:         72
        .size:           4
        .value_kind:     hidden_block_count_z
      - .offset:         76
        .size:           2
        .value_kind:     hidden_group_size_x
      - .offset:         78
        .size:           2
        .value_kind:     hidden_group_size_y
      - .offset:         80
        .size:           2
        .value_kind:     hidden_group_size_z
      - .offset:         82
        .size:           2
        .value_kind:     hidden_remainder_x
      - .offset:         84
        .size:           2
        .value_kind:     hidden_remainder_y
      - .offset:         86
        .size:           2
        .value_kind:     hidden_remainder_z
      - .offset:         104
        .size:           8
        .value_kind:     hidden_global_offset_x
      - .offset:         112
        .size:           8
        .value_kind:     hidden_global_offset_y
      - .offset:         120
        .size:           8
        .value_kind:     hidden_global_offset_z
      - .offset:         128
        .size:           2
        .value_kind:     hidden_grid_dims
    .group_segment_fixed_size: 0
    .kernarg_segment_align: 8
    .kernarg_segment_size: 320
    .language:       OpenCL C
    .language_version:
      - 2
      - 0
    .max_flat_workgroup_size: 1024
    .name:           _ZN2at6native12_GLOBAL__N_127reflection_pad2d_out_kernelIN3c107complexIdEEEEvPKT_PS6_lliiiiiii
    .private_segment_fixed_size: 0
    .sgpr_count:     43
    .sgpr_spill_count: 0
    .symbol:         _ZN2at6native12_GLOBAL__N_127reflection_pad2d_out_kernelIN3c107complexIdEEEEvPKT_PS6_lliiiiiii.kd
    .uniform_work_group_size: 1
    .uses_dynamic_stack: false
    .vgpr_count:     18
    .vgpr_spill_count: 0
    .wavefront_size: 32
  - .args:
      - .address_space:  global
        .offset:         0
        .size:           8
        .value_kind:     global_buffer
      - .address_space:  global
        .offset:         8
        .size:           8
        .value_kind:     global_buffer
      - .offset:         16
        .size:           8
        .value_kind:     by_value
      - .offset:         24
        .size:           8
        .value_kind:     by_value
      - .offset:         32
        .size:           4
        .value_kind:     by_value
      - .offset:         36
        .size:           4
        .value_kind:     by_value
      - .offset:         40
        .size:           4
        .value_kind:     by_value
      - .offset:         44
        .size:           4
        .value_kind:     by_value
      - .offset:         48
        .size:           4
        .value_kind:     by_value
      - .offset:         52
        .size:           4
        .value_kind:     by_value
      - .offset:         56
        .size:           4
        .value_kind:     by_value
      - .offset:         64
        .size:           4
        .value_kind:     hidden_block_count_x
      - .offset:         68
        .size:           4
        .value_kind:     hidden_block_count_y
      - .offset:         72
        .size:           4
        .value_kind:     hidden_block_count_z
      - .offset:         76
        .size:           2
        .value_kind:     hidden_group_size_x
      - .offset:         78
        .size:           2
        .value_kind:     hidden_group_size_y
      - .offset:         80
        .size:           2
        .value_kind:     hidden_group_size_z
      - .offset:         82
        .size:           2
        .value_kind:     hidden_remainder_x
      - .offset:         84
        .size:           2
        .value_kind:     hidden_remainder_y
      - .offset:         86
        .size:           2
        .value_kind:     hidden_remainder_z
      - .offset:         104
        .size:           8
        .value_kind:     hidden_global_offset_x
      - .offset:         112
        .size:           8
        .value_kind:     hidden_global_offset_y
      - .offset:         120
        .size:           8
        .value_kind:     hidden_global_offset_z
      - .offset:         128
        .size:           2
        .value_kind:     hidden_grid_dims
    .group_segment_fixed_size: 0
    .kernarg_segment_align: 8
    .kernarg_segment_size: 320
    .language:       OpenCL C
    .language_version:
      - 2
      - 0
    .max_flat_workgroup_size: 1024
    .name:           _ZN2at6native12_GLOBAL__N_127reflection_pad2d_out_kernelIN3c107complexIfEEEEvPKT_PS6_lliiiiiii
    .private_segment_fixed_size: 0
    .sgpr_count:     43
    .sgpr_spill_count: 0
    .symbol:         _ZN2at6native12_GLOBAL__N_127reflection_pad2d_out_kernelIN3c107complexIfEEEEvPKT_PS6_lliiiiiii.kd
    .uniform_work_group_size: 1
    .uses_dynamic_stack: false
    .vgpr_count:     18
    .vgpr_spill_count: 0
    .wavefront_size: 32
  - .args:
      - .address_space:  global
        .offset:         0
        .size:           8
        .value_kind:     global_buffer
      - .address_space:  global
        .offset:         8
        .size:           8
        .value_kind:     global_buffer
      - .offset:         16
        .size:           8
        .value_kind:     by_value
      - .offset:         24
        .size:           8
        .value_kind:     by_value
      - .offset:         32
        .size:           4
        .value_kind:     by_value
      - .offset:         36
        .size:           4
        .value_kind:     by_value
      - .offset:         40
        .size:           4
        .value_kind:     by_value
      - .offset:         44
        .size:           4
        .value_kind:     by_value
      - .offset:         48
        .size:           4
        .value_kind:     by_value
      - .offset:         52
        .size:           4
        .value_kind:     by_value
      - .offset:         56
        .size:           4
        .value_kind:     by_value
      - .offset:         64
        .size:           4
        .value_kind:     hidden_block_count_x
      - .offset:         68
        .size:           4
        .value_kind:     hidden_block_count_y
      - .offset:         72
        .size:           4
        .value_kind:     hidden_block_count_z
      - .offset:         76
        .size:           2
        .value_kind:     hidden_group_size_x
      - .offset:         78
        .size:           2
        .value_kind:     hidden_group_size_y
      - .offset:         80
        .size:           2
        .value_kind:     hidden_group_size_z
      - .offset:         82
        .size:           2
        .value_kind:     hidden_remainder_x
      - .offset:         84
        .size:           2
        .value_kind:     hidden_remainder_y
      - .offset:         86
        .size:           2
        .value_kind:     hidden_remainder_z
      - .offset:         104
        .size:           8
        .value_kind:     hidden_global_offset_x
      - .offset:         112
        .size:           8
        .value_kind:     hidden_global_offset_y
      - .offset:         120
        .size:           8
        .value_kind:     hidden_global_offset_z
      - .offset:         128
        .size:           2
        .value_kind:     hidden_grid_dims
    .group_segment_fixed_size: 0
    .kernarg_segment_align: 8
    .kernarg_segment_size: 320
    .language:       OpenCL C
    .language_version:
      - 2
      - 0
    .max_flat_workgroup_size: 1024
    .name:           _ZN2at6native12_GLOBAL__N_127reflection_pad2d_out_kernelIN3c104HalfEEEvPKT_PS5_lliiiiiii
    .private_segment_fixed_size: 0
    .sgpr_count:     43
    .sgpr_spill_count: 0
    .symbol:         _ZN2at6native12_GLOBAL__N_127reflection_pad2d_out_kernelIN3c104HalfEEEvPKT_PS5_lliiiiiii.kd
    .uniform_work_group_size: 1
    .uses_dynamic_stack: false
    .vgpr_count:     18
    .vgpr_spill_count: 0
    .wavefront_size: 32
  - .args:
      - .address_space:  global
        .offset:         0
        .size:           8
        .value_kind:     global_buffer
      - .address_space:  global
        .offset:         8
        .size:           8
        .value_kind:     global_buffer
      - .offset:         16
        .size:           8
        .value_kind:     by_value
      - .offset:         24
        .size:           8
        .value_kind:     by_value
      - .offset:         32
        .size:           4
        .value_kind:     by_value
      - .offset:         36
        .size:           4
        .value_kind:     by_value
      - .offset:         40
        .size:           4
        .value_kind:     by_value
      - .offset:         44
        .size:           4
        .value_kind:     by_value
      - .offset:         48
        .size:           4
        .value_kind:     by_value
      - .offset:         52
        .size:           4
        .value_kind:     by_value
      - .offset:         56
        .size:           4
        .value_kind:     by_value
      - .offset:         64
        .size:           4
        .value_kind:     hidden_block_count_x
      - .offset:         68
        .size:           4
        .value_kind:     hidden_block_count_y
      - .offset:         72
        .size:           4
        .value_kind:     hidden_block_count_z
      - .offset:         76
        .size:           2
        .value_kind:     hidden_group_size_x
      - .offset:         78
        .size:           2
        .value_kind:     hidden_group_size_y
      - .offset:         80
        .size:           2
        .value_kind:     hidden_group_size_z
      - .offset:         82
        .size:           2
        .value_kind:     hidden_remainder_x
      - .offset:         84
        .size:           2
        .value_kind:     hidden_remainder_y
      - .offset:         86
        .size:           2
        .value_kind:     hidden_remainder_z
      - .offset:         104
        .size:           8
        .value_kind:     hidden_global_offset_x
      - .offset:         112
        .size:           8
        .value_kind:     hidden_global_offset_y
      - .offset:         120
        .size:           8
        .value_kind:     hidden_global_offset_z
      - .offset:         128
        .size:           2
        .value_kind:     hidden_grid_dims
    .group_segment_fixed_size: 0
    .kernarg_segment_align: 8
    .kernarg_segment_size: 320
    .language:       OpenCL C
    .language_version:
      - 2
      - 0
    .max_flat_workgroup_size: 1024
    .name:           _ZN2at6native12_GLOBAL__N_127reflection_pad2d_out_kernelIN3c108BFloat16EEEvPKT_PS5_lliiiiiii
    .private_segment_fixed_size: 0
    .sgpr_count:     43
    .sgpr_spill_count: 0
    .symbol:         _ZN2at6native12_GLOBAL__N_127reflection_pad2d_out_kernelIN3c108BFloat16EEEvPKT_PS5_lliiiiiii.kd
    .uniform_work_group_size: 1
    .uses_dynamic_stack: false
    .vgpr_count:     18
    .vgpr_spill_count: 0
    .wavefront_size: 32
  - .args:
      - .address_space:  global
        .offset:         0
        .size:           8
        .value_kind:     global_buffer
      - .address_space:  global
        .offset:         8
        .size:           8
        .value_kind:     global_buffer
      - .offset:         16
        .size:           8
        .value_kind:     by_value
      - .offset:         24
        .size:           8
        .value_kind:     by_value
      - .offset:         32
        .size:           4
        .value_kind:     by_value
      - .offset:         36
        .size:           4
        .value_kind:     by_value
      - .offset:         40
        .size:           4
        .value_kind:     by_value
      - .offset:         44
        .size:           4
        .value_kind:     by_value
      - .offset:         48
        .size:           4
        .value_kind:     by_value
      - .offset:         52
        .size:           4
        .value_kind:     by_value
      - .offset:         56
        .size:           4
        .value_kind:     by_value
      - .offset:         64
        .size:           4
        .value_kind:     hidden_block_count_x
      - .offset:         68
        .size:           4
        .value_kind:     hidden_block_count_y
      - .offset:         72
        .size:           4
        .value_kind:     hidden_block_count_z
      - .offset:         76
        .size:           2
        .value_kind:     hidden_group_size_x
      - .offset:         78
        .size:           2
        .value_kind:     hidden_group_size_y
      - .offset:         80
        .size:           2
        .value_kind:     hidden_group_size_z
      - .offset:         82
        .size:           2
        .value_kind:     hidden_remainder_x
      - .offset:         84
        .size:           2
        .value_kind:     hidden_remainder_y
      - .offset:         86
        .size:           2
        .value_kind:     hidden_remainder_z
      - .offset:         104
        .size:           8
        .value_kind:     hidden_global_offset_x
      - .offset:         112
        .size:           8
        .value_kind:     hidden_global_offset_y
      - .offset:         120
        .size:           8
        .value_kind:     hidden_global_offset_z
      - .offset:         128
        .size:           2
        .value_kind:     hidden_grid_dims
    .group_segment_fixed_size: 0
    .kernarg_segment_align: 8
    .kernarg_segment_size: 320
    .language:       OpenCL C
    .language_version:
      - 2
      - 0
    .max_flat_workgroup_size: 1024
    .name:           _ZN2at6native12_GLOBAL__N_140reflection_pad2d_backward_det_out_kernelIdEEvPT_PKS3_lliiiiiii
    .private_segment_fixed_size: 0
    .sgpr_count:     78
    .sgpr_spill_count: 0
    .symbol:         _ZN2at6native12_GLOBAL__N_140reflection_pad2d_backward_det_out_kernelIdEEvPT_PKS3_lliiiiiii.kd
    .uniform_work_group_size: 1
    .uses_dynamic_stack: false
    .vgpr_count:     34
    .vgpr_spill_count: 0
    .wavefront_size: 32
  - .args:
      - .address_space:  global
        .offset:         0
        .size:           8
        .value_kind:     global_buffer
      - .address_space:  global
        .offset:         8
        .size:           8
        .value_kind:     global_buffer
      - .offset:         16
        .size:           8
        .value_kind:     by_value
      - .offset:         24
        .size:           8
        .value_kind:     by_value
      - .offset:         32
        .size:           4
        .value_kind:     by_value
      - .offset:         36
        .size:           4
        .value_kind:     by_value
      - .offset:         40
        .size:           4
        .value_kind:     by_value
      - .offset:         44
        .size:           4
        .value_kind:     by_value
      - .offset:         48
        .size:           4
        .value_kind:     by_value
      - .offset:         52
        .size:           4
        .value_kind:     by_value
      - .offset:         56
        .size:           4
        .value_kind:     by_value
      - .offset:         64
        .size:           4
        .value_kind:     hidden_block_count_x
      - .offset:         68
        .size:           4
        .value_kind:     hidden_block_count_y
      - .offset:         72
        .size:           4
        .value_kind:     hidden_block_count_z
      - .offset:         76
        .size:           2
        .value_kind:     hidden_group_size_x
      - .offset:         78
        .size:           2
        .value_kind:     hidden_group_size_y
      - .offset:         80
        .size:           2
        .value_kind:     hidden_group_size_z
      - .offset:         82
        .size:           2
        .value_kind:     hidden_remainder_x
      - .offset:         84
        .size:           2
        .value_kind:     hidden_remainder_y
      - .offset:         86
        .size:           2
        .value_kind:     hidden_remainder_z
      - .offset:         104
        .size:           8
        .value_kind:     hidden_global_offset_x
      - .offset:         112
        .size:           8
        .value_kind:     hidden_global_offset_y
      - .offset:         120
        .size:           8
        .value_kind:     hidden_global_offset_z
      - .offset:         128
        .size:           2
        .value_kind:     hidden_grid_dims
    .group_segment_fixed_size: 0
    .kernarg_segment_align: 8
    .kernarg_segment_size: 320
    .language:       OpenCL C
    .language_version:
      - 2
      - 0
    .max_flat_workgroup_size: 1024
    .name:           _ZN2at6native12_GLOBAL__N_136reflection_pad2d_backward_out_kernelIdEEvPT_PKS3_lliiiiiii
    .private_segment_fixed_size: 0
    .sgpr_count:     43
    .sgpr_spill_count: 0
    .symbol:         _ZN2at6native12_GLOBAL__N_136reflection_pad2d_backward_out_kernelIdEEvPT_PKS3_lliiiiiii.kd
    .uniform_work_group_size: 1
    .uses_dynamic_stack: false
    .vgpr_count:     20
    .vgpr_spill_count: 0
    .wavefront_size: 32
  - .args:
      - .address_space:  global
        .offset:         0
        .size:           8
        .value_kind:     global_buffer
      - .address_space:  global
        .offset:         8
        .size:           8
        .value_kind:     global_buffer
      - .offset:         16
        .size:           8
        .value_kind:     by_value
      - .offset:         24
        .size:           8
        .value_kind:     by_value
      - .offset:         32
        .size:           4
        .value_kind:     by_value
      - .offset:         36
        .size:           4
        .value_kind:     by_value
      - .offset:         40
        .size:           4
        .value_kind:     by_value
      - .offset:         44
        .size:           4
        .value_kind:     by_value
      - .offset:         48
        .size:           4
        .value_kind:     by_value
      - .offset:         52
        .size:           4
        .value_kind:     by_value
      - .offset:         56
        .size:           4
        .value_kind:     by_value
      - .offset:         64
        .size:           4
        .value_kind:     hidden_block_count_x
      - .offset:         68
        .size:           4
        .value_kind:     hidden_block_count_y
      - .offset:         72
        .size:           4
        .value_kind:     hidden_block_count_z
      - .offset:         76
        .size:           2
        .value_kind:     hidden_group_size_x
      - .offset:         78
        .size:           2
        .value_kind:     hidden_group_size_y
      - .offset:         80
        .size:           2
        .value_kind:     hidden_group_size_z
      - .offset:         82
        .size:           2
        .value_kind:     hidden_remainder_x
      - .offset:         84
        .size:           2
        .value_kind:     hidden_remainder_y
      - .offset:         86
        .size:           2
        .value_kind:     hidden_remainder_z
      - .offset:         104
        .size:           8
        .value_kind:     hidden_global_offset_x
      - .offset:         112
        .size:           8
        .value_kind:     hidden_global_offset_y
      - .offset:         120
        .size:           8
        .value_kind:     hidden_global_offset_z
      - .offset:         128
        .size:           2
        .value_kind:     hidden_grid_dims
    .group_segment_fixed_size: 0
    .kernarg_segment_align: 8
    .kernarg_segment_size: 320
    .language:       OpenCL C
    .language_version:
      - 2
      - 0
    .max_flat_workgroup_size: 1024
    .name:           _ZN2at6native12_GLOBAL__N_140reflection_pad2d_backward_det_out_kernelIfEEvPT_PKS3_lliiiiiii
    .private_segment_fixed_size: 0
    .sgpr_count:     78
    .sgpr_spill_count: 0
    .symbol:         _ZN2at6native12_GLOBAL__N_140reflection_pad2d_backward_det_out_kernelIfEEvPT_PKS3_lliiiiiii.kd
    .uniform_work_group_size: 1
    .uses_dynamic_stack: false
    .vgpr_count:     34
    .vgpr_spill_count: 0
    .wavefront_size: 32
  - .args:
      - .address_space:  global
        .offset:         0
        .size:           8
        .value_kind:     global_buffer
      - .address_space:  global
        .offset:         8
        .size:           8
        .value_kind:     global_buffer
      - .offset:         16
        .size:           8
        .value_kind:     by_value
      - .offset:         24
        .size:           8
        .value_kind:     by_value
      - .offset:         32
        .size:           4
        .value_kind:     by_value
      - .offset:         36
        .size:           4
        .value_kind:     by_value
      - .offset:         40
        .size:           4
        .value_kind:     by_value
      - .offset:         44
        .size:           4
        .value_kind:     by_value
      - .offset:         48
        .size:           4
        .value_kind:     by_value
      - .offset:         52
        .size:           4
        .value_kind:     by_value
      - .offset:         56
        .size:           4
        .value_kind:     by_value
      - .offset:         64
        .size:           4
        .value_kind:     hidden_block_count_x
      - .offset:         68
        .size:           4
        .value_kind:     hidden_block_count_y
      - .offset:         72
        .size:           4
        .value_kind:     hidden_block_count_z
      - .offset:         76
        .size:           2
        .value_kind:     hidden_group_size_x
      - .offset:         78
        .size:           2
        .value_kind:     hidden_group_size_y
      - .offset:         80
        .size:           2
        .value_kind:     hidden_group_size_z
      - .offset:         82
        .size:           2
        .value_kind:     hidden_remainder_x
      - .offset:         84
        .size:           2
        .value_kind:     hidden_remainder_y
      - .offset:         86
        .size:           2
        .value_kind:     hidden_remainder_z
      - .offset:         104
        .size:           8
        .value_kind:     hidden_global_offset_x
      - .offset:         112
        .size:           8
        .value_kind:     hidden_global_offset_y
      - .offset:         120
        .size:           8
        .value_kind:     hidden_global_offset_z
      - .offset:         128
        .size:           2
        .value_kind:     hidden_grid_dims
    .group_segment_fixed_size: 0
    .kernarg_segment_align: 8
    .kernarg_segment_size: 320
    .language:       OpenCL C
    .language_version:
      - 2
      - 0
    .max_flat_workgroup_size: 1024
    .name:           _ZN2at6native12_GLOBAL__N_136reflection_pad2d_backward_out_kernelIfEEvPT_PKS3_lliiiiiii
    .private_segment_fixed_size: 0
    .sgpr_count:     43
    .sgpr_spill_count: 0
    .symbol:         _ZN2at6native12_GLOBAL__N_136reflection_pad2d_backward_out_kernelIfEEvPT_PKS3_lliiiiiii.kd
    .uniform_work_group_size: 1
    .uses_dynamic_stack: false
    .vgpr_count:     19
    .vgpr_spill_count: 0
    .wavefront_size: 32
  - .args:
      - .address_space:  global
        .offset:         0
        .size:           8
        .value_kind:     global_buffer
      - .address_space:  global
        .offset:         8
        .size:           8
        .value_kind:     global_buffer
      - .offset:         16
        .size:           8
        .value_kind:     by_value
      - .offset:         24
        .size:           8
        .value_kind:     by_value
      - .offset:         32
        .size:           4
        .value_kind:     by_value
      - .offset:         36
        .size:           4
        .value_kind:     by_value
      - .offset:         40
        .size:           4
        .value_kind:     by_value
      - .offset:         44
        .size:           4
        .value_kind:     by_value
      - .offset:         48
        .size:           4
        .value_kind:     by_value
      - .offset:         52
        .size:           4
        .value_kind:     by_value
      - .offset:         56
        .size:           4
        .value_kind:     by_value
      - .offset:         64
        .size:           4
        .value_kind:     hidden_block_count_x
      - .offset:         68
        .size:           4
        .value_kind:     hidden_block_count_y
      - .offset:         72
        .size:           4
        .value_kind:     hidden_block_count_z
      - .offset:         76
        .size:           2
        .value_kind:     hidden_group_size_x
      - .offset:         78
        .size:           2
        .value_kind:     hidden_group_size_y
      - .offset:         80
        .size:           2
        .value_kind:     hidden_group_size_z
      - .offset:         82
        .size:           2
        .value_kind:     hidden_remainder_x
      - .offset:         84
        .size:           2
        .value_kind:     hidden_remainder_y
      - .offset:         86
        .size:           2
        .value_kind:     hidden_remainder_z
      - .offset:         104
        .size:           8
        .value_kind:     hidden_global_offset_x
      - .offset:         112
        .size:           8
        .value_kind:     hidden_global_offset_y
      - .offset:         120
        .size:           8
        .value_kind:     hidden_global_offset_z
      - .offset:         128
        .size:           2
        .value_kind:     hidden_grid_dims
    .group_segment_fixed_size: 0
    .kernarg_segment_align: 8
    .kernarg_segment_size: 320
    .language:       OpenCL C
    .language_version:
      - 2
      - 0
    .max_flat_workgroup_size: 1024
    .name:           _ZN2at6native12_GLOBAL__N_140reflection_pad2d_backward_det_out_kernelIN3c107complexIdEEEEvPT_PKS6_lliiiiiii
    .private_segment_fixed_size: 0
    .sgpr_count:     78
    .sgpr_spill_count: 0
    .symbol:         _ZN2at6native12_GLOBAL__N_140reflection_pad2d_backward_det_out_kernelIN3c107complexIdEEEEvPT_PKS6_lliiiiiii.kd
    .uniform_work_group_size: 1
    .uses_dynamic_stack: false
    .vgpr_count:     38
    .vgpr_spill_count: 0
    .wavefront_size: 32
  - .args:
      - .address_space:  global
        .offset:         0
        .size:           8
        .value_kind:     global_buffer
      - .address_space:  global
        .offset:         8
        .size:           8
        .value_kind:     global_buffer
      - .offset:         16
        .size:           8
        .value_kind:     by_value
      - .offset:         24
        .size:           8
        .value_kind:     by_value
      - .offset:         32
        .size:           4
        .value_kind:     by_value
      - .offset:         36
        .size:           4
        .value_kind:     by_value
      - .offset:         40
        .size:           4
        .value_kind:     by_value
      - .offset:         44
        .size:           4
        .value_kind:     by_value
      - .offset:         48
        .size:           4
        .value_kind:     by_value
      - .offset:         52
        .size:           4
        .value_kind:     by_value
      - .offset:         56
        .size:           4
        .value_kind:     by_value
      - .offset:         64
        .size:           4
        .value_kind:     hidden_block_count_x
      - .offset:         68
        .size:           4
        .value_kind:     hidden_block_count_y
      - .offset:         72
        .size:           4
        .value_kind:     hidden_block_count_z
      - .offset:         76
        .size:           2
        .value_kind:     hidden_group_size_x
      - .offset:         78
        .size:           2
        .value_kind:     hidden_group_size_y
      - .offset:         80
        .size:           2
        .value_kind:     hidden_group_size_z
      - .offset:         82
        .size:           2
        .value_kind:     hidden_remainder_x
      - .offset:         84
        .size:           2
        .value_kind:     hidden_remainder_y
      - .offset:         86
        .size:           2
        .value_kind:     hidden_remainder_z
      - .offset:         104
        .size:           8
        .value_kind:     hidden_global_offset_x
      - .offset:         112
        .size:           8
        .value_kind:     hidden_global_offset_y
      - .offset:         120
        .size:           8
        .value_kind:     hidden_global_offset_z
      - .offset:         128
        .size:           2
        .value_kind:     hidden_grid_dims
    .group_segment_fixed_size: 0
    .kernarg_segment_align: 8
    .kernarg_segment_size: 320
    .language:       OpenCL C
    .language_version:
      - 2
      - 0
    .max_flat_workgroup_size: 1024
    .name:           _ZN2at6native12_GLOBAL__N_136reflection_pad2d_backward_out_kernelIN3c107complexIdEEEEvPT_PKS6_lliiiiiii
    .private_segment_fixed_size: 0
    .sgpr_count:     43
    .sgpr_spill_count: 0
    .symbol:         _ZN2at6native12_GLOBAL__N_136reflection_pad2d_backward_out_kernelIN3c107complexIdEEEEvPT_PKS6_lliiiiiii.kd
    .uniform_work_group_size: 1
    .uses_dynamic_stack: false
    .vgpr_count:     22
    .vgpr_spill_count: 0
    .wavefront_size: 32
  - .args:
      - .address_space:  global
        .offset:         0
        .size:           8
        .value_kind:     global_buffer
      - .address_space:  global
        .offset:         8
        .size:           8
        .value_kind:     global_buffer
      - .offset:         16
        .size:           8
        .value_kind:     by_value
      - .offset:         24
        .size:           8
        .value_kind:     by_value
      - .offset:         32
        .size:           4
        .value_kind:     by_value
      - .offset:         36
        .size:           4
        .value_kind:     by_value
      - .offset:         40
        .size:           4
        .value_kind:     by_value
      - .offset:         44
        .size:           4
        .value_kind:     by_value
      - .offset:         48
        .size:           4
        .value_kind:     by_value
      - .offset:         52
        .size:           4
        .value_kind:     by_value
      - .offset:         56
        .size:           4
        .value_kind:     by_value
      - .offset:         64
        .size:           4
        .value_kind:     hidden_block_count_x
      - .offset:         68
        .size:           4
        .value_kind:     hidden_block_count_y
      - .offset:         72
        .size:           4
        .value_kind:     hidden_block_count_z
      - .offset:         76
        .size:           2
        .value_kind:     hidden_group_size_x
      - .offset:         78
        .size:           2
        .value_kind:     hidden_group_size_y
      - .offset:         80
        .size:           2
        .value_kind:     hidden_group_size_z
      - .offset:         82
        .size:           2
        .value_kind:     hidden_remainder_x
      - .offset:         84
        .size:           2
        .value_kind:     hidden_remainder_y
      - .offset:         86
        .size:           2
        .value_kind:     hidden_remainder_z
      - .offset:         104
        .size:           8
        .value_kind:     hidden_global_offset_x
      - .offset:         112
        .size:           8
        .value_kind:     hidden_global_offset_y
      - .offset:         120
        .size:           8
        .value_kind:     hidden_global_offset_z
      - .offset:         128
        .size:           2
        .value_kind:     hidden_grid_dims
    .group_segment_fixed_size: 0
    .kernarg_segment_align: 8
    .kernarg_segment_size: 320
    .language:       OpenCL C
    .language_version:
      - 2
      - 0
    .max_flat_workgroup_size: 1024
    .name:           _ZN2at6native12_GLOBAL__N_140reflection_pad2d_backward_det_out_kernelIN3c107complexIfEEEEvPT_PKS6_lliiiiiii
    .private_segment_fixed_size: 0
    .sgpr_count:     78
    .sgpr_spill_count: 0
    .symbol:         _ZN2at6native12_GLOBAL__N_140reflection_pad2d_backward_det_out_kernelIN3c107complexIfEEEEvPT_PKS6_lliiiiiii.kd
    .uniform_work_group_size: 1
    .uses_dynamic_stack: false
    .vgpr_count:     34
    .vgpr_spill_count: 0
    .wavefront_size: 32
  - .args:
      - .address_space:  global
        .offset:         0
        .size:           8
        .value_kind:     global_buffer
      - .address_space:  global
        .offset:         8
        .size:           8
        .value_kind:     global_buffer
      - .offset:         16
        .size:           8
        .value_kind:     by_value
      - .offset:         24
        .size:           8
        .value_kind:     by_value
      - .offset:         32
        .size:           4
        .value_kind:     by_value
      - .offset:         36
        .size:           4
        .value_kind:     by_value
      - .offset:         40
        .size:           4
        .value_kind:     by_value
      - .offset:         44
        .size:           4
        .value_kind:     by_value
      - .offset:         48
        .size:           4
        .value_kind:     by_value
      - .offset:         52
        .size:           4
        .value_kind:     by_value
      - .offset:         56
        .size:           4
        .value_kind:     by_value
      - .offset:         64
        .size:           4
        .value_kind:     hidden_block_count_x
      - .offset:         68
        .size:           4
        .value_kind:     hidden_block_count_y
      - .offset:         72
        .size:           4
        .value_kind:     hidden_block_count_z
      - .offset:         76
        .size:           2
        .value_kind:     hidden_group_size_x
      - .offset:         78
        .size:           2
        .value_kind:     hidden_group_size_y
      - .offset:         80
        .size:           2
        .value_kind:     hidden_group_size_z
      - .offset:         82
        .size:           2
        .value_kind:     hidden_remainder_x
      - .offset:         84
        .size:           2
        .value_kind:     hidden_remainder_y
      - .offset:         86
        .size:           2
        .value_kind:     hidden_remainder_z
      - .offset:         104
        .size:           8
        .value_kind:     hidden_global_offset_x
      - .offset:         112
        .size:           8
        .value_kind:     hidden_global_offset_y
      - .offset:         120
        .size:           8
        .value_kind:     hidden_global_offset_z
      - .offset:         128
        .size:           2
        .value_kind:     hidden_grid_dims
    .group_segment_fixed_size: 0
    .kernarg_segment_align: 8
    .kernarg_segment_size: 320
    .language:       OpenCL C
    .language_version:
      - 2
      - 0
    .max_flat_workgroup_size: 1024
    .name:           _ZN2at6native12_GLOBAL__N_136reflection_pad2d_backward_out_kernelIN3c107complexIfEEEEvPT_PKS6_lliiiiiii
    .private_segment_fixed_size: 0
    .sgpr_count:     43
    .sgpr_spill_count: 0
    .symbol:         _ZN2at6native12_GLOBAL__N_136reflection_pad2d_backward_out_kernelIN3c107complexIfEEEEvPT_PKS6_lliiiiiii.kd
    .uniform_work_group_size: 1
    .uses_dynamic_stack: false
    .vgpr_count:     20
    .vgpr_spill_count: 0
    .wavefront_size: 32
  - .args:
      - .address_space:  global
        .offset:         0
        .size:           8
        .value_kind:     global_buffer
      - .address_space:  global
        .offset:         8
        .size:           8
        .value_kind:     global_buffer
      - .offset:         16
        .size:           8
        .value_kind:     by_value
      - .offset:         24
        .size:           8
        .value_kind:     by_value
      - .offset:         32
        .size:           4
        .value_kind:     by_value
      - .offset:         36
        .size:           4
        .value_kind:     by_value
      - .offset:         40
        .size:           4
        .value_kind:     by_value
      - .offset:         44
        .size:           4
        .value_kind:     by_value
      - .offset:         48
        .size:           4
        .value_kind:     by_value
      - .offset:         52
        .size:           4
        .value_kind:     by_value
      - .offset:         56
        .size:           4
        .value_kind:     by_value
      - .offset:         64
        .size:           4
        .value_kind:     hidden_block_count_x
      - .offset:         68
        .size:           4
        .value_kind:     hidden_block_count_y
      - .offset:         72
        .size:           4
        .value_kind:     hidden_block_count_z
      - .offset:         76
        .size:           2
        .value_kind:     hidden_group_size_x
      - .offset:         78
        .size:           2
        .value_kind:     hidden_group_size_y
      - .offset:         80
        .size:           2
        .value_kind:     hidden_group_size_z
      - .offset:         82
        .size:           2
        .value_kind:     hidden_remainder_x
      - .offset:         84
        .size:           2
        .value_kind:     hidden_remainder_y
      - .offset:         86
        .size:           2
        .value_kind:     hidden_remainder_z
      - .offset:         104
        .size:           8
        .value_kind:     hidden_global_offset_x
      - .offset:         112
        .size:           8
        .value_kind:     hidden_global_offset_y
      - .offset:         120
        .size:           8
        .value_kind:     hidden_global_offset_z
      - .offset:         128
        .size:           2
        .value_kind:     hidden_grid_dims
    .group_segment_fixed_size: 0
    .kernarg_segment_align: 8
    .kernarg_segment_size: 320
    .language:       OpenCL C
    .language_version:
      - 2
      - 0
    .max_flat_workgroup_size: 1024
    .name:           _ZN2at6native12_GLOBAL__N_140reflection_pad2d_backward_det_out_kernelIN3c104HalfEEEvPT_PKS5_lliiiiiii
    .private_segment_fixed_size: 0
    .sgpr_count:     78
    .sgpr_spill_count: 0
    .symbol:         _ZN2at6native12_GLOBAL__N_140reflection_pad2d_backward_det_out_kernelIN3c104HalfEEEvPT_PKS5_lliiiiiii.kd
    .uniform_work_group_size: 1
    .uses_dynamic_stack: false
    .vgpr_count:     34
    .vgpr_spill_count: 0
    .wavefront_size: 32
  - .args:
      - .address_space:  global
        .offset:         0
        .size:           8
        .value_kind:     global_buffer
      - .address_space:  global
        .offset:         8
        .size:           8
        .value_kind:     global_buffer
      - .offset:         16
        .size:           8
        .value_kind:     by_value
      - .offset:         24
        .size:           8
        .value_kind:     by_value
      - .offset:         32
        .size:           4
        .value_kind:     by_value
      - .offset:         36
        .size:           4
        .value_kind:     by_value
      - .offset:         40
        .size:           4
        .value_kind:     by_value
      - .offset:         44
        .size:           4
        .value_kind:     by_value
      - .offset:         48
        .size:           4
        .value_kind:     by_value
      - .offset:         52
        .size:           4
        .value_kind:     by_value
      - .offset:         56
        .size:           4
        .value_kind:     by_value
      - .offset:         64
        .size:           4
        .value_kind:     hidden_block_count_x
      - .offset:         68
        .size:           4
        .value_kind:     hidden_block_count_y
      - .offset:         72
        .size:           4
        .value_kind:     hidden_block_count_z
      - .offset:         76
        .size:           2
        .value_kind:     hidden_group_size_x
      - .offset:         78
        .size:           2
        .value_kind:     hidden_group_size_y
      - .offset:         80
        .size:           2
        .value_kind:     hidden_group_size_z
      - .offset:         82
        .size:           2
        .value_kind:     hidden_remainder_x
      - .offset:         84
        .size:           2
        .value_kind:     hidden_remainder_y
      - .offset:         86
        .size:           2
        .value_kind:     hidden_remainder_z
      - .offset:         104
        .size:           8
        .value_kind:     hidden_global_offset_x
      - .offset:         112
        .size:           8
        .value_kind:     hidden_global_offset_y
      - .offset:         120
        .size:           8
        .value_kind:     hidden_global_offset_z
      - .offset:         128
        .size:           2
        .value_kind:     hidden_grid_dims
    .group_segment_fixed_size: 0
    .kernarg_segment_align: 8
    .kernarg_segment_size: 320
    .language:       OpenCL C
    .language_version:
      - 2
      - 0
    .max_flat_workgroup_size: 1024
    .name:           _ZN2at6native12_GLOBAL__N_136reflection_pad2d_backward_out_kernelIN3c104HalfEEEvPT_PKS5_lliiiiiii
    .private_segment_fixed_size: 0
    .sgpr_count:     43
    .sgpr_spill_count: 0
    .symbol:         _ZN2at6native12_GLOBAL__N_136reflection_pad2d_backward_out_kernelIN3c104HalfEEEvPT_PKS5_lliiiiiii.kd
    .uniform_work_group_size: 1
    .uses_dynamic_stack: false
    .vgpr_count:     18
    .vgpr_spill_count: 0
    .wavefront_size: 32
  - .args:
      - .address_space:  global
        .offset:         0
        .size:           8
        .value_kind:     global_buffer
      - .address_space:  global
        .offset:         8
        .size:           8
        .value_kind:     global_buffer
      - .offset:         16
        .size:           8
        .value_kind:     by_value
      - .offset:         24
        .size:           8
        .value_kind:     by_value
      - .offset:         32
        .size:           4
        .value_kind:     by_value
      - .offset:         36
        .size:           4
        .value_kind:     by_value
      - .offset:         40
        .size:           4
        .value_kind:     by_value
      - .offset:         44
        .size:           4
        .value_kind:     by_value
      - .offset:         48
        .size:           4
        .value_kind:     by_value
      - .offset:         52
        .size:           4
        .value_kind:     by_value
      - .offset:         56
        .size:           4
        .value_kind:     by_value
      - .offset:         64
        .size:           4
        .value_kind:     hidden_block_count_x
      - .offset:         68
        .size:           4
        .value_kind:     hidden_block_count_y
      - .offset:         72
        .size:           4
        .value_kind:     hidden_block_count_z
      - .offset:         76
        .size:           2
        .value_kind:     hidden_group_size_x
      - .offset:         78
        .size:           2
        .value_kind:     hidden_group_size_y
      - .offset:         80
        .size:           2
        .value_kind:     hidden_group_size_z
      - .offset:         82
        .size:           2
        .value_kind:     hidden_remainder_x
      - .offset:         84
        .size:           2
        .value_kind:     hidden_remainder_y
      - .offset:         86
        .size:           2
        .value_kind:     hidden_remainder_z
      - .offset:         104
        .size:           8
        .value_kind:     hidden_global_offset_x
      - .offset:         112
        .size:           8
        .value_kind:     hidden_global_offset_y
      - .offset:         120
        .size:           8
        .value_kind:     hidden_global_offset_z
      - .offset:         128
        .size:           2
        .value_kind:     hidden_grid_dims
    .group_segment_fixed_size: 0
    .kernarg_segment_align: 8
    .kernarg_segment_size: 320
    .language:       OpenCL C
    .language_version:
      - 2
      - 0
    .max_flat_workgroup_size: 1024
    .name:           _ZN2at6native12_GLOBAL__N_140reflection_pad2d_backward_det_out_kernelIN3c108BFloat16EEEvPT_PKS5_lliiiiiii
    .private_segment_fixed_size: 0
    .sgpr_count:     78
    .sgpr_spill_count: 0
    .symbol:         _ZN2at6native12_GLOBAL__N_140reflection_pad2d_backward_det_out_kernelIN3c108BFloat16EEEvPT_PKS5_lliiiiiii.kd
    .uniform_work_group_size: 1
    .uses_dynamic_stack: false
    .vgpr_count:     34
    .vgpr_spill_count: 0
    .wavefront_size: 32
  - .args:
      - .address_space:  global
        .offset:         0
        .size:           8
        .value_kind:     global_buffer
      - .address_space:  global
        .offset:         8
        .size:           8
        .value_kind:     global_buffer
      - .offset:         16
        .size:           8
        .value_kind:     by_value
      - .offset:         24
        .size:           8
        .value_kind:     by_value
      - .offset:         32
        .size:           4
        .value_kind:     by_value
      - .offset:         36
        .size:           4
        .value_kind:     by_value
      - .offset:         40
        .size:           4
        .value_kind:     by_value
      - .offset:         44
        .size:           4
        .value_kind:     by_value
      - .offset:         48
        .size:           4
        .value_kind:     by_value
      - .offset:         52
        .size:           4
        .value_kind:     by_value
      - .offset:         56
        .size:           4
        .value_kind:     by_value
      - .offset:         64
        .size:           4
        .value_kind:     hidden_block_count_x
      - .offset:         68
        .size:           4
        .value_kind:     hidden_block_count_y
      - .offset:         72
        .size:           4
        .value_kind:     hidden_block_count_z
      - .offset:         76
        .size:           2
        .value_kind:     hidden_group_size_x
      - .offset:         78
        .size:           2
        .value_kind:     hidden_group_size_y
      - .offset:         80
        .size:           2
        .value_kind:     hidden_group_size_z
      - .offset:         82
        .size:           2
        .value_kind:     hidden_remainder_x
      - .offset:         84
        .size:           2
        .value_kind:     hidden_remainder_y
      - .offset:         86
        .size:           2
        .value_kind:     hidden_remainder_z
      - .offset:         104
        .size:           8
        .value_kind:     hidden_global_offset_x
      - .offset:         112
        .size:           8
        .value_kind:     hidden_global_offset_y
      - .offset:         120
        .size:           8
        .value_kind:     hidden_global_offset_z
      - .offset:         128
        .size:           2
        .value_kind:     hidden_grid_dims
    .group_segment_fixed_size: 0
    .kernarg_segment_align: 8
    .kernarg_segment_size: 320
    .language:       OpenCL C
    .language_version:
      - 2
      - 0
    .max_flat_workgroup_size: 1024
    .name:           _ZN2at6native12_GLOBAL__N_136reflection_pad2d_backward_out_kernelIN3c108BFloat16EEEvPT_PKS5_lliiiiiii
    .private_segment_fixed_size: 0
    .sgpr_count:     43
    .sgpr_spill_count: 0
    .symbol:         _ZN2at6native12_GLOBAL__N_136reflection_pad2d_backward_out_kernelIN3c108BFloat16EEEvPT_PKS5_lliiiiiii.kd
    .uniform_work_group_size: 1
    .uses_dynamic_stack: false
    .vgpr_count:     18
    .vgpr_spill_count: 0
    .wavefront_size: 32
  - .args:
      - .address_space:  global
        .offset:         0
        .size:           8
        .value_kind:     global_buffer
      - .address_space:  global
        .offset:         8
        .size:           8
        .value_kind:     global_buffer
      - .offset:         16
        .size:           8
        .value_kind:     by_value
      - .offset:         24
        .size:           8
        .value_kind:     by_value
      - .offset:         32
        .size:           8
        .value_kind:     by_value
      - .offset:         40
        .size:           4
        .value_kind:     hidden_block_count_x
      - .offset:         44
        .size:           4
        .value_kind:     hidden_block_count_y
      - .offset:         48
        .size:           4
        .value_kind:     hidden_block_count_z
      - .offset:         52
        .size:           2
        .value_kind:     hidden_group_size_x
      - .offset:         54
        .size:           2
        .value_kind:     hidden_group_size_y
      - .offset:         56
        .size:           2
        .value_kind:     hidden_group_size_z
      - .offset:         58
        .size:           2
        .value_kind:     hidden_remainder_x
      - .offset:         60
        .size:           2
        .value_kind:     hidden_remainder_y
      - .offset:         62
        .size:           2
        .value_kind:     hidden_remainder_z
      - .offset:         80
        .size:           8
        .value_kind:     hidden_global_offset_x
      - .offset:         88
        .size:           8
        .value_kind:     hidden_global_offset_y
      - .offset:         96
        .size:           8
        .value_kind:     hidden_global_offset_z
      - .offset:         104
        .size:           2
        .value_kind:     hidden_grid_dims
    .group_segment_fixed_size: 0
    .kernarg_segment_align: 8
    .kernarg_segment_size: 296
    .language:       OpenCL C
    .language_version:
      - 2
      - 0
    .max_flat_workgroup_size: 1024
    .name:           _ZN2at6native12_GLOBAL__N_127reflection_pad1d_out_kernelIhEEvPKT_PS3_lll
    .private_segment_fixed_size: 0
    .sgpr_count:     18
    .sgpr_spill_count: 0
    .symbol:         _ZN2at6native12_GLOBAL__N_127reflection_pad1d_out_kernelIhEEvPKT_PS3_lll.kd
    .uniform_work_group_size: 1
    .uses_dynamic_stack: false
    .vgpr_count:     12
    .vgpr_spill_count: 0
    .wavefront_size: 32
  - .args:
      - .actual_access:  read_only
        .address_space:  global
        .offset:         0
        .size:           8
        .value_kind:     global_buffer
      - .actual_access:  write_only
        .address_space:  global
        .offset:         8
        .size:           8
        .value_kind:     global_buffer
      - .offset:         16
        .size:           8
        .value_kind:     by_value
      - .offset:         24
        .size:           8
        .value_kind:     by_value
      - .offset:         32
        .size:           8
        .value_kind:     by_value
      - .offset:         40
        .size:           8
        .value_kind:     by_value
      - .offset:         48
        .size:           8
        .value_kind:     by_value
      - .offset:         56
        .size:           4
        .value_kind:     hidden_block_count_x
      - .offset:         60
        .size:           4
        .value_kind:     hidden_block_count_y
      - .offset:         64
        .size:           4
        .value_kind:     hidden_block_count_z
      - .offset:         68
        .size:           2
        .value_kind:     hidden_group_size_x
      - .offset:         70
        .size:           2
        .value_kind:     hidden_group_size_y
      - .offset:         72
        .size:           2
        .value_kind:     hidden_group_size_z
      - .offset:         74
        .size:           2
        .value_kind:     hidden_remainder_x
      - .offset:         76
        .size:           2
        .value_kind:     hidden_remainder_y
      - .offset:         78
        .size:           2
        .value_kind:     hidden_remainder_z
      - .offset:         96
        .size:           8
        .value_kind:     hidden_global_offset_x
      - .offset:         104
        .size:           8
        .value_kind:     hidden_global_offset_y
      - .offset:         112
        .size:           8
        .value_kind:     hidden_global_offset_z
      - .offset:         120
        .size:           2
        .value_kind:     hidden_grid_dims
    .group_segment_fixed_size: 0
    .kernarg_segment_align: 8
    .kernarg_segment_size: 312
    .language:       OpenCL C
    .language_version:
      - 2
      - 0
    .max_flat_workgroup_size: 1024
    .name:           _ZN2at6native12_GLOBAL__N_121reflection_pad1d_flatIhEEvPKT_PS3_lllll
    .private_segment_fixed_size: 0
    .sgpr_count:     81
    .sgpr_spill_count: 0
    .symbol:         _ZN2at6native12_GLOBAL__N_121reflection_pad1d_flatIhEEvPKT_PS3_lllll.kd
    .uniform_work_group_size: 1
    .uses_dynamic_stack: false
    .vgpr_count:     52
    .vgpr_spill_count: 0
    .wavefront_size: 32
  - .args:
      - .address_space:  global
        .offset:         0
        .size:           8
        .value_kind:     global_buffer
      - .address_space:  global
        .offset:         8
        .size:           8
        .value_kind:     global_buffer
      - .offset:         16
        .size:           8
        .value_kind:     by_value
      - .offset:         24
        .size:           8
        .value_kind:     by_value
      - .offset:         32
        .size:           8
        .value_kind:     by_value
      - .offset:         40
        .size:           4
        .value_kind:     hidden_block_count_x
      - .offset:         44
        .size:           4
        .value_kind:     hidden_block_count_y
      - .offset:         48
        .size:           4
        .value_kind:     hidden_block_count_z
      - .offset:         52
        .size:           2
        .value_kind:     hidden_group_size_x
      - .offset:         54
        .size:           2
        .value_kind:     hidden_group_size_y
      - .offset:         56
        .size:           2
        .value_kind:     hidden_group_size_z
      - .offset:         58
        .size:           2
        .value_kind:     hidden_remainder_x
      - .offset:         60
        .size:           2
        .value_kind:     hidden_remainder_y
      - .offset:         62
        .size:           2
        .value_kind:     hidden_remainder_z
      - .offset:         80
        .size:           8
        .value_kind:     hidden_global_offset_x
      - .offset:         88
        .size:           8
        .value_kind:     hidden_global_offset_y
      - .offset:         96
        .size:           8
        .value_kind:     hidden_global_offset_z
      - .offset:         104
        .size:           2
        .value_kind:     hidden_grid_dims
    .group_segment_fixed_size: 0
    .kernarg_segment_align: 8
    .kernarg_segment_size: 296
    .language:       OpenCL C
    .language_version:
      - 2
      - 0
    .max_flat_workgroup_size: 1024
    .name:           _ZN2at6native12_GLOBAL__N_127reflection_pad1d_out_kernelIaEEvPKT_PS3_lll
    .private_segment_fixed_size: 0
    .sgpr_count:     18
    .sgpr_spill_count: 0
    .symbol:         _ZN2at6native12_GLOBAL__N_127reflection_pad1d_out_kernelIaEEvPKT_PS3_lll.kd
    .uniform_work_group_size: 1
    .uses_dynamic_stack: false
    .vgpr_count:     12
    .vgpr_spill_count: 0
    .wavefront_size: 32
  - .args:
      - .actual_access:  read_only
        .address_space:  global
        .offset:         0
        .size:           8
        .value_kind:     global_buffer
      - .actual_access:  write_only
        .address_space:  global
        .offset:         8
        .size:           8
        .value_kind:     global_buffer
      - .offset:         16
        .size:           8
        .value_kind:     by_value
      - .offset:         24
        .size:           8
        .value_kind:     by_value
      - .offset:         32
        .size:           8
        .value_kind:     by_value
      - .offset:         40
        .size:           8
        .value_kind:     by_value
      - .offset:         48
        .size:           8
        .value_kind:     by_value
      - .offset:         56
        .size:           4
        .value_kind:     hidden_block_count_x
      - .offset:         60
        .size:           4
        .value_kind:     hidden_block_count_y
      - .offset:         64
        .size:           4
        .value_kind:     hidden_block_count_z
      - .offset:         68
        .size:           2
        .value_kind:     hidden_group_size_x
      - .offset:         70
        .size:           2
        .value_kind:     hidden_group_size_y
      - .offset:         72
        .size:           2
        .value_kind:     hidden_group_size_z
      - .offset:         74
        .size:           2
        .value_kind:     hidden_remainder_x
      - .offset:         76
        .size:           2
        .value_kind:     hidden_remainder_y
      - .offset:         78
        .size:           2
        .value_kind:     hidden_remainder_z
      - .offset:         96
        .size:           8
        .value_kind:     hidden_global_offset_x
      - .offset:         104
        .size:           8
        .value_kind:     hidden_global_offset_y
      - .offset:         112
        .size:           8
        .value_kind:     hidden_global_offset_z
      - .offset:         120
        .size:           2
        .value_kind:     hidden_grid_dims
    .group_segment_fixed_size: 0
    .kernarg_segment_align: 8
    .kernarg_segment_size: 312
    .language:       OpenCL C
    .language_version:
      - 2
      - 0
    .max_flat_workgroup_size: 1024
    .name:           _ZN2at6native12_GLOBAL__N_121reflection_pad1d_flatIaEEvPKT_PS3_lllll
    .private_segment_fixed_size: 0
    .sgpr_count:     81
    .sgpr_spill_count: 0
    .symbol:         _ZN2at6native12_GLOBAL__N_121reflection_pad1d_flatIaEEvPKT_PS3_lllll.kd
    .uniform_work_group_size: 1
    .uses_dynamic_stack: false
    .vgpr_count:     52
    .vgpr_spill_count: 0
    .wavefront_size: 32
  - .args:
      - .address_space:  global
        .offset:         0
        .size:           8
        .value_kind:     global_buffer
      - .address_space:  global
        .offset:         8
        .size:           8
        .value_kind:     global_buffer
      - .offset:         16
        .size:           8
        .value_kind:     by_value
      - .offset:         24
        .size:           8
        .value_kind:     by_value
      - .offset:         32
        .size:           8
        .value_kind:     by_value
      - .offset:         40
        .size:           4
        .value_kind:     hidden_block_count_x
      - .offset:         44
        .size:           4
        .value_kind:     hidden_block_count_y
      - .offset:         48
        .size:           4
        .value_kind:     hidden_block_count_z
      - .offset:         52
        .size:           2
        .value_kind:     hidden_group_size_x
      - .offset:         54
        .size:           2
        .value_kind:     hidden_group_size_y
      - .offset:         56
        .size:           2
        .value_kind:     hidden_group_size_z
      - .offset:         58
        .size:           2
        .value_kind:     hidden_remainder_x
      - .offset:         60
        .size:           2
        .value_kind:     hidden_remainder_y
      - .offset:         62
        .size:           2
        .value_kind:     hidden_remainder_z
      - .offset:         80
        .size:           8
        .value_kind:     hidden_global_offset_x
      - .offset:         88
        .size:           8
        .value_kind:     hidden_global_offset_y
      - .offset:         96
        .size:           8
        .value_kind:     hidden_global_offset_z
      - .offset:         104
        .size:           2
        .value_kind:     hidden_grid_dims
    .group_segment_fixed_size: 0
    .kernarg_segment_align: 8
    .kernarg_segment_size: 296
    .language:       OpenCL C
    .language_version:
      - 2
      - 0
    .max_flat_workgroup_size: 1024
    .name:           _ZN2at6native12_GLOBAL__N_127reflection_pad1d_out_kernelIiEEvPKT_PS3_lll
    .private_segment_fixed_size: 0
    .sgpr_count:     18
    .sgpr_spill_count: 0
    .symbol:         _ZN2at6native12_GLOBAL__N_127reflection_pad1d_out_kernelIiEEvPKT_PS3_lll.kd
    .uniform_work_group_size: 1
    .uses_dynamic_stack: false
    .vgpr_count:     12
    .vgpr_spill_count: 0
    .wavefront_size: 32
  - .args:
      - .actual_access:  read_only
        .address_space:  global
        .offset:         0
        .size:           8
        .value_kind:     global_buffer
      - .actual_access:  write_only
        .address_space:  global
        .offset:         8
        .size:           8
        .value_kind:     global_buffer
      - .offset:         16
        .size:           8
        .value_kind:     by_value
      - .offset:         24
        .size:           8
        .value_kind:     by_value
      - .offset:         32
        .size:           8
        .value_kind:     by_value
      - .offset:         40
        .size:           8
        .value_kind:     by_value
      - .offset:         48
        .size:           8
        .value_kind:     by_value
      - .offset:         56
        .size:           4
        .value_kind:     hidden_block_count_x
      - .offset:         60
        .size:           4
        .value_kind:     hidden_block_count_y
      - .offset:         64
        .size:           4
        .value_kind:     hidden_block_count_z
      - .offset:         68
        .size:           2
        .value_kind:     hidden_group_size_x
      - .offset:         70
        .size:           2
        .value_kind:     hidden_group_size_y
      - .offset:         72
        .size:           2
        .value_kind:     hidden_group_size_z
      - .offset:         74
        .size:           2
        .value_kind:     hidden_remainder_x
      - .offset:         76
        .size:           2
        .value_kind:     hidden_remainder_y
      - .offset:         78
        .size:           2
        .value_kind:     hidden_remainder_z
      - .offset:         96
        .size:           8
        .value_kind:     hidden_global_offset_x
      - .offset:         104
        .size:           8
        .value_kind:     hidden_global_offset_y
      - .offset:         112
        .size:           8
        .value_kind:     hidden_global_offset_z
      - .offset:         120
        .size:           2
        .value_kind:     hidden_grid_dims
    .group_segment_fixed_size: 0
    .kernarg_segment_align: 8
    .kernarg_segment_size: 312
    .language:       OpenCL C
    .language_version:
      - 2
      - 0
    .max_flat_workgroup_size: 1024
    .name:           _ZN2at6native12_GLOBAL__N_121reflection_pad1d_flatIiEEvPKT_PS3_lllll
    .private_segment_fixed_size: 0
    .sgpr_count:     62
    .sgpr_spill_count: 0
    .symbol:         _ZN2at6native12_GLOBAL__N_121reflection_pad1d_flatIiEEvPKT_PS3_lllll.kd
    .uniform_work_group_size: 1
    .uses_dynamic_stack: false
    .vgpr_count:     38
    .vgpr_spill_count: 0
    .wavefront_size: 32
  - .args:
      - .address_space:  global
        .offset:         0
        .size:           8
        .value_kind:     global_buffer
      - .address_space:  global
        .offset:         8
        .size:           8
        .value_kind:     global_buffer
      - .offset:         16
        .size:           8
        .value_kind:     by_value
      - .offset:         24
        .size:           8
        .value_kind:     by_value
      - .offset:         32
        .size:           8
        .value_kind:     by_value
      - .offset:         40
        .size:           4
        .value_kind:     hidden_block_count_x
      - .offset:         44
        .size:           4
        .value_kind:     hidden_block_count_y
      - .offset:         48
        .size:           4
        .value_kind:     hidden_block_count_z
      - .offset:         52
        .size:           2
        .value_kind:     hidden_group_size_x
      - .offset:         54
        .size:           2
        .value_kind:     hidden_group_size_y
      - .offset:         56
        .size:           2
        .value_kind:     hidden_group_size_z
      - .offset:         58
        .size:           2
        .value_kind:     hidden_remainder_x
      - .offset:         60
        .size:           2
        .value_kind:     hidden_remainder_y
      - .offset:         62
        .size:           2
        .value_kind:     hidden_remainder_z
      - .offset:         80
        .size:           8
        .value_kind:     hidden_global_offset_x
      - .offset:         88
        .size:           8
        .value_kind:     hidden_global_offset_y
      - .offset:         96
        .size:           8
        .value_kind:     hidden_global_offset_z
      - .offset:         104
        .size:           2
        .value_kind:     hidden_grid_dims
    .group_segment_fixed_size: 0
    .kernarg_segment_align: 8
    .kernarg_segment_size: 296
    .language:       OpenCL C
    .language_version:
      - 2
      - 0
    .max_flat_workgroup_size: 1024
    .name:           _ZN2at6native12_GLOBAL__N_127reflection_pad1d_out_kernelIlEEvPKT_PS3_lll
    .private_segment_fixed_size: 0
    .sgpr_count:     18
    .sgpr_spill_count: 0
    .symbol:         _ZN2at6native12_GLOBAL__N_127reflection_pad1d_out_kernelIlEEvPKT_PS3_lll.kd
    .uniform_work_group_size: 1
    .uses_dynamic_stack: false
    .vgpr_count:     12
    .vgpr_spill_count: 0
    .wavefront_size: 32
  - .args:
      - .actual_access:  read_only
        .address_space:  global
        .offset:         0
        .size:           8
        .value_kind:     global_buffer
      - .actual_access:  write_only
        .address_space:  global
        .offset:         8
        .size:           8
        .value_kind:     global_buffer
      - .offset:         16
        .size:           8
        .value_kind:     by_value
      - .offset:         24
        .size:           8
        .value_kind:     by_value
      - .offset:         32
        .size:           8
        .value_kind:     by_value
      - .offset:         40
        .size:           8
        .value_kind:     by_value
      - .offset:         48
        .size:           8
        .value_kind:     by_value
      - .offset:         56
        .size:           4
        .value_kind:     hidden_block_count_x
      - .offset:         60
        .size:           4
        .value_kind:     hidden_block_count_y
      - .offset:         64
        .size:           4
        .value_kind:     hidden_block_count_z
      - .offset:         68
        .size:           2
        .value_kind:     hidden_group_size_x
      - .offset:         70
        .size:           2
        .value_kind:     hidden_group_size_y
      - .offset:         72
        .size:           2
        .value_kind:     hidden_group_size_z
      - .offset:         74
        .size:           2
        .value_kind:     hidden_remainder_x
      - .offset:         76
        .size:           2
        .value_kind:     hidden_remainder_y
      - .offset:         78
        .size:           2
        .value_kind:     hidden_remainder_z
      - .offset:         96
        .size:           8
        .value_kind:     hidden_global_offset_x
      - .offset:         104
        .size:           8
        .value_kind:     hidden_global_offset_y
      - .offset:         112
        .size:           8
        .value_kind:     hidden_global_offset_z
      - .offset:         120
        .size:           2
        .value_kind:     hidden_grid_dims
    .group_segment_fixed_size: 0
    .kernarg_segment_align: 8
    .kernarg_segment_size: 312
    .language:       OpenCL C
    .language_version:
      - 2
      - 0
    .max_flat_workgroup_size: 1024
    .name:           _ZN2at6native12_GLOBAL__N_121reflection_pad1d_flatIlEEvPKT_PS3_lllll
    .private_segment_fixed_size: 0
    .sgpr_count:     44
    .sgpr_spill_count: 0
    .symbol:         _ZN2at6native12_GLOBAL__N_121reflection_pad1d_flatIlEEvPKT_PS3_lllll.kd
    .uniform_work_group_size: 1
    .uses_dynamic_stack: false
    .vgpr_count:     24
    .vgpr_spill_count: 0
    .wavefront_size: 32
  - .args:
      - .address_space:  global
        .offset:         0
        .size:           8
        .value_kind:     global_buffer
      - .address_space:  global
        .offset:         8
        .size:           8
        .value_kind:     global_buffer
      - .offset:         16
        .size:           8
        .value_kind:     by_value
      - .offset:         24
        .size:           8
        .value_kind:     by_value
      - .offset:         32
        .size:           8
        .value_kind:     by_value
      - .offset:         40
        .size:           4
        .value_kind:     hidden_block_count_x
      - .offset:         44
        .size:           4
        .value_kind:     hidden_block_count_y
      - .offset:         48
        .size:           4
        .value_kind:     hidden_block_count_z
      - .offset:         52
        .size:           2
        .value_kind:     hidden_group_size_x
      - .offset:         54
        .size:           2
        .value_kind:     hidden_group_size_y
      - .offset:         56
        .size:           2
        .value_kind:     hidden_group_size_z
      - .offset:         58
        .size:           2
        .value_kind:     hidden_remainder_x
      - .offset:         60
        .size:           2
        .value_kind:     hidden_remainder_y
      - .offset:         62
        .size:           2
        .value_kind:     hidden_remainder_z
      - .offset:         80
        .size:           8
        .value_kind:     hidden_global_offset_x
      - .offset:         88
        .size:           8
        .value_kind:     hidden_global_offset_y
      - .offset:         96
        .size:           8
        .value_kind:     hidden_global_offset_z
      - .offset:         104
        .size:           2
        .value_kind:     hidden_grid_dims
    .group_segment_fixed_size: 0
    .kernarg_segment_align: 8
    .kernarg_segment_size: 296
    .language:       OpenCL C
    .language_version:
      - 2
      - 0
    .max_flat_workgroup_size: 1024
    .name:           _ZN2at6native12_GLOBAL__N_127reflection_pad1d_out_kernelIsEEvPKT_PS3_lll
    .private_segment_fixed_size: 0
    .sgpr_count:     18
    .sgpr_spill_count: 0
    .symbol:         _ZN2at6native12_GLOBAL__N_127reflection_pad1d_out_kernelIsEEvPKT_PS3_lll.kd
    .uniform_work_group_size: 1
    .uses_dynamic_stack: false
    .vgpr_count:     12
    .vgpr_spill_count: 0
    .wavefront_size: 32
  - .args:
      - .actual_access:  read_only
        .address_space:  global
        .offset:         0
        .size:           8
        .value_kind:     global_buffer
      - .actual_access:  write_only
        .address_space:  global
        .offset:         8
        .size:           8
        .value_kind:     global_buffer
      - .offset:         16
        .size:           8
        .value_kind:     by_value
      - .offset:         24
        .size:           8
        .value_kind:     by_value
      - .offset:         32
        .size:           8
        .value_kind:     by_value
      - .offset:         40
        .size:           8
        .value_kind:     by_value
      - .offset:         48
        .size:           8
        .value_kind:     by_value
      - .offset:         56
        .size:           4
        .value_kind:     hidden_block_count_x
      - .offset:         60
        .size:           4
        .value_kind:     hidden_block_count_y
      - .offset:         64
        .size:           4
        .value_kind:     hidden_block_count_z
      - .offset:         68
        .size:           2
        .value_kind:     hidden_group_size_x
      - .offset:         70
        .size:           2
        .value_kind:     hidden_group_size_y
      - .offset:         72
        .size:           2
        .value_kind:     hidden_group_size_z
      - .offset:         74
        .size:           2
        .value_kind:     hidden_remainder_x
      - .offset:         76
        .size:           2
        .value_kind:     hidden_remainder_y
      - .offset:         78
        .size:           2
        .value_kind:     hidden_remainder_z
      - .offset:         96
        .size:           8
        .value_kind:     hidden_global_offset_x
      - .offset:         104
        .size:           8
        .value_kind:     hidden_global_offset_y
      - .offset:         112
        .size:           8
        .value_kind:     hidden_global_offset_z
      - .offset:         120
        .size:           2
        .value_kind:     hidden_grid_dims
    .group_segment_fixed_size: 0
    .kernarg_segment_align: 8
    .kernarg_segment_size: 312
    .language:       OpenCL C
    .language_version:
      - 2
      - 0
    .max_flat_workgroup_size: 1024
    .name:           _ZN2at6native12_GLOBAL__N_121reflection_pad1d_flatIsEEvPKT_PS3_lllll
    .private_segment_fixed_size: 0
    .sgpr_count:     71
    .sgpr_spill_count: 0
    .symbol:         _ZN2at6native12_GLOBAL__N_121reflection_pad1d_flatIsEEvPKT_PS3_lllll.kd
    .uniform_work_group_size: 1
    .uses_dynamic_stack: false
    .vgpr_count:     56
    .vgpr_spill_count: 0
    .wavefront_size: 32
  - .args:
      - .address_space:  global
        .offset:         0
        .size:           8
        .value_kind:     global_buffer
      - .address_space:  global
        .offset:         8
        .size:           8
        .value_kind:     global_buffer
      - .offset:         16
        .size:           8
        .value_kind:     by_value
      - .offset:         24
        .size:           8
        .value_kind:     by_value
      - .offset:         32
        .size:           8
        .value_kind:     by_value
      - .offset:         40
        .size:           4
        .value_kind:     hidden_block_count_x
      - .offset:         44
        .size:           4
        .value_kind:     hidden_block_count_y
      - .offset:         48
        .size:           4
        .value_kind:     hidden_block_count_z
      - .offset:         52
        .size:           2
        .value_kind:     hidden_group_size_x
      - .offset:         54
        .size:           2
        .value_kind:     hidden_group_size_y
      - .offset:         56
        .size:           2
        .value_kind:     hidden_group_size_z
      - .offset:         58
        .size:           2
        .value_kind:     hidden_remainder_x
      - .offset:         60
        .size:           2
        .value_kind:     hidden_remainder_y
      - .offset:         62
        .size:           2
        .value_kind:     hidden_remainder_z
      - .offset:         80
        .size:           8
        .value_kind:     hidden_global_offset_x
      - .offset:         88
        .size:           8
        .value_kind:     hidden_global_offset_y
      - .offset:         96
        .size:           8
        .value_kind:     hidden_global_offset_z
      - .offset:         104
        .size:           2
        .value_kind:     hidden_grid_dims
    .group_segment_fixed_size: 0
    .kernarg_segment_align: 8
    .kernarg_segment_size: 296
    .language:       OpenCL C
    .language_version:
      - 2
      - 0
    .max_flat_workgroup_size: 1024
    .name:           _ZN2at6native12_GLOBAL__N_127reflection_pad1d_out_kernelIdEEvPKT_PS3_lll
    .private_segment_fixed_size: 0
    .sgpr_count:     18
    .sgpr_spill_count: 0
    .symbol:         _ZN2at6native12_GLOBAL__N_127reflection_pad1d_out_kernelIdEEvPKT_PS3_lll.kd
    .uniform_work_group_size: 1
    .uses_dynamic_stack: false
    .vgpr_count:     12
    .vgpr_spill_count: 0
    .wavefront_size: 32
  - .args:
      - .actual_access:  read_only
        .address_space:  global
        .offset:         0
        .size:           8
        .value_kind:     global_buffer
      - .actual_access:  write_only
        .address_space:  global
        .offset:         8
        .size:           8
        .value_kind:     global_buffer
      - .offset:         16
        .size:           8
        .value_kind:     by_value
      - .offset:         24
        .size:           8
        .value_kind:     by_value
      - .offset:         32
        .size:           8
        .value_kind:     by_value
      - .offset:         40
        .size:           8
        .value_kind:     by_value
      - .offset:         48
        .size:           8
        .value_kind:     by_value
      - .offset:         56
        .size:           4
        .value_kind:     hidden_block_count_x
      - .offset:         60
        .size:           4
        .value_kind:     hidden_block_count_y
      - .offset:         64
        .size:           4
        .value_kind:     hidden_block_count_z
      - .offset:         68
        .size:           2
        .value_kind:     hidden_group_size_x
      - .offset:         70
        .size:           2
        .value_kind:     hidden_group_size_y
      - .offset:         72
        .size:           2
        .value_kind:     hidden_group_size_z
      - .offset:         74
        .size:           2
        .value_kind:     hidden_remainder_x
      - .offset:         76
        .size:           2
        .value_kind:     hidden_remainder_y
      - .offset:         78
        .size:           2
        .value_kind:     hidden_remainder_z
      - .offset:         96
        .size:           8
        .value_kind:     hidden_global_offset_x
      - .offset:         104
        .size:           8
        .value_kind:     hidden_global_offset_y
      - .offset:         112
        .size:           8
        .value_kind:     hidden_global_offset_z
      - .offset:         120
        .size:           2
        .value_kind:     hidden_grid_dims
    .group_segment_fixed_size: 0
    .kernarg_segment_align: 8
    .kernarg_segment_size: 312
    .language:       OpenCL C
    .language_version:
      - 2
      - 0
    .max_flat_workgroup_size: 1024
    .name:           _ZN2at6native12_GLOBAL__N_121reflection_pad1d_flatIdEEvPKT_PS3_lllll
    .private_segment_fixed_size: 0
    .sgpr_count:     44
    .sgpr_spill_count: 0
    .symbol:         _ZN2at6native12_GLOBAL__N_121reflection_pad1d_flatIdEEvPKT_PS3_lllll.kd
    .uniform_work_group_size: 1
    .uses_dynamic_stack: false
    .vgpr_count:     24
    .vgpr_spill_count: 0
    .wavefront_size: 32
  - .args:
      - .address_space:  global
        .offset:         0
        .size:           8
        .value_kind:     global_buffer
      - .address_space:  global
        .offset:         8
        .size:           8
        .value_kind:     global_buffer
      - .offset:         16
        .size:           8
        .value_kind:     by_value
      - .offset:         24
        .size:           8
        .value_kind:     by_value
      - .offset:         32
        .size:           8
        .value_kind:     by_value
      - .offset:         40
        .size:           4
        .value_kind:     hidden_block_count_x
      - .offset:         44
        .size:           4
        .value_kind:     hidden_block_count_y
      - .offset:         48
        .size:           4
        .value_kind:     hidden_block_count_z
      - .offset:         52
        .size:           2
        .value_kind:     hidden_group_size_x
      - .offset:         54
        .size:           2
        .value_kind:     hidden_group_size_y
      - .offset:         56
        .size:           2
        .value_kind:     hidden_group_size_z
      - .offset:         58
        .size:           2
        .value_kind:     hidden_remainder_x
      - .offset:         60
        .size:           2
        .value_kind:     hidden_remainder_y
      - .offset:         62
        .size:           2
        .value_kind:     hidden_remainder_z
      - .offset:         80
        .size:           8
        .value_kind:     hidden_global_offset_x
      - .offset:         88
        .size:           8
        .value_kind:     hidden_global_offset_y
      - .offset:         96
        .size:           8
        .value_kind:     hidden_global_offset_z
      - .offset:         104
        .size:           2
        .value_kind:     hidden_grid_dims
    .group_segment_fixed_size: 0
    .kernarg_segment_align: 8
    .kernarg_segment_size: 296
    .language:       OpenCL C
    .language_version:
      - 2
      - 0
    .max_flat_workgroup_size: 1024
    .name:           _ZN2at6native12_GLOBAL__N_127reflection_pad1d_out_kernelIfEEvPKT_PS3_lll
    .private_segment_fixed_size: 0
    .sgpr_count:     18
    .sgpr_spill_count: 0
    .symbol:         _ZN2at6native12_GLOBAL__N_127reflection_pad1d_out_kernelIfEEvPKT_PS3_lll.kd
    .uniform_work_group_size: 1
    .uses_dynamic_stack: false
    .vgpr_count:     12
    .vgpr_spill_count: 0
    .wavefront_size: 32
  - .args:
      - .actual_access:  read_only
        .address_space:  global
        .offset:         0
        .size:           8
        .value_kind:     global_buffer
      - .actual_access:  write_only
        .address_space:  global
        .offset:         8
        .size:           8
        .value_kind:     global_buffer
      - .offset:         16
        .size:           8
        .value_kind:     by_value
      - .offset:         24
        .size:           8
        .value_kind:     by_value
      - .offset:         32
        .size:           8
        .value_kind:     by_value
      - .offset:         40
        .size:           8
        .value_kind:     by_value
      - .offset:         48
        .size:           8
        .value_kind:     by_value
      - .offset:         56
        .size:           4
        .value_kind:     hidden_block_count_x
      - .offset:         60
        .size:           4
        .value_kind:     hidden_block_count_y
      - .offset:         64
        .size:           4
        .value_kind:     hidden_block_count_z
      - .offset:         68
        .size:           2
        .value_kind:     hidden_group_size_x
      - .offset:         70
        .size:           2
        .value_kind:     hidden_group_size_y
      - .offset:         72
        .size:           2
        .value_kind:     hidden_group_size_z
      - .offset:         74
        .size:           2
        .value_kind:     hidden_remainder_x
      - .offset:         76
        .size:           2
        .value_kind:     hidden_remainder_y
      - .offset:         78
        .size:           2
        .value_kind:     hidden_remainder_z
      - .offset:         96
        .size:           8
        .value_kind:     hidden_global_offset_x
      - .offset:         104
        .size:           8
        .value_kind:     hidden_global_offset_y
      - .offset:         112
        .size:           8
        .value_kind:     hidden_global_offset_z
      - .offset:         120
        .size:           2
        .value_kind:     hidden_grid_dims
    .group_segment_fixed_size: 0
    .kernarg_segment_align: 8
    .kernarg_segment_size: 312
    .language:       OpenCL C
    .language_version:
      - 2
      - 0
    .max_flat_workgroup_size: 1024
    .name:           _ZN2at6native12_GLOBAL__N_121reflection_pad1d_flatIfEEvPKT_PS3_lllll
    .private_segment_fixed_size: 0
    .sgpr_count:     62
    .sgpr_spill_count: 0
    .symbol:         _ZN2at6native12_GLOBAL__N_121reflection_pad1d_flatIfEEvPKT_PS3_lllll.kd
    .uniform_work_group_size: 1
    .uses_dynamic_stack: false
    .vgpr_count:     38
    .vgpr_spill_count: 0
    .wavefront_size: 32
  - .args:
      - .address_space:  global
        .offset:         0
        .size:           8
        .value_kind:     global_buffer
      - .address_space:  global
        .offset:         8
        .size:           8
        .value_kind:     global_buffer
      - .offset:         16
        .size:           8
        .value_kind:     by_value
      - .offset:         24
        .size:           8
        .value_kind:     by_value
      - .offset:         32
        .size:           8
        .value_kind:     by_value
      - .offset:         40
        .size:           4
        .value_kind:     hidden_block_count_x
      - .offset:         44
        .size:           4
        .value_kind:     hidden_block_count_y
      - .offset:         48
        .size:           4
        .value_kind:     hidden_block_count_z
      - .offset:         52
        .size:           2
        .value_kind:     hidden_group_size_x
      - .offset:         54
        .size:           2
        .value_kind:     hidden_group_size_y
      - .offset:         56
        .size:           2
        .value_kind:     hidden_group_size_z
      - .offset:         58
        .size:           2
        .value_kind:     hidden_remainder_x
      - .offset:         60
        .size:           2
        .value_kind:     hidden_remainder_y
      - .offset:         62
        .size:           2
        .value_kind:     hidden_remainder_z
      - .offset:         80
        .size:           8
        .value_kind:     hidden_global_offset_x
      - .offset:         88
        .size:           8
        .value_kind:     hidden_global_offset_y
      - .offset:         96
        .size:           8
        .value_kind:     hidden_global_offset_z
      - .offset:         104
        .size:           2
        .value_kind:     hidden_grid_dims
    .group_segment_fixed_size: 0
    .kernarg_segment_align: 8
    .kernarg_segment_size: 296
    .language:       OpenCL C
    .language_version:
      - 2
      - 0
    .max_flat_workgroup_size: 1024
    .name:           _ZN2at6native12_GLOBAL__N_127reflection_pad1d_out_kernelIN3c107complexIdEEEEvPKT_PS6_lll
    .private_segment_fixed_size: 0
    .sgpr_count:     18
    .sgpr_spill_count: 0
    .symbol:         _ZN2at6native12_GLOBAL__N_127reflection_pad1d_out_kernelIN3c107complexIdEEEEvPKT_PS6_lll.kd
    .uniform_work_group_size: 1
    .uses_dynamic_stack: false
    .vgpr_count:     12
    .vgpr_spill_count: 0
    .wavefront_size: 32
  - .args:
      - .actual_access:  read_only
        .address_space:  global
        .offset:         0
        .size:           8
        .value_kind:     global_buffer
      - .actual_access:  write_only
        .address_space:  global
        .offset:         8
        .size:           8
        .value_kind:     global_buffer
      - .offset:         16
        .size:           8
        .value_kind:     by_value
      - .offset:         24
        .size:           8
        .value_kind:     by_value
      - .offset:         32
        .size:           8
        .value_kind:     by_value
      - .offset:         40
        .size:           8
        .value_kind:     by_value
      - .offset:         48
        .size:           8
        .value_kind:     by_value
      - .offset:         56
        .size:           4
        .value_kind:     hidden_block_count_x
      - .offset:         60
        .size:           4
        .value_kind:     hidden_block_count_y
      - .offset:         64
        .size:           4
        .value_kind:     hidden_block_count_z
      - .offset:         68
        .size:           2
        .value_kind:     hidden_group_size_x
      - .offset:         70
        .size:           2
        .value_kind:     hidden_group_size_y
      - .offset:         72
        .size:           2
        .value_kind:     hidden_group_size_z
      - .offset:         74
        .size:           2
        .value_kind:     hidden_remainder_x
      - .offset:         76
        .size:           2
        .value_kind:     hidden_remainder_y
      - .offset:         78
        .size:           2
        .value_kind:     hidden_remainder_z
      - .offset:         96
        .size:           8
        .value_kind:     hidden_global_offset_x
      - .offset:         104
        .size:           8
        .value_kind:     hidden_global_offset_y
      - .offset:         112
        .size:           8
        .value_kind:     hidden_global_offset_z
      - .offset:         120
        .size:           2
        .value_kind:     hidden_grid_dims
    .group_segment_fixed_size: 0
    .kernarg_segment_align: 8
    .kernarg_segment_size: 312
    .language:       OpenCL C
    .language_version:
      - 2
      - 0
    .max_flat_workgroup_size: 1024
    .name:           _ZN2at6native12_GLOBAL__N_121reflection_pad1d_flatIN3c107complexIdEEEEvPKT_PS6_lllll
    .private_segment_fixed_size: 0
    .sgpr_count:     44
    .sgpr_spill_count: 0
    .symbol:         _ZN2at6native12_GLOBAL__N_121reflection_pad1d_flatIN3c107complexIdEEEEvPKT_PS6_lllll.kd
    .uniform_work_group_size: 1
    .uses_dynamic_stack: false
    .vgpr_count:     24
    .vgpr_spill_count: 0
    .wavefront_size: 32
  - .args:
      - .address_space:  global
        .offset:         0
        .size:           8
        .value_kind:     global_buffer
      - .address_space:  global
        .offset:         8
        .size:           8
        .value_kind:     global_buffer
      - .offset:         16
        .size:           8
        .value_kind:     by_value
      - .offset:         24
        .size:           8
        .value_kind:     by_value
      - .offset:         32
        .size:           8
        .value_kind:     by_value
      - .offset:         40
        .size:           4
        .value_kind:     hidden_block_count_x
      - .offset:         44
        .size:           4
        .value_kind:     hidden_block_count_y
      - .offset:         48
        .size:           4
        .value_kind:     hidden_block_count_z
      - .offset:         52
        .size:           2
        .value_kind:     hidden_group_size_x
      - .offset:         54
        .size:           2
        .value_kind:     hidden_group_size_y
      - .offset:         56
        .size:           2
        .value_kind:     hidden_group_size_z
      - .offset:         58
        .size:           2
        .value_kind:     hidden_remainder_x
      - .offset:         60
        .size:           2
        .value_kind:     hidden_remainder_y
      - .offset:         62
        .size:           2
        .value_kind:     hidden_remainder_z
      - .offset:         80
        .size:           8
        .value_kind:     hidden_global_offset_x
      - .offset:         88
        .size:           8
        .value_kind:     hidden_global_offset_y
      - .offset:         96
        .size:           8
        .value_kind:     hidden_global_offset_z
      - .offset:         104
        .size:           2
        .value_kind:     hidden_grid_dims
    .group_segment_fixed_size: 0
    .kernarg_segment_align: 8
    .kernarg_segment_size: 296
    .language:       OpenCL C
    .language_version:
      - 2
      - 0
    .max_flat_workgroup_size: 1024
    .name:           _ZN2at6native12_GLOBAL__N_127reflection_pad1d_out_kernelIN3c107complexIfEEEEvPKT_PS6_lll
    .private_segment_fixed_size: 0
    .sgpr_count:     18
    .sgpr_spill_count: 0
    .symbol:         _ZN2at6native12_GLOBAL__N_127reflection_pad1d_out_kernelIN3c107complexIfEEEEvPKT_PS6_lll.kd
    .uniform_work_group_size: 1
    .uses_dynamic_stack: false
    .vgpr_count:     12
    .vgpr_spill_count: 0
    .wavefront_size: 32
  - .args:
      - .actual_access:  read_only
        .address_space:  global
        .offset:         0
        .size:           8
        .value_kind:     global_buffer
      - .actual_access:  write_only
        .address_space:  global
        .offset:         8
        .size:           8
        .value_kind:     global_buffer
      - .offset:         16
        .size:           8
        .value_kind:     by_value
      - .offset:         24
        .size:           8
        .value_kind:     by_value
      - .offset:         32
        .size:           8
        .value_kind:     by_value
      - .offset:         40
        .size:           8
        .value_kind:     by_value
      - .offset:         48
        .size:           8
        .value_kind:     by_value
      - .offset:         56
        .size:           4
        .value_kind:     hidden_block_count_x
      - .offset:         60
        .size:           4
        .value_kind:     hidden_block_count_y
      - .offset:         64
        .size:           4
        .value_kind:     hidden_block_count_z
      - .offset:         68
        .size:           2
        .value_kind:     hidden_group_size_x
      - .offset:         70
        .size:           2
        .value_kind:     hidden_group_size_y
      - .offset:         72
        .size:           2
        .value_kind:     hidden_group_size_z
      - .offset:         74
        .size:           2
        .value_kind:     hidden_remainder_x
      - .offset:         76
        .size:           2
        .value_kind:     hidden_remainder_y
      - .offset:         78
        .size:           2
        .value_kind:     hidden_remainder_z
      - .offset:         96
        .size:           8
        .value_kind:     hidden_global_offset_x
      - .offset:         104
        .size:           8
        .value_kind:     hidden_global_offset_y
      - .offset:         112
        .size:           8
        .value_kind:     hidden_global_offset_z
      - .offset:         120
        .size:           2
        .value_kind:     hidden_grid_dims
    .group_segment_fixed_size: 0
    .kernarg_segment_align: 8
    .kernarg_segment_size: 312
    .language:       OpenCL C
    .language_version:
      - 2
      - 0
    .max_flat_workgroup_size: 1024
    .name:           _ZN2at6native12_GLOBAL__N_121reflection_pad1d_flatIN3c107complexIfEEEEvPKT_PS6_lllll
    .private_segment_fixed_size: 0
    .sgpr_count:     44
    .sgpr_spill_count: 0
    .symbol:         _ZN2at6native12_GLOBAL__N_121reflection_pad1d_flatIN3c107complexIfEEEEvPKT_PS6_lllll.kd
    .uniform_work_group_size: 1
    .uses_dynamic_stack: false
    .vgpr_count:     24
    .vgpr_spill_count: 0
    .wavefront_size: 32
  - .args:
      - .address_space:  global
        .offset:         0
        .size:           8
        .value_kind:     global_buffer
      - .address_space:  global
        .offset:         8
        .size:           8
        .value_kind:     global_buffer
      - .offset:         16
        .size:           8
        .value_kind:     by_value
      - .offset:         24
        .size:           8
        .value_kind:     by_value
      - .offset:         32
        .size:           8
        .value_kind:     by_value
      - .offset:         40
        .size:           4
        .value_kind:     hidden_block_count_x
      - .offset:         44
        .size:           4
        .value_kind:     hidden_block_count_y
      - .offset:         48
        .size:           4
        .value_kind:     hidden_block_count_z
      - .offset:         52
        .size:           2
        .value_kind:     hidden_group_size_x
      - .offset:         54
        .size:           2
        .value_kind:     hidden_group_size_y
      - .offset:         56
        .size:           2
        .value_kind:     hidden_group_size_z
      - .offset:         58
        .size:           2
        .value_kind:     hidden_remainder_x
      - .offset:         60
        .size:           2
        .value_kind:     hidden_remainder_y
      - .offset:         62
        .size:           2
        .value_kind:     hidden_remainder_z
      - .offset:         80
        .size:           8
        .value_kind:     hidden_global_offset_x
      - .offset:         88
        .size:           8
        .value_kind:     hidden_global_offset_y
      - .offset:         96
        .size:           8
        .value_kind:     hidden_global_offset_z
      - .offset:         104
        .size:           2
        .value_kind:     hidden_grid_dims
    .group_segment_fixed_size: 0
    .kernarg_segment_align: 8
    .kernarg_segment_size: 296
    .language:       OpenCL C
    .language_version:
      - 2
      - 0
    .max_flat_workgroup_size: 1024
    .name:           _ZN2at6native12_GLOBAL__N_127reflection_pad1d_out_kernelIN3c104HalfEEEvPKT_PS5_lll
    .private_segment_fixed_size: 0
    .sgpr_count:     18
    .sgpr_spill_count: 0
    .symbol:         _ZN2at6native12_GLOBAL__N_127reflection_pad1d_out_kernelIN3c104HalfEEEvPKT_PS5_lll.kd
    .uniform_work_group_size: 1
    .uses_dynamic_stack: false
    .vgpr_count:     12
    .vgpr_spill_count: 0
    .wavefront_size: 32
  - .args:
      - .actual_access:  read_only
        .address_space:  global
        .offset:         0
        .size:           8
        .value_kind:     global_buffer
      - .actual_access:  write_only
        .address_space:  global
        .offset:         8
        .size:           8
        .value_kind:     global_buffer
      - .offset:         16
        .size:           8
        .value_kind:     by_value
      - .offset:         24
        .size:           8
        .value_kind:     by_value
      - .offset:         32
        .size:           8
        .value_kind:     by_value
      - .offset:         40
        .size:           8
        .value_kind:     by_value
      - .offset:         48
        .size:           8
        .value_kind:     by_value
      - .offset:         56
        .size:           4
        .value_kind:     hidden_block_count_x
      - .offset:         60
        .size:           4
        .value_kind:     hidden_block_count_y
      - .offset:         64
        .size:           4
        .value_kind:     hidden_block_count_z
      - .offset:         68
        .size:           2
        .value_kind:     hidden_group_size_x
      - .offset:         70
        .size:           2
        .value_kind:     hidden_group_size_y
      - .offset:         72
        .size:           2
        .value_kind:     hidden_group_size_z
      - .offset:         74
        .size:           2
        .value_kind:     hidden_remainder_x
      - .offset:         76
        .size:           2
        .value_kind:     hidden_remainder_y
      - .offset:         78
        .size:           2
        .value_kind:     hidden_remainder_z
      - .offset:         96
        .size:           8
        .value_kind:     hidden_global_offset_x
      - .offset:         104
        .size:           8
        .value_kind:     hidden_global_offset_y
      - .offset:         112
        .size:           8
        .value_kind:     hidden_global_offset_z
      - .offset:         120
        .size:           2
        .value_kind:     hidden_grid_dims
    .group_segment_fixed_size: 0
    .kernarg_segment_align: 8
    .kernarg_segment_size: 312
    .language:       OpenCL C
    .language_version:
      - 2
      - 0
    .max_flat_workgroup_size: 1024
    .name:           _ZN2at6native12_GLOBAL__N_121reflection_pad1d_flatIN3c104HalfEEEvPKT_PS5_lllll
    .private_segment_fixed_size: 0
    .sgpr_count:     71
    .sgpr_spill_count: 0
    .symbol:         _ZN2at6native12_GLOBAL__N_121reflection_pad1d_flatIN3c104HalfEEEvPKT_PS5_lllll.kd
    .uniform_work_group_size: 1
    .uses_dynamic_stack: false
    .vgpr_count:     56
    .vgpr_spill_count: 0
    .wavefront_size: 32
  - .args:
      - .address_space:  global
        .offset:         0
        .size:           8
        .value_kind:     global_buffer
      - .address_space:  global
        .offset:         8
        .size:           8
        .value_kind:     global_buffer
      - .offset:         16
        .size:           8
        .value_kind:     by_value
      - .offset:         24
        .size:           8
        .value_kind:     by_value
      - .offset:         32
        .size:           8
        .value_kind:     by_value
      - .offset:         40
        .size:           4
        .value_kind:     hidden_block_count_x
      - .offset:         44
        .size:           4
        .value_kind:     hidden_block_count_y
      - .offset:         48
        .size:           4
        .value_kind:     hidden_block_count_z
      - .offset:         52
        .size:           2
        .value_kind:     hidden_group_size_x
      - .offset:         54
        .size:           2
        .value_kind:     hidden_group_size_y
      - .offset:         56
        .size:           2
        .value_kind:     hidden_group_size_z
      - .offset:         58
        .size:           2
        .value_kind:     hidden_remainder_x
      - .offset:         60
        .size:           2
        .value_kind:     hidden_remainder_y
      - .offset:         62
        .size:           2
        .value_kind:     hidden_remainder_z
      - .offset:         80
        .size:           8
        .value_kind:     hidden_global_offset_x
      - .offset:         88
        .size:           8
        .value_kind:     hidden_global_offset_y
      - .offset:         96
        .size:           8
        .value_kind:     hidden_global_offset_z
      - .offset:         104
        .size:           2
        .value_kind:     hidden_grid_dims
    .group_segment_fixed_size: 0
    .kernarg_segment_align: 8
    .kernarg_segment_size: 296
    .language:       OpenCL C
    .language_version:
      - 2
      - 0
    .max_flat_workgroup_size: 1024
    .name:           _ZN2at6native12_GLOBAL__N_127reflection_pad1d_out_kernelIN3c108BFloat16EEEvPKT_PS5_lll
    .private_segment_fixed_size: 0
    .sgpr_count:     18
    .sgpr_spill_count: 0
    .symbol:         _ZN2at6native12_GLOBAL__N_127reflection_pad1d_out_kernelIN3c108BFloat16EEEvPKT_PS5_lll.kd
    .uniform_work_group_size: 1
    .uses_dynamic_stack: false
    .vgpr_count:     12
    .vgpr_spill_count: 0
    .wavefront_size: 32
  - .args:
      - .actual_access:  read_only
        .address_space:  global
        .offset:         0
        .size:           8
        .value_kind:     global_buffer
      - .actual_access:  write_only
        .address_space:  global
        .offset:         8
        .size:           8
        .value_kind:     global_buffer
      - .offset:         16
        .size:           8
        .value_kind:     by_value
      - .offset:         24
        .size:           8
        .value_kind:     by_value
      - .offset:         32
        .size:           8
        .value_kind:     by_value
      - .offset:         40
        .size:           8
        .value_kind:     by_value
      - .offset:         48
        .size:           8
        .value_kind:     by_value
      - .offset:         56
        .size:           4
        .value_kind:     hidden_block_count_x
      - .offset:         60
        .size:           4
        .value_kind:     hidden_block_count_y
      - .offset:         64
        .size:           4
        .value_kind:     hidden_block_count_z
      - .offset:         68
        .size:           2
        .value_kind:     hidden_group_size_x
      - .offset:         70
        .size:           2
        .value_kind:     hidden_group_size_y
      - .offset:         72
        .size:           2
        .value_kind:     hidden_group_size_z
      - .offset:         74
        .size:           2
        .value_kind:     hidden_remainder_x
      - .offset:         76
        .size:           2
        .value_kind:     hidden_remainder_y
      - .offset:         78
        .size:           2
        .value_kind:     hidden_remainder_z
      - .offset:         96
        .size:           8
        .value_kind:     hidden_global_offset_x
      - .offset:         104
        .size:           8
        .value_kind:     hidden_global_offset_y
      - .offset:         112
        .size:           8
        .value_kind:     hidden_global_offset_z
      - .offset:         120
        .size:           2
        .value_kind:     hidden_grid_dims
    .group_segment_fixed_size: 0
    .kernarg_segment_align: 8
    .kernarg_segment_size: 312
    .language:       OpenCL C
    .language_version:
      - 2
      - 0
    .max_flat_workgroup_size: 1024
    .name:           _ZN2at6native12_GLOBAL__N_121reflection_pad1d_flatIN3c108BFloat16EEEvPKT_PS5_lllll
    .private_segment_fixed_size: 0
    .sgpr_count:     71
    .sgpr_spill_count: 0
    .symbol:         _ZN2at6native12_GLOBAL__N_121reflection_pad1d_flatIN3c108BFloat16EEEvPKT_PS5_lllll.kd
    .uniform_work_group_size: 1
    .uses_dynamic_stack: false
    .vgpr_count:     56
    .vgpr_spill_count: 0
    .wavefront_size: 32
  - .args:
      - .address_space:  global
        .offset:         0
        .size:           8
        .value_kind:     global_buffer
      - .address_space:  global
        .offset:         8
        .size:           8
        .value_kind:     global_buffer
      - .offset:         16
        .size:           8
        .value_kind:     by_value
      - .offset:         24
        .size:           8
        .value_kind:     by_value
      - .offset:         32
        .size:           8
        .value_kind:     by_value
      - .offset:         40
        .size:           4
        .value_kind:     hidden_block_count_x
      - .offset:         44
        .size:           4
        .value_kind:     hidden_block_count_y
      - .offset:         48
        .size:           4
        .value_kind:     hidden_block_count_z
      - .offset:         52
        .size:           2
        .value_kind:     hidden_group_size_x
      - .offset:         54
        .size:           2
        .value_kind:     hidden_group_size_y
      - .offset:         56
        .size:           2
        .value_kind:     hidden_group_size_z
      - .offset:         58
        .size:           2
        .value_kind:     hidden_remainder_x
      - .offset:         60
        .size:           2
        .value_kind:     hidden_remainder_y
      - .offset:         62
        .size:           2
        .value_kind:     hidden_remainder_z
      - .offset:         80
        .size:           8
        .value_kind:     hidden_global_offset_x
      - .offset:         88
        .size:           8
        .value_kind:     hidden_global_offset_y
      - .offset:         96
        .size:           8
        .value_kind:     hidden_global_offset_z
      - .offset:         104
        .size:           2
        .value_kind:     hidden_grid_dims
    .group_segment_fixed_size: 0
    .kernarg_segment_align: 8
    .kernarg_segment_size: 296
    .language:       OpenCL C
    .language_version:
      - 2
      - 0
    .max_flat_workgroup_size: 1024
    .name:           _ZN2at6native12_GLOBAL__N_136reflection_pad1d_backward_out_kernelIdEEvPT_PKS3_lll
    .private_segment_fixed_size: 0
    .sgpr_count:     21
    .sgpr_spill_count: 0
    .symbol:         _ZN2at6native12_GLOBAL__N_136reflection_pad1d_backward_out_kernelIdEEvPT_PKS3_lll.kd
    .uniform_work_group_size: 1
    .uses_dynamic_stack: false
    .vgpr_count:     14
    .vgpr_spill_count: 0
    .wavefront_size: 32
  - .args:
      - .address_space:  global
        .offset:         0
        .size:           8
        .value_kind:     global_buffer
      - .actual_access:  read_only
        .address_space:  global
        .offset:         8
        .size:           8
        .value_kind:     global_buffer
      - .offset:         16
        .size:           8
        .value_kind:     by_value
      - .offset:         24
        .size:           8
        .value_kind:     by_value
      - .offset:         32
        .size:           8
        .value_kind:     by_value
      - .offset:         40
        .size:           8
        .value_kind:     by_value
      - .offset:         48
        .size:           4
        .value_kind:     hidden_block_count_x
      - .offset:         52
        .size:           4
        .value_kind:     hidden_block_count_y
      - .offset:         56
        .size:           4
        .value_kind:     hidden_block_count_z
      - .offset:         60
        .size:           2
        .value_kind:     hidden_group_size_x
      - .offset:         62
        .size:           2
        .value_kind:     hidden_group_size_y
      - .offset:         64
        .size:           2
        .value_kind:     hidden_group_size_z
      - .offset:         66
        .size:           2
        .value_kind:     hidden_remainder_x
      - .offset:         68
        .size:           2
        .value_kind:     hidden_remainder_y
      - .offset:         70
        .size:           2
        .value_kind:     hidden_remainder_z
      - .offset:         88
        .size:           8
        .value_kind:     hidden_global_offset_x
      - .offset:         96
        .size:           8
        .value_kind:     hidden_global_offset_y
      - .offset:         104
        .size:           8
        .value_kind:     hidden_global_offset_z
      - .offset:         112
        .size:           2
        .value_kind:     hidden_grid_dims
    .group_segment_fixed_size: 0
    .kernarg_segment_align: 8
    .kernarg_segment_size: 304
    .language:       OpenCL C
    .language_version:
      - 2
      - 0
    .max_flat_workgroup_size: 1024
    .name:           _ZN2at6native12_GLOBAL__N_130reflection_pad1d_backward_flatIdEEvPT_PKS3_llll
    .private_segment_fixed_size: 0
    .sgpr_count:     44
    .sgpr_spill_count: 0
    .symbol:         _ZN2at6native12_GLOBAL__N_130reflection_pad1d_backward_flatIdEEvPT_PKS3_llll.kd
    .uniform_work_group_size: 1
    .uses_dynamic_stack: false
    .vgpr_count:     24
    .vgpr_spill_count: 0
    .wavefront_size: 32
  - .args:
      - .address_space:  global
        .offset:         0
        .size:           8
        .value_kind:     global_buffer
      - .address_space:  global
        .offset:         8
        .size:           8
        .value_kind:     global_buffer
      - .offset:         16
        .size:           8
        .value_kind:     by_value
      - .offset:         24
        .size:           8
        .value_kind:     by_value
      - .offset:         32
        .size:           8
        .value_kind:     by_value
      - .offset:         40
        .size:           4
        .value_kind:     hidden_block_count_x
      - .offset:         44
        .size:           4
        .value_kind:     hidden_block_count_y
      - .offset:         48
        .size:           4
        .value_kind:     hidden_block_count_z
      - .offset:         52
        .size:           2
        .value_kind:     hidden_group_size_x
      - .offset:         54
        .size:           2
        .value_kind:     hidden_group_size_y
      - .offset:         56
        .size:           2
        .value_kind:     hidden_group_size_z
      - .offset:         58
        .size:           2
        .value_kind:     hidden_remainder_x
      - .offset:         60
        .size:           2
        .value_kind:     hidden_remainder_y
      - .offset:         62
        .size:           2
        .value_kind:     hidden_remainder_z
      - .offset:         80
        .size:           8
        .value_kind:     hidden_global_offset_x
      - .offset:         88
        .size:           8
        .value_kind:     hidden_global_offset_y
      - .offset:         96
        .size:           8
        .value_kind:     hidden_global_offset_z
      - .offset:         104
        .size:           2
        .value_kind:     hidden_grid_dims
    .group_segment_fixed_size: 0
    .kernarg_segment_align: 8
    .kernarg_segment_size: 296
    .language:       OpenCL C
    .language_version:
      - 2
      - 0
    .max_flat_workgroup_size: 1024
    .name:           _ZN2at6native12_GLOBAL__N_136reflection_pad1d_backward_out_kernelIfEEvPT_PKS3_lll
    .private_segment_fixed_size: 0
    .sgpr_count:     21
    .sgpr_spill_count: 0
    .symbol:         _ZN2at6native12_GLOBAL__N_136reflection_pad1d_backward_out_kernelIfEEvPT_PKS3_lll.kd
    .uniform_work_group_size: 1
    .uses_dynamic_stack: false
    .vgpr_count:     13
    .vgpr_spill_count: 0
    .wavefront_size: 32
  - .args:
      - .address_space:  global
        .offset:         0
        .size:           8
        .value_kind:     global_buffer
      - .actual_access:  read_only
        .address_space:  global
        .offset:         8
        .size:           8
        .value_kind:     global_buffer
      - .offset:         16
        .size:           8
        .value_kind:     by_value
      - .offset:         24
        .size:           8
        .value_kind:     by_value
      - .offset:         32
        .size:           8
        .value_kind:     by_value
      - .offset:         40
        .size:           8
        .value_kind:     by_value
      - .offset:         48
        .size:           4
        .value_kind:     hidden_block_count_x
      - .offset:         52
        .size:           4
        .value_kind:     hidden_block_count_y
      - .offset:         56
        .size:           4
        .value_kind:     hidden_block_count_z
      - .offset:         60
        .size:           2
        .value_kind:     hidden_group_size_x
      - .offset:         62
        .size:           2
        .value_kind:     hidden_group_size_y
      - .offset:         64
        .size:           2
        .value_kind:     hidden_group_size_z
      - .offset:         66
        .size:           2
        .value_kind:     hidden_remainder_x
      - .offset:         68
        .size:           2
        .value_kind:     hidden_remainder_y
      - .offset:         70
        .size:           2
        .value_kind:     hidden_remainder_z
      - .offset:         88
        .size:           8
        .value_kind:     hidden_global_offset_x
      - .offset:         96
        .size:           8
        .value_kind:     hidden_global_offset_y
      - .offset:         104
        .size:           8
        .value_kind:     hidden_global_offset_z
      - .offset:         112
        .size:           2
        .value_kind:     hidden_grid_dims
    .group_segment_fixed_size: 0
    .kernarg_segment_align: 8
    .kernarg_segment_size: 304
    .language:       OpenCL C
    .language_version:
      - 2
      - 0
    .max_flat_workgroup_size: 1024
    .name:           _ZN2at6native12_GLOBAL__N_130reflection_pad1d_backward_flatIfEEvPT_PKS3_llll
    .private_segment_fixed_size: 0
    .sgpr_count:     44
    .sgpr_spill_count: 0
    .symbol:         _ZN2at6native12_GLOBAL__N_130reflection_pad1d_backward_flatIfEEvPT_PKS3_llll.kd
    .uniform_work_group_size: 1
    .uses_dynamic_stack: false
    .vgpr_count:     24
    .vgpr_spill_count: 0
    .wavefront_size: 32
  - .args:
      - .address_space:  global
        .offset:         0
        .size:           8
        .value_kind:     global_buffer
      - .address_space:  global
        .offset:         8
        .size:           8
        .value_kind:     global_buffer
      - .offset:         16
        .size:           8
        .value_kind:     by_value
      - .offset:         24
        .size:           8
        .value_kind:     by_value
      - .offset:         32
        .size:           8
        .value_kind:     by_value
      - .offset:         40
        .size:           4
        .value_kind:     hidden_block_count_x
      - .offset:         44
        .size:           4
        .value_kind:     hidden_block_count_y
      - .offset:         48
        .size:           4
        .value_kind:     hidden_block_count_z
      - .offset:         52
        .size:           2
        .value_kind:     hidden_group_size_x
      - .offset:         54
        .size:           2
        .value_kind:     hidden_group_size_y
      - .offset:         56
        .size:           2
        .value_kind:     hidden_group_size_z
      - .offset:         58
        .size:           2
        .value_kind:     hidden_remainder_x
      - .offset:         60
        .size:           2
        .value_kind:     hidden_remainder_y
      - .offset:         62
        .size:           2
        .value_kind:     hidden_remainder_z
      - .offset:         80
        .size:           8
        .value_kind:     hidden_global_offset_x
      - .offset:         88
        .size:           8
        .value_kind:     hidden_global_offset_y
      - .offset:         96
        .size:           8
        .value_kind:     hidden_global_offset_z
      - .offset:         104
        .size:           2
        .value_kind:     hidden_grid_dims
    .group_segment_fixed_size: 0
    .kernarg_segment_align: 8
    .kernarg_segment_size: 296
    .language:       OpenCL C
    .language_version:
      - 2
      - 0
    .max_flat_workgroup_size: 1024
    .name:           _ZN2at6native12_GLOBAL__N_136reflection_pad1d_backward_out_kernelIN3c107complexIdEEEEvPT_PKS6_lll
    .private_segment_fixed_size: 0
    .sgpr_count:     21
    .sgpr_spill_count: 0
    .symbol:         _ZN2at6native12_GLOBAL__N_136reflection_pad1d_backward_out_kernelIN3c107complexIdEEEEvPT_PKS6_lll.kd
    .uniform_work_group_size: 1
    .uses_dynamic_stack: false
    .vgpr_count:     16
    .vgpr_spill_count: 0
    .wavefront_size: 32
  - .args:
      - .address_space:  global
        .offset:         0
        .size:           8
        .value_kind:     global_buffer
      - .actual_access:  read_only
        .address_space:  global
        .offset:         8
        .size:           8
        .value_kind:     global_buffer
      - .offset:         16
        .size:           8
        .value_kind:     by_value
      - .offset:         24
        .size:           8
        .value_kind:     by_value
      - .offset:         32
        .size:           8
        .value_kind:     by_value
      - .offset:         40
        .size:           8
        .value_kind:     by_value
      - .offset:         48
        .size:           4
        .value_kind:     hidden_block_count_x
      - .offset:         52
        .size:           4
        .value_kind:     hidden_block_count_y
      - .offset:         56
        .size:           4
        .value_kind:     hidden_block_count_z
      - .offset:         60
        .size:           2
        .value_kind:     hidden_group_size_x
      - .offset:         62
        .size:           2
        .value_kind:     hidden_group_size_y
      - .offset:         64
        .size:           2
        .value_kind:     hidden_group_size_z
      - .offset:         66
        .size:           2
        .value_kind:     hidden_remainder_x
      - .offset:         68
        .size:           2
        .value_kind:     hidden_remainder_y
      - .offset:         70
        .size:           2
        .value_kind:     hidden_remainder_z
      - .offset:         88
        .size:           8
        .value_kind:     hidden_global_offset_x
      - .offset:         96
        .size:           8
        .value_kind:     hidden_global_offset_y
      - .offset:         104
        .size:           8
        .value_kind:     hidden_global_offset_z
      - .offset:         112
        .size:           2
        .value_kind:     hidden_grid_dims
    .group_segment_fixed_size: 0
    .kernarg_segment_align: 8
    .kernarg_segment_size: 304
    .language:       OpenCL C
    .language_version:
      - 2
      - 0
    .max_flat_workgroup_size: 1024
    .name:           _ZN2at6native12_GLOBAL__N_130reflection_pad1d_backward_flatIN3c107complexIdEEEEvPT_PKS6_llll
    .private_segment_fixed_size: 0
    .sgpr_count:     44
    .sgpr_spill_count: 0
    .symbol:         _ZN2at6native12_GLOBAL__N_130reflection_pad1d_backward_flatIN3c107complexIdEEEEvPT_PKS6_llll.kd
    .uniform_work_group_size: 1
    .uses_dynamic_stack: false
    .vgpr_count:     24
    .vgpr_spill_count: 0
    .wavefront_size: 32
  - .args:
      - .address_space:  global
        .offset:         0
        .size:           8
        .value_kind:     global_buffer
      - .address_space:  global
        .offset:         8
        .size:           8
        .value_kind:     global_buffer
      - .offset:         16
        .size:           8
        .value_kind:     by_value
      - .offset:         24
        .size:           8
        .value_kind:     by_value
      - .offset:         32
        .size:           8
        .value_kind:     by_value
      - .offset:         40
        .size:           4
        .value_kind:     hidden_block_count_x
      - .offset:         44
        .size:           4
        .value_kind:     hidden_block_count_y
      - .offset:         48
        .size:           4
        .value_kind:     hidden_block_count_z
      - .offset:         52
        .size:           2
        .value_kind:     hidden_group_size_x
      - .offset:         54
        .size:           2
        .value_kind:     hidden_group_size_y
      - .offset:         56
        .size:           2
        .value_kind:     hidden_group_size_z
      - .offset:         58
        .size:           2
        .value_kind:     hidden_remainder_x
      - .offset:         60
        .size:           2
        .value_kind:     hidden_remainder_y
      - .offset:         62
        .size:           2
        .value_kind:     hidden_remainder_z
      - .offset:         80
        .size:           8
        .value_kind:     hidden_global_offset_x
      - .offset:         88
        .size:           8
        .value_kind:     hidden_global_offset_y
      - .offset:         96
        .size:           8
        .value_kind:     hidden_global_offset_z
      - .offset:         104
        .size:           2
        .value_kind:     hidden_grid_dims
    .group_segment_fixed_size: 0
    .kernarg_segment_align: 8
    .kernarg_segment_size: 296
    .language:       OpenCL C
    .language_version:
      - 2
      - 0
    .max_flat_workgroup_size: 1024
    .name:           _ZN2at6native12_GLOBAL__N_136reflection_pad1d_backward_out_kernelIN3c107complexIfEEEEvPT_PKS6_lll
    .private_segment_fixed_size: 0
    .sgpr_count:     21
    .sgpr_spill_count: 0
    .symbol:         _ZN2at6native12_GLOBAL__N_136reflection_pad1d_backward_out_kernelIN3c107complexIfEEEEvPT_PKS6_lll.kd
    .uniform_work_group_size: 1
    .uses_dynamic_stack: false
    .vgpr_count:     14
    .vgpr_spill_count: 0
    .wavefront_size: 32
  - .args:
      - .address_space:  global
        .offset:         0
        .size:           8
        .value_kind:     global_buffer
      - .actual_access:  read_only
        .address_space:  global
        .offset:         8
        .size:           8
        .value_kind:     global_buffer
      - .offset:         16
        .size:           8
        .value_kind:     by_value
      - .offset:         24
        .size:           8
        .value_kind:     by_value
      - .offset:         32
        .size:           8
        .value_kind:     by_value
      - .offset:         40
        .size:           8
        .value_kind:     by_value
      - .offset:         48
        .size:           4
        .value_kind:     hidden_block_count_x
      - .offset:         52
        .size:           4
        .value_kind:     hidden_block_count_y
      - .offset:         56
        .size:           4
        .value_kind:     hidden_block_count_z
      - .offset:         60
        .size:           2
        .value_kind:     hidden_group_size_x
      - .offset:         62
        .size:           2
        .value_kind:     hidden_group_size_y
      - .offset:         64
        .size:           2
        .value_kind:     hidden_group_size_z
      - .offset:         66
        .size:           2
        .value_kind:     hidden_remainder_x
      - .offset:         68
        .size:           2
        .value_kind:     hidden_remainder_y
      - .offset:         70
        .size:           2
        .value_kind:     hidden_remainder_z
      - .offset:         88
        .size:           8
        .value_kind:     hidden_global_offset_x
      - .offset:         96
        .size:           8
        .value_kind:     hidden_global_offset_y
      - .offset:         104
        .size:           8
        .value_kind:     hidden_global_offset_z
      - .offset:         112
        .size:           2
        .value_kind:     hidden_grid_dims
    .group_segment_fixed_size: 0
    .kernarg_segment_align: 8
    .kernarg_segment_size: 304
    .language:       OpenCL C
    .language_version:
      - 2
      - 0
    .max_flat_workgroup_size: 1024
    .name:           _ZN2at6native12_GLOBAL__N_130reflection_pad1d_backward_flatIN3c107complexIfEEEEvPT_PKS6_llll
    .private_segment_fixed_size: 0
    .sgpr_count:     44
    .sgpr_spill_count: 0
    .symbol:         _ZN2at6native12_GLOBAL__N_130reflection_pad1d_backward_flatIN3c107complexIfEEEEvPT_PKS6_llll.kd
    .uniform_work_group_size: 1
    .uses_dynamic_stack: false
    .vgpr_count:     24
    .vgpr_spill_count: 0
    .wavefront_size: 32
  - .args:
      - .address_space:  global
        .offset:         0
        .size:           8
        .value_kind:     global_buffer
      - .address_space:  global
        .offset:         8
        .size:           8
        .value_kind:     global_buffer
      - .offset:         16
        .size:           8
        .value_kind:     by_value
      - .offset:         24
        .size:           8
        .value_kind:     by_value
      - .offset:         32
        .size:           8
        .value_kind:     by_value
      - .offset:         40
        .size:           4
        .value_kind:     hidden_block_count_x
      - .offset:         44
        .size:           4
        .value_kind:     hidden_block_count_y
      - .offset:         48
        .size:           4
        .value_kind:     hidden_block_count_z
      - .offset:         52
        .size:           2
        .value_kind:     hidden_group_size_x
      - .offset:         54
        .size:           2
        .value_kind:     hidden_group_size_y
      - .offset:         56
        .size:           2
        .value_kind:     hidden_group_size_z
      - .offset:         58
        .size:           2
        .value_kind:     hidden_remainder_x
      - .offset:         60
        .size:           2
        .value_kind:     hidden_remainder_y
      - .offset:         62
        .size:           2
        .value_kind:     hidden_remainder_z
      - .offset:         80
        .size:           8
        .value_kind:     hidden_global_offset_x
      - .offset:         88
        .size:           8
        .value_kind:     hidden_global_offset_y
      - .offset:         96
        .size:           8
        .value_kind:     hidden_global_offset_z
      - .offset:         104
        .size:           2
        .value_kind:     hidden_grid_dims
    .group_segment_fixed_size: 0
    .kernarg_segment_align: 8
    .kernarg_segment_size: 296
    .language:       OpenCL C
    .language_version:
      - 2
      - 0
    .max_flat_workgroup_size: 1024
    .name:           _ZN2at6native12_GLOBAL__N_136reflection_pad1d_backward_out_kernelIN3c104HalfEEEvPT_PKS5_lll
    .private_segment_fixed_size: 0
    .sgpr_count:     20
    .sgpr_spill_count: 0
    .symbol:         _ZN2at6native12_GLOBAL__N_136reflection_pad1d_backward_out_kernelIN3c104HalfEEEvPT_PKS5_lll.kd
    .uniform_work_group_size: 1
    .uses_dynamic_stack: false
    .vgpr_count:     14
    .vgpr_spill_count: 0
    .wavefront_size: 32
  - .args:
      - .address_space:  global
        .offset:         0
        .size:           8
        .value_kind:     global_buffer
      - .actual_access:  read_only
        .address_space:  global
        .offset:         8
        .size:           8
        .value_kind:     global_buffer
      - .offset:         16
        .size:           8
        .value_kind:     by_value
      - .offset:         24
        .size:           8
        .value_kind:     by_value
      - .offset:         32
        .size:           8
        .value_kind:     by_value
      - .offset:         40
        .size:           8
        .value_kind:     by_value
      - .offset:         48
        .size:           4
        .value_kind:     hidden_block_count_x
      - .offset:         52
        .size:           4
        .value_kind:     hidden_block_count_y
      - .offset:         56
        .size:           4
        .value_kind:     hidden_block_count_z
      - .offset:         60
        .size:           2
        .value_kind:     hidden_group_size_x
      - .offset:         62
        .size:           2
        .value_kind:     hidden_group_size_y
      - .offset:         64
        .size:           2
        .value_kind:     hidden_group_size_z
      - .offset:         66
        .size:           2
        .value_kind:     hidden_remainder_x
      - .offset:         68
        .size:           2
        .value_kind:     hidden_remainder_y
      - .offset:         70
        .size:           2
        .value_kind:     hidden_remainder_z
      - .offset:         88
        .size:           8
        .value_kind:     hidden_global_offset_x
      - .offset:         96
        .size:           8
        .value_kind:     hidden_global_offset_y
      - .offset:         104
        .size:           8
        .value_kind:     hidden_global_offset_z
      - .offset:         112
        .size:           2
        .value_kind:     hidden_grid_dims
    .group_segment_fixed_size: 0
    .kernarg_segment_align: 8
    .kernarg_segment_size: 304
    .language:       OpenCL C
    .language_version:
      - 2
      - 0
    .max_flat_workgroup_size: 1024
    .name:           _ZN2at6native12_GLOBAL__N_130reflection_pad1d_backward_flatIN3c104HalfEEEvPT_PKS5_llll
    .private_segment_fixed_size: 0
    .sgpr_count:     42
    .sgpr_spill_count: 0
    .symbol:         _ZN2at6native12_GLOBAL__N_130reflection_pad1d_backward_flatIN3c104HalfEEEvPT_PKS5_llll.kd
    .uniform_work_group_size: 1
    .uses_dynamic_stack: false
    .vgpr_count:     22
    .vgpr_spill_count: 0
    .wavefront_size: 32
  - .args:
      - .address_space:  global
        .offset:         0
        .size:           8
        .value_kind:     global_buffer
      - .address_space:  global
        .offset:         8
        .size:           8
        .value_kind:     global_buffer
      - .offset:         16
        .size:           8
        .value_kind:     by_value
      - .offset:         24
        .size:           8
        .value_kind:     by_value
      - .offset:         32
        .size:           8
        .value_kind:     by_value
      - .offset:         40
        .size:           4
        .value_kind:     hidden_block_count_x
      - .offset:         44
        .size:           4
        .value_kind:     hidden_block_count_y
      - .offset:         48
        .size:           4
        .value_kind:     hidden_block_count_z
      - .offset:         52
        .size:           2
        .value_kind:     hidden_group_size_x
      - .offset:         54
        .size:           2
        .value_kind:     hidden_group_size_y
      - .offset:         56
        .size:           2
        .value_kind:     hidden_group_size_z
      - .offset:         58
        .size:           2
        .value_kind:     hidden_remainder_x
      - .offset:         60
        .size:           2
        .value_kind:     hidden_remainder_y
      - .offset:         62
        .size:           2
        .value_kind:     hidden_remainder_z
      - .offset:         80
        .size:           8
        .value_kind:     hidden_global_offset_x
      - .offset:         88
        .size:           8
        .value_kind:     hidden_global_offset_y
      - .offset:         96
        .size:           8
        .value_kind:     hidden_global_offset_z
      - .offset:         104
        .size:           2
        .value_kind:     hidden_grid_dims
    .group_segment_fixed_size: 0
    .kernarg_segment_align: 8
    .kernarg_segment_size: 296
    .language:       OpenCL C
    .language_version:
      - 2
      - 0
    .max_flat_workgroup_size: 1024
    .name:           _ZN2at6native12_GLOBAL__N_136reflection_pad1d_backward_out_kernelIN3c108BFloat16EEEvPT_PKS5_lll
    .private_segment_fixed_size: 0
    .sgpr_count:     20
    .sgpr_spill_count: 0
    .symbol:         _ZN2at6native12_GLOBAL__N_136reflection_pad1d_backward_out_kernelIN3c108BFloat16EEEvPT_PKS5_lll.kd
    .uniform_work_group_size: 1
    .uses_dynamic_stack: false
    .vgpr_count:     14
    .vgpr_spill_count: 0
    .wavefront_size: 32
  - .args:
      - .address_space:  global
        .offset:         0
        .size:           8
        .value_kind:     global_buffer
      - .actual_access:  read_only
        .address_space:  global
        .offset:         8
        .size:           8
        .value_kind:     global_buffer
      - .offset:         16
        .size:           8
        .value_kind:     by_value
      - .offset:         24
        .size:           8
        .value_kind:     by_value
      - .offset:         32
        .size:           8
        .value_kind:     by_value
      - .offset:         40
        .size:           8
        .value_kind:     by_value
      - .offset:         48
        .size:           4
        .value_kind:     hidden_block_count_x
      - .offset:         52
        .size:           4
        .value_kind:     hidden_block_count_y
      - .offset:         56
        .size:           4
        .value_kind:     hidden_block_count_z
      - .offset:         60
        .size:           2
        .value_kind:     hidden_group_size_x
      - .offset:         62
        .size:           2
        .value_kind:     hidden_group_size_y
      - .offset:         64
        .size:           2
        .value_kind:     hidden_group_size_z
      - .offset:         66
        .size:           2
        .value_kind:     hidden_remainder_x
      - .offset:         68
        .size:           2
        .value_kind:     hidden_remainder_y
      - .offset:         70
        .size:           2
        .value_kind:     hidden_remainder_z
      - .offset:         88
        .size:           8
        .value_kind:     hidden_global_offset_x
      - .offset:         96
        .size:           8
        .value_kind:     hidden_global_offset_y
      - .offset:         104
        .size:           8
        .value_kind:     hidden_global_offset_z
      - .offset:         112
        .size:           2
        .value_kind:     hidden_grid_dims
    .group_segment_fixed_size: 0
    .kernarg_segment_align: 8
    .kernarg_segment_size: 304
    .language:       OpenCL C
    .language_version:
      - 2
      - 0
    .max_flat_workgroup_size: 1024
    .name:           _ZN2at6native12_GLOBAL__N_130reflection_pad1d_backward_flatIN3c108BFloat16EEEvPT_PKS5_llll
    .private_segment_fixed_size: 0
    .sgpr_count:     42
    .sgpr_spill_count: 0
    .symbol:         _ZN2at6native12_GLOBAL__N_130reflection_pad1d_backward_flatIN3c108BFloat16EEEvPT_PKS5_llll.kd
    .uniform_work_group_size: 1
    .uses_dynamic_stack: false
    .vgpr_count:     22
    .vgpr_spill_count: 0
    .wavefront_size: 32
  - .args:
      - .offset:         0
        .size:           88
        .value_kind:     by_value
      - .offset:         88
        .size:           88
        .value_kind:     by_value
      - .offset:         176
        .size:           8
        .value_kind:     by_value
      - .offset:         184
        .size:           8
        .value_kind:     by_value
      - .offset:         192
        .size:           8
        .value_kind:     by_value
      - .offset:         200
        .size:           8
        .value_kind:     by_value
      - .offset:         208
        .size:           8
        .value_kind:     by_value
      - .offset:         216
        .size:           4
        .value_kind:     hidden_block_count_x
      - .offset:         220
        .size:           4
        .value_kind:     hidden_block_count_y
      - .offset:         224
        .size:           4
        .value_kind:     hidden_block_count_z
      - .offset:         228
        .size:           2
        .value_kind:     hidden_group_size_x
      - .offset:         230
        .size:           2
        .value_kind:     hidden_group_size_y
      - .offset:         232
        .size:           2
        .value_kind:     hidden_group_size_z
      - .offset:         234
        .size:           2
        .value_kind:     hidden_remainder_x
      - .offset:         236
        .size:           2
        .value_kind:     hidden_remainder_y
      - .offset:         238
        .size:           2
        .value_kind:     hidden_remainder_z
      - .offset:         256
        .size:           8
        .value_kind:     hidden_global_offset_x
      - .offset:         264
        .size:           8
        .value_kind:     hidden_global_offset_y
      - .offset:         272
        .size:           8
        .value_kind:     hidden_global_offset_z
      - .offset:         280
        .size:           2
        .value_kind:     hidden_grid_dims
    .group_segment_fixed_size: 0
    .kernarg_segment_align: 8
    .kernarg_segment_size: 472
    .language:       OpenCL C
    .language_version:
      - 2
      - 0
    .max_flat_workgroup_size: 1024
    .name:           _ZN2at6native12_GLOBAL__N_127reflection_pad3d_out_kernelIhEEvN5torch10headeronly6detail27GenericPackedTensorAccessorINS5_14TensorAccessorIN3c108ArrayRefIlEEKT_Lm4ENS4_16DefaultPtrTraitsElEENS_6detail16IndexBoundsCheckILm5ElEESC_Lm5ESD_lEENS6_INS7_ISA_SB_Lm4ESD_lEESH_SB_Lm5ESD_lEElllll
    .private_segment_fixed_size: 0
    .sgpr_count:     54
    .sgpr_spill_count: 0
    .symbol:         _ZN2at6native12_GLOBAL__N_127reflection_pad3d_out_kernelIhEEvN5torch10headeronly6detail27GenericPackedTensorAccessorINS5_14TensorAccessorIN3c108ArrayRefIlEEKT_Lm4ENS4_16DefaultPtrTraitsElEENS_6detail16IndexBoundsCheckILm5ElEESC_Lm5ESD_lEENS6_INS7_ISA_SB_Lm4ESD_lEESH_SB_Lm5ESD_lEElllll.kd
    .uniform_work_group_size: 1
    .uses_dynamic_stack: false
    .vgpr_count:     26
    .vgpr_spill_count: 0
    .wavefront_size: 32
  - .args:
      - .offset:         0
        .size:           88
        .value_kind:     by_value
      - .offset:         88
        .size:           88
        .value_kind:     by_value
      - .offset:         176
        .size:           8
        .value_kind:     by_value
      - .offset:         184
        .size:           8
        .value_kind:     by_value
      - .offset:         192
        .size:           8
        .value_kind:     by_value
      - .offset:         200
        .size:           8
        .value_kind:     by_value
      - .offset:         208
        .size:           8
        .value_kind:     by_value
      - .offset:         216
        .size:           4
        .value_kind:     hidden_block_count_x
      - .offset:         220
        .size:           4
        .value_kind:     hidden_block_count_y
      - .offset:         224
        .size:           4
        .value_kind:     hidden_block_count_z
      - .offset:         228
        .size:           2
        .value_kind:     hidden_group_size_x
      - .offset:         230
        .size:           2
        .value_kind:     hidden_group_size_y
      - .offset:         232
        .size:           2
        .value_kind:     hidden_group_size_z
      - .offset:         234
        .size:           2
        .value_kind:     hidden_remainder_x
      - .offset:         236
        .size:           2
        .value_kind:     hidden_remainder_y
      - .offset:         238
        .size:           2
        .value_kind:     hidden_remainder_z
      - .offset:         256
        .size:           8
        .value_kind:     hidden_global_offset_x
      - .offset:         264
        .size:           8
        .value_kind:     hidden_global_offset_y
      - .offset:         272
        .size:           8
        .value_kind:     hidden_global_offset_z
      - .offset:         280
        .size:           2
        .value_kind:     hidden_grid_dims
    .group_segment_fixed_size: 0
    .kernarg_segment_align: 8
    .kernarg_segment_size: 472
    .language:       OpenCL C
    .language_version:
      - 2
      - 0
    .max_flat_workgroup_size: 1024
    .name:           _ZN2at6native12_GLOBAL__N_127reflection_pad3d_out_kernelIaEEvN5torch10headeronly6detail27GenericPackedTensorAccessorINS5_14TensorAccessorIN3c108ArrayRefIlEEKT_Lm4ENS4_16DefaultPtrTraitsElEENS_6detail16IndexBoundsCheckILm5ElEESC_Lm5ESD_lEENS6_INS7_ISA_SB_Lm4ESD_lEESH_SB_Lm5ESD_lEElllll
    .private_segment_fixed_size: 0
    .sgpr_count:     54
    .sgpr_spill_count: 0
    .symbol:         _ZN2at6native12_GLOBAL__N_127reflection_pad3d_out_kernelIaEEvN5torch10headeronly6detail27GenericPackedTensorAccessorINS5_14TensorAccessorIN3c108ArrayRefIlEEKT_Lm4ENS4_16DefaultPtrTraitsElEENS_6detail16IndexBoundsCheckILm5ElEESC_Lm5ESD_lEENS6_INS7_ISA_SB_Lm4ESD_lEESH_SB_Lm5ESD_lEElllll.kd
    .uniform_work_group_size: 1
    .uses_dynamic_stack: false
    .vgpr_count:     26
    .vgpr_spill_count: 0
    .wavefront_size: 32
  - .args:
      - .offset:         0
        .size:           88
        .value_kind:     by_value
      - .offset:         88
        .size:           88
        .value_kind:     by_value
      - .offset:         176
        .size:           8
        .value_kind:     by_value
      - .offset:         184
        .size:           8
        .value_kind:     by_value
      - .offset:         192
        .size:           8
        .value_kind:     by_value
      - .offset:         200
        .size:           8
        .value_kind:     by_value
      - .offset:         208
        .size:           8
        .value_kind:     by_value
      - .offset:         216
        .size:           4
        .value_kind:     hidden_block_count_x
      - .offset:         220
        .size:           4
        .value_kind:     hidden_block_count_y
      - .offset:         224
        .size:           4
        .value_kind:     hidden_block_count_z
      - .offset:         228
        .size:           2
        .value_kind:     hidden_group_size_x
      - .offset:         230
        .size:           2
        .value_kind:     hidden_group_size_y
      - .offset:         232
        .size:           2
        .value_kind:     hidden_group_size_z
      - .offset:         234
        .size:           2
        .value_kind:     hidden_remainder_x
      - .offset:         236
        .size:           2
        .value_kind:     hidden_remainder_y
      - .offset:         238
        .size:           2
        .value_kind:     hidden_remainder_z
      - .offset:         256
        .size:           8
        .value_kind:     hidden_global_offset_x
      - .offset:         264
        .size:           8
        .value_kind:     hidden_global_offset_y
      - .offset:         272
        .size:           8
        .value_kind:     hidden_global_offset_z
      - .offset:         280
        .size:           2
        .value_kind:     hidden_grid_dims
    .group_segment_fixed_size: 0
    .kernarg_segment_align: 8
    .kernarg_segment_size: 472
    .language:       OpenCL C
    .language_version:
      - 2
      - 0
    .max_flat_workgroup_size: 1024
    .name:           _ZN2at6native12_GLOBAL__N_127reflection_pad3d_out_kernelIiEEvN5torch10headeronly6detail27GenericPackedTensorAccessorINS5_14TensorAccessorIN3c108ArrayRefIlEEKT_Lm4ENS4_16DefaultPtrTraitsElEENS_6detail16IndexBoundsCheckILm5ElEESC_Lm5ESD_lEENS6_INS7_ISA_SB_Lm4ESD_lEESH_SB_Lm5ESD_lEElllll
    .private_segment_fixed_size: 0
    .sgpr_count:     54
    .sgpr_spill_count: 0
    .symbol:         _ZN2at6native12_GLOBAL__N_127reflection_pad3d_out_kernelIiEEvN5torch10headeronly6detail27GenericPackedTensorAccessorINS5_14TensorAccessorIN3c108ArrayRefIlEEKT_Lm4ENS4_16DefaultPtrTraitsElEENS_6detail16IndexBoundsCheckILm5ElEESC_Lm5ESD_lEENS6_INS7_ISA_SB_Lm4ESD_lEESH_SB_Lm5ESD_lEElllll.kd
    .uniform_work_group_size: 1
    .uses_dynamic_stack: false
    .vgpr_count:     34
    .vgpr_spill_count: 0
    .wavefront_size: 32
  - .args:
      - .offset:         0
        .size:           88
        .value_kind:     by_value
      - .offset:         88
        .size:           88
        .value_kind:     by_value
      - .offset:         176
        .size:           8
        .value_kind:     by_value
      - .offset:         184
        .size:           8
        .value_kind:     by_value
      - .offset:         192
        .size:           8
        .value_kind:     by_value
      - .offset:         200
        .size:           8
        .value_kind:     by_value
      - .offset:         208
        .size:           8
        .value_kind:     by_value
      - .offset:         216
        .size:           4
        .value_kind:     hidden_block_count_x
      - .offset:         220
        .size:           4
        .value_kind:     hidden_block_count_y
      - .offset:         224
        .size:           4
        .value_kind:     hidden_block_count_z
      - .offset:         228
        .size:           2
        .value_kind:     hidden_group_size_x
      - .offset:         230
        .size:           2
        .value_kind:     hidden_group_size_y
      - .offset:         232
        .size:           2
        .value_kind:     hidden_group_size_z
      - .offset:         234
        .size:           2
        .value_kind:     hidden_remainder_x
      - .offset:         236
        .size:           2
        .value_kind:     hidden_remainder_y
      - .offset:         238
        .size:           2
        .value_kind:     hidden_remainder_z
      - .offset:         256
        .size:           8
        .value_kind:     hidden_global_offset_x
      - .offset:         264
        .size:           8
        .value_kind:     hidden_global_offset_y
      - .offset:         272
        .size:           8
        .value_kind:     hidden_global_offset_z
      - .offset:         280
        .size:           2
        .value_kind:     hidden_grid_dims
    .group_segment_fixed_size: 0
    .kernarg_segment_align: 8
    .kernarg_segment_size: 472
    .language:       OpenCL C
    .language_version:
      - 2
      - 0
    .max_flat_workgroup_size: 1024
    .name:           _ZN2at6native12_GLOBAL__N_127reflection_pad3d_out_kernelIlEEvN5torch10headeronly6detail27GenericPackedTensorAccessorINS5_14TensorAccessorIN3c108ArrayRefIlEEKT_Lm4ENS4_16DefaultPtrTraitsElEENS_6detail16IndexBoundsCheckILm5ElEESC_Lm5ESD_lEENS6_INS7_ISA_SB_Lm4ESD_lEESH_SB_Lm5ESD_lEElllll
    .private_segment_fixed_size: 0
    .sgpr_count:     54
    .sgpr_spill_count: 0
    .symbol:         _ZN2at6native12_GLOBAL__N_127reflection_pad3d_out_kernelIlEEvN5torch10headeronly6detail27GenericPackedTensorAccessorINS5_14TensorAccessorIN3c108ArrayRefIlEEKT_Lm4ENS4_16DefaultPtrTraitsElEENS_6detail16IndexBoundsCheckILm5ElEESC_Lm5ESD_lEENS6_INS7_ISA_SB_Lm4ESD_lEESH_SB_Lm5ESD_lEElllll.kd
    .uniform_work_group_size: 1
    .uses_dynamic_stack: false
    .vgpr_count:     34
    .vgpr_spill_count: 0
    .wavefront_size: 32
  - .args:
      - .offset:         0
        .size:           88
        .value_kind:     by_value
      - .offset:         88
        .size:           88
        .value_kind:     by_value
      - .offset:         176
        .size:           8
        .value_kind:     by_value
      - .offset:         184
        .size:           8
        .value_kind:     by_value
      - .offset:         192
        .size:           8
        .value_kind:     by_value
      - .offset:         200
        .size:           8
        .value_kind:     by_value
      - .offset:         208
        .size:           8
        .value_kind:     by_value
      - .offset:         216
        .size:           4
        .value_kind:     hidden_block_count_x
      - .offset:         220
        .size:           4
        .value_kind:     hidden_block_count_y
      - .offset:         224
        .size:           4
        .value_kind:     hidden_block_count_z
      - .offset:         228
        .size:           2
        .value_kind:     hidden_group_size_x
      - .offset:         230
        .size:           2
        .value_kind:     hidden_group_size_y
      - .offset:         232
        .size:           2
        .value_kind:     hidden_group_size_z
      - .offset:         234
        .size:           2
        .value_kind:     hidden_remainder_x
      - .offset:         236
        .size:           2
        .value_kind:     hidden_remainder_y
      - .offset:         238
        .size:           2
        .value_kind:     hidden_remainder_z
      - .offset:         256
        .size:           8
        .value_kind:     hidden_global_offset_x
      - .offset:         264
        .size:           8
        .value_kind:     hidden_global_offset_y
      - .offset:         272
        .size:           8
        .value_kind:     hidden_global_offset_z
      - .offset:         280
        .size:           2
        .value_kind:     hidden_grid_dims
    .group_segment_fixed_size: 0
    .kernarg_segment_align: 8
    .kernarg_segment_size: 472
    .language:       OpenCL C
    .language_version:
      - 2
      - 0
    .max_flat_workgroup_size: 1024
    .name:           _ZN2at6native12_GLOBAL__N_127reflection_pad3d_out_kernelIsEEvN5torch10headeronly6detail27GenericPackedTensorAccessorINS5_14TensorAccessorIN3c108ArrayRefIlEEKT_Lm4ENS4_16DefaultPtrTraitsElEENS_6detail16IndexBoundsCheckILm5ElEESC_Lm5ESD_lEENS6_INS7_ISA_SB_Lm4ESD_lEESH_SB_Lm5ESD_lEElllll
    .private_segment_fixed_size: 0
    .sgpr_count:     54
    .sgpr_spill_count: 0
    .symbol:         _ZN2at6native12_GLOBAL__N_127reflection_pad3d_out_kernelIsEEvN5torch10headeronly6detail27GenericPackedTensorAccessorINS5_14TensorAccessorIN3c108ArrayRefIlEEKT_Lm4ENS4_16DefaultPtrTraitsElEENS_6detail16IndexBoundsCheckILm5ElEESC_Lm5ESD_lEENS6_INS7_ISA_SB_Lm4ESD_lEESH_SB_Lm5ESD_lEElllll.kd
    .uniform_work_group_size: 1
    .uses_dynamic_stack: false
    .vgpr_count:     34
    .vgpr_spill_count: 0
    .wavefront_size: 32
  - .args:
      - .offset:         0
        .size:           88
        .value_kind:     by_value
      - .offset:         88
        .size:           88
        .value_kind:     by_value
      - .offset:         176
        .size:           8
        .value_kind:     by_value
      - .offset:         184
        .size:           8
        .value_kind:     by_value
      - .offset:         192
        .size:           8
        .value_kind:     by_value
      - .offset:         200
        .size:           8
        .value_kind:     by_value
      - .offset:         208
        .size:           8
        .value_kind:     by_value
      - .offset:         216
        .size:           4
        .value_kind:     hidden_block_count_x
      - .offset:         220
        .size:           4
        .value_kind:     hidden_block_count_y
      - .offset:         224
        .size:           4
        .value_kind:     hidden_block_count_z
      - .offset:         228
        .size:           2
        .value_kind:     hidden_group_size_x
      - .offset:         230
        .size:           2
        .value_kind:     hidden_group_size_y
      - .offset:         232
        .size:           2
        .value_kind:     hidden_group_size_z
      - .offset:         234
        .size:           2
        .value_kind:     hidden_remainder_x
      - .offset:         236
        .size:           2
        .value_kind:     hidden_remainder_y
      - .offset:         238
        .size:           2
        .value_kind:     hidden_remainder_z
      - .offset:         256
        .size:           8
        .value_kind:     hidden_global_offset_x
      - .offset:         264
        .size:           8
        .value_kind:     hidden_global_offset_y
      - .offset:         272
        .size:           8
        .value_kind:     hidden_global_offset_z
      - .offset:         280
        .size:           2
        .value_kind:     hidden_grid_dims
    .group_segment_fixed_size: 0
    .kernarg_segment_align: 8
    .kernarg_segment_size: 472
    .language:       OpenCL C
    .language_version:
      - 2
      - 0
    .max_flat_workgroup_size: 1024
    .name:           _ZN2at6native12_GLOBAL__N_127reflection_pad3d_out_kernelIdEEvN5torch10headeronly6detail27GenericPackedTensorAccessorINS5_14TensorAccessorIN3c108ArrayRefIlEEKT_Lm4ENS4_16DefaultPtrTraitsElEENS_6detail16IndexBoundsCheckILm5ElEESC_Lm5ESD_lEENS6_INS7_ISA_SB_Lm4ESD_lEESH_SB_Lm5ESD_lEElllll
    .private_segment_fixed_size: 0
    .sgpr_count:     54
    .sgpr_spill_count: 0
    .symbol:         _ZN2at6native12_GLOBAL__N_127reflection_pad3d_out_kernelIdEEvN5torch10headeronly6detail27GenericPackedTensorAccessorINS5_14TensorAccessorIN3c108ArrayRefIlEEKT_Lm4ENS4_16DefaultPtrTraitsElEENS_6detail16IndexBoundsCheckILm5ElEESC_Lm5ESD_lEENS6_INS7_ISA_SB_Lm4ESD_lEESH_SB_Lm5ESD_lEElllll.kd
    .uniform_work_group_size: 1
    .uses_dynamic_stack: false
    .vgpr_count:     34
    .vgpr_spill_count: 0
    .wavefront_size: 32
  - .args:
      - .offset:         0
        .size:           88
        .value_kind:     by_value
      - .offset:         88
        .size:           88
        .value_kind:     by_value
      - .offset:         176
        .size:           8
        .value_kind:     by_value
      - .offset:         184
        .size:           8
        .value_kind:     by_value
      - .offset:         192
        .size:           8
        .value_kind:     by_value
      - .offset:         200
        .size:           8
        .value_kind:     by_value
      - .offset:         208
        .size:           8
        .value_kind:     by_value
      - .offset:         216
        .size:           4
        .value_kind:     hidden_block_count_x
      - .offset:         220
        .size:           4
        .value_kind:     hidden_block_count_y
      - .offset:         224
        .size:           4
        .value_kind:     hidden_block_count_z
      - .offset:         228
        .size:           2
        .value_kind:     hidden_group_size_x
      - .offset:         230
        .size:           2
        .value_kind:     hidden_group_size_y
      - .offset:         232
        .size:           2
        .value_kind:     hidden_group_size_z
      - .offset:         234
        .size:           2
        .value_kind:     hidden_remainder_x
      - .offset:         236
        .size:           2
        .value_kind:     hidden_remainder_y
      - .offset:         238
        .size:           2
        .value_kind:     hidden_remainder_z
      - .offset:         256
        .size:           8
        .value_kind:     hidden_global_offset_x
      - .offset:         264
        .size:           8
        .value_kind:     hidden_global_offset_y
      - .offset:         272
        .size:           8
        .value_kind:     hidden_global_offset_z
      - .offset:         280
        .size:           2
        .value_kind:     hidden_grid_dims
    .group_segment_fixed_size: 0
    .kernarg_segment_align: 8
    .kernarg_segment_size: 472
    .language:       OpenCL C
    .language_version:
      - 2
      - 0
    .max_flat_workgroup_size: 1024
    .name:           _ZN2at6native12_GLOBAL__N_127reflection_pad3d_out_kernelIfEEvN5torch10headeronly6detail27GenericPackedTensorAccessorINS5_14TensorAccessorIN3c108ArrayRefIlEEKT_Lm4ENS4_16DefaultPtrTraitsElEENS_6detail16IndexBoundsCheckILm5ElEESC_Lm5ESD_lEENS6_INS7_ISA_SB_Lm4ESD_lEESH_SB_Lm5ESD_lEElllll
    .private_segment_fixed_size: 0
    .sgpr_count:     54
    .sgpr_spill_count: 0
    .symbol:         _ZN2at6native12_GLOBAL__N_127reflection_pad3d_out_kernelIfEEvN5torch10headeronly6detail27GenericPackedTensorAccessorINS5_14TensorAccessorIN3c108ArrayRefIlEEKT_Lm4ENS4_16DefaultPtrTraitsElEENS_6detail16IndexBoundsCheckILm5ElEESC_Lm5ESD_lEENS6_INS7_ISA_SB_Lm4ESD_lEESH_SB_Lm5ESD_lEElllll.kd
    .uniform_work_group_size: 1
    .uses_dynamic_stack: false
    .vgpr_count:     34
    .vgpr_spill_count: 0
    .wavefront_size: 32
  - .args:
      - .offset:         0
        .size:           88
        .value_kind:     by_value
      - .offset:         88
        .size:           88
        .value_kind:     by_value
      - .offset:         176
        .size:           8
        .value_kind:     by_value
      - .offset:         184
        .size:           8
        .value_kind:     by_value
      - .offset:         192
        .size:           8
        .value_kind:     by_value
      - .offset:         200
        .size:           8
        .value_kind:     by_value
      - .offset:         208
        .size:           8
        .value_kind:     by_value
      - .offset:         216
        .size:           4
        .value_kind:     hidden_block_count_x
      - .offset:         220
        .size:           4
        .value_kind:     hidden_block_count_y
      - .offset:         224
        .size:           4
        .value_kind:     hidden_block_count_z
      - .offset:         228
        .size:           2
        .value_kind:     hidden_group_size_x
      - .offset:         230
        .size:           2
        .value_kind:     hidden_group_size_y
      - .offset:         232
        .size:           2
        .value_kind:     hidden_group_size_z
      - .offset:         234
        .size:           2
        .value_kind:     hidden_remainder_x
      - .offset:         236
        .size:           2
        .value_kind:     hidden_remainder_y
      - .offset:         238
        .size:           2
        .value_kind:     hidden_remainder_z
      - .offset:         256
        .size:           8
        .value_kind:     hidden_global_offset_x
      - .offset:         264
        .size:           8
        .value_kind:     hidden_global_offset_y
      - .offset:         272
        .size:           8
        .value_kind:     hidden_global_offset_z
      - .offset:         280
        .size:           2
        .value_kind:     hidden_grid_dims
    .group_segment_fixed_size: 0
    .kernarg_segment_align: 8
    .kernarg_segment_size: 472
    .language:       OpenCL C
    .language_version:
      - 2
      - 0
    .max_flat_workgroup_size: 1024
    .name:           _ZN2at6native12_GLOBAL__N_127reflection_pad3d_out_kernelIN3c107complexIdEEEEvN5torch10headeronly6detail27GenericPackedTensorAccessorINS8_14TensorAccessorINS3_8ArrayRefIlEEKT_Lm4ENS7_16DefaultPtrTraitsElEENS_6detail16IndexBoundsCheckILm5ElEESE_Lm5ESF_lEENS9_INSA_ISC_SD_Lm4ESF_lEESJ_SD_Lm5ESF_lEElllll
    .private_segment_fixed_size: 0
    .sgpr_count:     54
    .sgpr_spill_count: 0
    .symbol:         _ZN2at6native12_GLOBAL__N_127reflection_pad3d_out_kernelIN3c107complexIdEEEEvN5torch10headeronly6detail27GenericPackedTensorAccessorINS8_14TensorAccessorINS3_8ArrayRefIlEEKT_Lm4ENS7_16DefaultPtrTraitsElEENS_6detail16IndexBoundsCheckILm5ElEESE_Lm5ESF_lEENS9_INSA_ISC_SD_Lm4ESF_lEESJ_SD_Lm5ESF_lEElllll.kd
    .uniform_work_group_size: 1
    .uses_dynamic_stack: false
    .vgpr_count:     34
    .vgpr_spill_count: 0
    .wavefront_size: 32
  - .args:
      - .offset:         0
        .size:           88
        .value_kind:     by_value
      - .offset:         88
        .size:           88
        .value_kind:     by_value
      - .offset:         176
        .size:           8
        .value_kind:     by_value
      - .offset:         184
        .size:           8
        .value_kind:     by_value
      - .offset:         192
        .size:           8
        .value_kind:     by_value
      - .offset:         200
        .size:           8
        .value_kind:     by_value
      - .offset:         208
        .size:           8
        .value_kind:     by_value
      - .offset:         216
        .size:           4
        .value_kind:     hidden_block_count_x
      - .offset:         220
        .size:           4
        .value_kind:     hidden_block_count_y
      - .offset:         224
        .size:           4
        .value_kind:     hidden_block_count_z
      - .offset:         228
        .size:           2
        .value_kind:     hidden_group_size_x
      - .offset:         230
        .size:           2
        .value_kind:     hidden_group_size_y
      - .offset:         232
        .size:           2
        .value_kind:     hidden_group_size_z
      - .offset:         234
        .size:           2
        .value_kind:     hidden_remainder_x
      - .offset:         236
        .size:           2
        .value_kind:     hidden_remainder_y
      - .offset:         238
        .size:           2
        .value_kind:     hidden_remainder_z
      - .offset:         256
        .size:           8
        .value_kind:     hidden_global_offset_x
      - .offset:         264
        .size:           8
        .value_kind:     hidden_global_offset_y
      - .offset:         272
        .size:           8
        .value_kind:     hidden_global_offset_z
      - .offset:         280
        .size:           2
        .value_kind:     hidden_grid_dims
    .group_segment_fixed_size: 0
    .kernarg_segment_align: 8
    .kernarg_segment_size: 472
    .language:       OpenCL C
    .language_version:
      - 2
      - 0
    .max_flat_workgroup_size: 1024
    .name:           _ZN2at6native12_GLOBAL__N_127reflection_pad3d_out_kernelIN3c107complexIfEEEEvN5torch10headeronly6detail27GenericPackedTensorAccessorINS8_14TensorAccessorINS3_8ArrayRefIlEEKT_Lm4ENS7_16DefaultPtrTraitsElEENS_6detail16IndexBoundsCheckILm5ElEESE_Lm5ESF_lEENS9_INSA_ISC_SD_Lm4ESF_lEESJ_SD_Lm5ESF_lEElllll
    .private_segment_fixed_size: 0
    .sgpr_count:     54
    .sgpr_spill_count: 0
    .symbol:         _ZN2at6native12_GLOBAL__N_127reflection_pad3d_out_kernelIN3c107complexIfEEEEvN5torch10headeronly6detail27GenericPackedTensorAccessorINS8_14TensorAccessorINS3_8ArrayRefIlEEKT_Lm4ENS7_16DefaultPtrTraitsElEENS_6detail16IndexBoundsCheckILm5ElEESE_Lm5ESF_lEENS9_INSA_ISC_SD_Lm4ESF_lEESJ_SD_Lm5ESF_lEElllll.kd
    .uniform_work_group_size: 1
    .uses_dynamic_stack: false
    .vgpr_count:     34
    .vgpr_spill_count: 0
    .wavefront_size: 32
  - .args:
      - .offset:         0
        .size:           88
        .value_kind:     by_value
      - .offset:         88
        .size:           88
        .value_kind:     by_value
      - .offset:         176
        .size:           8
        .value_kind:     by_value
      - .offset:         184
        .size:           8
        .value_kind:     by_value
      - .offset:         192
        .size:           8
        .value_kind:     by_value
      - .offset:         200
        .size:           8
        .value_kind:     by_value
      - .offset:         208
        .size:           8
        .value_kind:     by_value
      - .offset:         216
        .size:           4
        .value_kind:     hidden_block_count_x
      - .offset:         220
        .size:           4
        .value_kind:     hidden_block_count_y
      - .offset:         224
        .size:           4
        .value_kind:     hidden_block_count_z
      - .offset:         228
        .size:           2
        .value_kind:     hidden_group_size_x
      - .offset:         230
        .size:           2
        .value_kind:     hidden_group_size_y
      - .offset:         232
        .size:           2
        .value_kind:     hidden_group_size_z
      - .offset:         234
        .size:           2
        .value_kind:     hidden_remainder_x
      - .offset:         236
        .size:           2
        .value_kind:     hidden_remainder_y
      - .offset:         238
        .size:           2
        .value_kind:     hidden_remainder_z
      - .offset:         256
        .size:           8
        .value_kind:     hidden_global_offset_x
      - .offset:         264
        .size:           8
        .value_kind:     hidden_global_offset_y
      - .offset:         272
        .size:           8
        .value_kind:     hidden_global_offset_z
      - .offset:         280
        .size:           2
        .value_kind:     hidden_grid_dims
    .group_segment_fixed_size: 0
    .kernarg_segment_align: 8
    .kernarg_segment_size: 472
    .language:       OpenCL C
    .language_version:
      - 2
      - 0
    .max_flat_workgroup_size: 1024
    .name:           _ZN2at6native12_GLOBAL__N_127reflection_pad3d_out_kernelIN3c104HalfEEEvN5torch10headeronly6detail27GenericPackedTensorAccessorINS7_14TensorAccessorINS3_8ArrayRefIlEEKT_Lm4ENS6_16DefaultPtrTraitsElEENS_6detail16IndexBoundsCheckILm5ElEESD_Lm5ESE_lEENS8_INS9_ISB_SC_Lm4ESE_lEESI_SC_Lm5ESE_lEElllll
    .private_segment_fixed_size: 0
    .sgpr_count:     54
    .sgpr_spill_count: 0
    .symbol:         _ZN2at6native12_GLOBAL__N_127reflection_pad3d_out_kernelIN3c104HalfEEEvN5torch10headeronly6detail27GenericPackedTensorAccessorINS7_14TensorAccessorINS3_8ArrayRefIlEEKT_Lm4ENS6_16DefaultPtrTraitsElEENS_6detail16IndexBoundsCheckILm5ElEESD_Lm5ESE_lEENS8_INS9_ISB_SC_Lm4ESE_lEESI_SC_Lm5ESE_lEElllll.kd
    .uniform_work_group_size: 1
    .uses_dynamic_stack: false
    .vgpr_count:     34
    .vgpr_spill_count: 0
    .wavefront_size: 32
  - .args:
      - .offset:         0
        .size:           88
        .value_kind:     by_value
      - .offset:         88
        .size:           88
        .value_kind:     by_value
      - .offset:         176
        .size:           8
        .value_kind:     by_value
      - .offset:         184
        .size:           8
        .value_kind:     by_value
      - .offset:         192
        .size:           8
        .value_kind:     by_value
      - .offset:         200
        .size:           8
        .value_kind:     by_value
      - .offset:         208
        .size:           8
        .value_kind:     by_value
      - .offset:         216
        .size:           4
        .value_kind:     hidden_block_count_x
      - .offset:         220
        .size:           4
        .value_kind:     hidden_block_count_y
      - .offset:         224
        .size:           4
        .value_kind:     hidden_block_count_z
      - .offset:         228
        .size:           2
        .value_kind:     hidden_group_size_x
      - .offset:         230
        .size:           2
        .value_kind:     hidden_group_size_y
      - .offset:         232
        .size:           2
        .value_kind:     hidden_group_size_z
      - .offset:         234
        .size:           2
        .value_kind:     hidden_remainder_x
      - .offset:         236
        .size:           2
        .value_kind:     hidden_remainder_y
      - .offset:         238
        .size:           2
        .value_kind:     hidden_remainder_z
      - .offset:         256
        .size:           8
        .value_kind:     hidden_global_offset_x
      - .offset:         264
        .size:           8
        .value_kind:     hidden_global_offset_y
      - .offset:         272
        .size:           8
        .value_kind:     hidden_global_offset_z
      - .offset:         280
        .size:           2
        .value_kind:     hidden_grid_dims
    .group_segment_fixed_size: 0
    .kernarg_segment_align: 8
    .kernarg_segment_size: 472
    .language:       OpenCL C
    .language_version:
      - 2
      - 0
    .max_flat_workgroup_size: 1024
    .name:           _ZN2at6native12_GLOBAL__N_127reflection_pad3d_out_kernelIN3c108BFloat16EEEvN5torch10headeronly6detail27GenericPackedTensorAccessorINS7_14TensorAccessorINS3_8ArrayRefIlEEKT_Lm4ENS6_16DefaultPtrTraitsElEENS_6detail16IndexBoundsCheckILm5ElEESD_Lm5ESE_lEENS8_INS9_ISB_SC_Lm4ESE_lEESI_SC_Lm5ESE_lEElllll
    .private_segment_fixed_size: 0
    .sgpr_count:     54
    .sgpr_spill_count: 0
    .symbol:         _ZN2at6native12_GLOBAL__N_127reflection_pad3d_out_kernelIN3c108BFloat16EEEvN5torch10headeronly6detail27GenericPackedTensorAccessorINS7_14TensorAccessorINS3_8ArrayRefIlEEKT_Lm4ENS6_16DefaultPtrTraitsElEENS_6detail16IndexBoundsCheckILm5ElEESD_Lm5ESE_lEENS8_INS9_ISB_SC_Lm4ESE_lEESI_SC_Lm5ESE_lEElllll.kd
    .uniform_work_group_size: 1
    .uses_dynamic_stack: false
    .vgpr_count:     34
    .vgpr_spill_count: 0
    .wavefront_size: 32
  - .args:
      - .offset:         0
        .size:           88
        .value_kind:     by_value
      - .offset:         88
        .size:           88
        .value_kind:     by_value
      - .offset:         176
        .size:           8
        .value_kind:     by_value
      - .offset:         184
        .size:           8
        .value_kind:     by_value
      - .offset:         192
        .size:           8
        .value_kind:     by_value
      - .offset:         200
        .size:           8
        .value_kind:     by_value
      - .offset:         208
        .size:           8
        .value_kind:     by_value
      - .offset:         216
        .size:           4
        .value_kind:     hidden_block_count_x
      - .offset:         220
        .size:           4
        .value_kind:     hidden_block_count_y
      - .offset:         224
        .size:           4
        .value_kind:     hidden_block_count_z
      - .offset:         228
        .size:           2
        .value_kind:     hidden_group_size_x
      - .offset:         230
        .size:           2
        .value_kind:     hidden_group_size_y
      - .offset:         232
        .size:           2
        .value_kind:     hidden_group_size_z
      - .offset:         234
        .size:           2
        .value_kind:     hidden_remainder_x
      - .offset:         236
        .size:           2
        .value_kind:     hidden_remainder_y
      - .offset:         238
        .size:           2
        .value_kind:     hidden_remainder_z
      - .offset:         256
        .size:           8
        .value_kind:     hidden_global_offset_x
      - .offset:         264
        .size:           8
        .value_kind:     hidden_global_offset_y
      - .offset:         272
        .size:           8
        .value_kind:     hidden_global_offset_z
      - .offset:         280
        .size:           2
        .value_kind:     hidden_grid_dims
    .group_segment_fixed_size: 0
    .kernarg_segment_align: 8
    .kernarg_segment_size: 472
    .language:       OpenCL C
    .language_version:
      - 2
      - 0
    .max_flat_workgroup_size: 1024
    .name:           _ZN2at6native12_GLOBAL__N_136reflection_pad3d_backward_out_kernelIdEEvN5torch10headeronly6detail27GenericPackedTensorAccessorINS5_14TensorAccessorIN3c108ArrayRefIlEET_Lm4ENS4_16DefaultPtrTraitsElEENS_6detail16IndexBoundsCheckILm5ElEESB_Lm5ESC_lEENS6_INS7_ISA_KSB_Lm4ESC_lEESG_SI_Lm5ESC_lEElllll
    .private_segment_fixed_size: 0
    .sgpr_count:     50
    .sgpr_spill_count: 0
    .symbol:         _ZN2at6native12_GLOBAL__N_136reflection_pad3d_backward_out_kernelIdEEvN5torch10headeronly6detail27GenericPackedTensorAccessorINS5_14TensorAccessorIN3c108ArrayRefIlEET_Lm4ENS4_16DefaultPtrTraitsElEENS_6detail16IndexBoundsCheckILm5ElEESB_Lm5ESC_lEENS6_INS7_ISA_KSB_Lm4ESC_lEESG_SI_Lm5ESC_lEElllll.kd
    .uniform_work_group_size: 1
    .uses_dynamic_stack: false
    .vgpr_count:     38
    .vgpr_spill_count: 0
    .wavefront_size: 32
  - .args:
      - .offset:         0
        .size:           88
        .value_kind:     by_value
      - .offset:         88
        .size:           88
        .value_kind:     by_value
      - .offset:         176
        .size:           8
        .value_kind:     by_value
      - .offset:         184
        .size:           8
        .value_kind:     by_value
      - .offset:         192
        .size:           8
        .value_kind:     by_value
      - .offset:         200
        .size:           8
        .value_kind:     by_value
      - .offset:         208
        .size:           8
        .value_kind:     by_value
      - .offset:         216
        .size:           4
        .value_kind:     hidden_block_count_x
      - .offset:         220
        .size:           4
        .value_kind:     hidden_block_count_y
      - .offset:         224
        .size:           4
        .value_kind:     hidden_block_count_z
      - .offset:         228
        .size:           2
        .value_kind:     hidden_group_size_x
      - .offset:         230
        .size:           2
        .value_kind:     hidden_group_size_y
      - .offset:         232
        .size:           2
        .value_kind:     hidden_group_size_z
      - .offset:         234
        .size:           2
        .value_kind:     hidden_remainder_x
      - .offset:         236
        .size:           2
        .value_kind:     hidden_remainder_y
      - .offset:         238
        .size:           2
        .value_kind:     hidden_remainder_z
      - .offset:         256
        .size:           8
        .value_kind:     hidden_global_offset_x
      - .offset:         264
        .size:           8
        .value_kind:     hidden_global_offset_y
      - .offset:         272
        .size:           8
        .value_kind:     hidden_global_offset_z
      - .offset:         280
        .size:           2
        .value_kind:     hidden_grid_dims
    .group_segment_fixed_size: 0
    .kernarg_segment_align: 8
    .kernarg_segment_size: 472
    .language:       OpenCL C
    .language_version:
      - 2
      - 0
    .max_flat_workgroup_size: 1024
    .name:           _ZN2at6native12_GLOBAL__N_136reflection_pad3d_backward_out_kernelIfEEvN5torch10headeronly6detail27GenericPackedTensorAccessorINS5_14TensorAccessorIN3c108ArrayRefIlEET_Lm4ENS4_16DefaultPtrTraitsElEENS_6detail16IndexBoundsCheckILm5ElEESB_Lm5ESC_lEENS6_INS7_ISA_KSB_Lm4ESC_lEESG_SI_Lm5ESC_lEElllll
    .private_segment_fixed_size: 0
    .sgpr_count:     50
    .sgpr_spill_count: 0
    .symbol:         _ZN2at6native12_GLOBAL__N_136reflection_pad3d_backward_out_kernelIfEEvN5torch10headeronly6detail27GenericPackedTensorAccessorINS5_14TensorAccessorIN3c108ArrayRefIlEET_Lm4ENS4_16DefaultPtrTraitsElEENS_6detail16IndexBoundsCheckILm5ElEESB_Lm5ESC_lEENS6_INS7_ISA_KSB_Lm4ESC_lEESG_SI_Lm5ESC_lEElllll.kd
    .uniform_work_group_size: 1
    .uses_dynamic_stack: false
    .vgpr_count:     37
    .vgpr_spill_count: 0
    .wavefront_size: 32
  - .args:
      - .offset:         0
        .size:           88
        .value_kind:     by_value
      - .offset:         88
        .size:           88
        .value_kind:     by_value
      - .offset:         176
        .size:           8
        .value_kind:     by_value
      - .offset:         184
        .size:           8
        .value_kind:     by_value
      - .offset:         192
        .size:           8
        .value_kind:     by_value
      - .offset:         200
        .size:           8
        .value_kind:     by_value
      - .offset:         208
        .size:           8
        .value_kind:     by_value
      - .offset:         216
        .size:           4
        .value_kind:     hidden_block_count_x
      - .offset:         220
        .size:           4
        .value_kind:     hidden_block_count_y
      - .offset:         224
        .size:           4
        .value_kind:     hidden_block_count_z
      - .offset:         228
        .size:           2
        .value_kind:     hidden_group_size_x
      - .offset:         230
        .size:           2
        .value_kind:     hidden_group_size_y
      - .offset:         232
        .size:           2
        .value_kind:     hidden_group_size_z
      - .offset:         234
        .size:           2
        .value_kind:     hidden_remainder_x
      - .offset:         236
        .size:           2
        .value_kind:     hidden_remainder_y
      - .offset:         238
        .size:           2
        .value_kind:     hidden_remainder_z
      - .offset:         256
        .size:           8
        .value_kind:     hidden_global_offset_x
      - .offset:         264
        .size:           8
        .value_kind:     hidden_global_offset_y
      - .offset:         272
        .size:           8
        .value_kind:     hidden_global_offset_z
      - .offset:         280
        .size:           2
        .value_kind:     hidden_grid_dims
    .group_segment_fixed_size: 0
    .kernarg_segment_align: 8
    .kernarg_segment_size: 472
    .language:       OpenCL C
    .language_version:
      - 2
      - 0
    .max_flat_workgroup_size: 1024
    .name:           _ZN2at6native12_GLOBAL__N_136reflection_pad3d_backward_out_kernelIN3c107complexIdEEEEvN5torch10headeronly6detail27GenericPackedTensorAccessorINS8_14TensorAccessorINS3_8ArrayRefIlEET_Lm4ENS7_16DefaultPtrTraitsElEENS_6detail16IndexBoundsCheckILm5ElEESD_Lm5ESE_lEENS9_INSA_ISC_KSD_Lm4ESE_lEESI_SK_Lm5ESE_lEElllll
    .private_segment_fixed_size: 0
    .sgpr_count:     50
    .sgpr_spill_count: 0
    .symbol:         _ZN2at6native12_GLOBAL__N_136reflection_pad3d_backward_out_kernelIN3c107complexIdEEEEvN5torch10headeronly6detail27GenericPackedTensorAccessorINS8_14TensorAccessorINS3_8ArrayRefIlEET_Lm4ENS7_16DefaultPtrTraitsElEENS_6detail16IndexBoundsCheckILm5ElEESD_Lm5ESE_lEENS9_INSA_ISC_KSD_Lm4ESE_lEESI_SK_Lm5ESE_lEElllll.kd
    .uniform_work_group_size: 1
    .uses_dynamic_stack: false
    .vgpr_count:     40
    .vgpr_spill_count: 0
    .wavefront_size: 32
  - .args:
      - .offset:         0
        .size:           88
        .value_kind:     by_value
      - .offset:         88
        .size:           88
        .value_kind:     by_value
      - .offset:         176
        .size:           8
        .value_kind:     by_value
      - .offset:         184
        .size:           8
        .value_kind:     by_value
      - .offset:         192
        .size:           8
        .value_kind:     by_value
      - .offset:         200
        .size:           8
        .value_kind:     by_value
      - .offset:         208
        .size:           8
        .value_kind:     by_value
      - .offset:         216
        .size:           4
        .value_kind:     hidden_block_count_x
      - .offset:         220
        .size:           4
        .value_kind:     hidden_block_count_y
      - .offset:         224
        .size:           4
        .value_kind:     hidden_block_count_z
      - .offset:         228
        .size:           2
        .value_kind:     hidden_group_size_x
      - .offset:         230
        .size:           2
        .value_kind:     hidden_group_size_y
      - .offset:         232
        .size:           2
        .value_kind:     hidden_group_size_z
      - .offset:         234
        .size:           2
        .value_kind:     hidden_remainder_x
      - .offset:         236
        .size:           2
        .value_kind:     hidden_remainder_y
      - .offset:         238
        .size:           2
        .value_kind:     hidden_remainder_z
      - .offset:         256
        .size:           8
        .value_kind:     hidden_global_offset_x
      - .offset:         264
        .size:           8
        .value_kind:     hidden_global_offset_y
      - .offset:         272
        .size:           8
        .value_kind:     hidden_global_offset_z
      - .offset:         280
        .size:           2
        .value_kind:     hidden_grid_dims
    .group_segment_fixed_size: 0
    .kernarg_segment_align: 8
    .kernarg_segment_size: 472
    .language:       OpenCL C
    .language_version:
      - 2
      - 0
    .max_flat_workgroup_size: 1024
    .name:           _ZN2at6native12_GLOBAL__N_136reflection_pad3d_backward_out_kernelIN3c107complexIfEEEEvN5torch10headeronly6detail27GenericPackedTensorAccessorINS8_14TensorAccessorINS3_8ArrayRefIlEET_Lm4ENS7_16DefaultPtrTraitsElEENS_6detail16IndexBoundsCheckILm5ElEESD_Lm5ESE_lEENS9_INSA_ISC_KSD_Lm4ESE_lEESI_SK_Lm5ESE_lEElllll
    .private_segment_fixed_size: 0
    .sgpr_count:     50
    .sgpr_spill_count: 0
    .symbol:         _ZN2at6native12_GLOBAL__N_136reflection_pad3d_backward_out_kernelIN3c107complexIfEEEEvN5torch10headeronly6detail27GenericPackedTensorAccessorINS8_14TensorAccessorINS3_8ArrayRefIlEET_Lm4ENS7_16DefaultPtrTraitsElEENS_6detail16IndexBoundsCheckILm5ElEESD_Lm5ESE_lEENS9_INSA_ISC_KSD_Lm4ESE_lEESI_SK_Lm5ESE_lEElllll.kd
    .uniform_work_group_size: 1
    .uses_dynamic_stack: false
    .vgpr_count:     38
    .vgpr_spill_count: 0
    .wavefront_size: 32
  - .args:
      - .offset:         0
        .size:           88
        .value_kind:     by_value
      - .offset:         88
        .size:           88
        .value_kind:     by_value
      - .offset:         176
        .size:           8
        .value_kind:     by_value
      - .offset:         184
        .size:           8
        .value_kind:     by_value
      - .offset:         192
        .size:           8
        .value_kind:     by_value
      - .offset:         200
        .size:           8
        .value_kind:     by_value
      - .offset:         208
        .size:           8
        .value_kind:     by_value
      - .offset:         216
        .size:           4
        .value_kind:     hidden_block_count_x
      - .offset:         220
        .size:           4
        .value_kind:     hidden_block_count_y
      - .offset:         224
        .size:           4
        .value_kind:     hidden_block_count_z
      - .offset:         228
        .size:           2
        .value_kind:     hidden_group_size_x
      - .offset:         230
        .size:           2
        .value_kind:     hidden_group_size_y
      - .offset:         232
        .size:           2
        .value_kind:     hidden_group_size_z
      - .offset:         234
        .size:           2
        .value_kind:     hidden_remainder_x
      - .offset:         236
        .size:           2
        .value_kind:     hidden_remainder_y
      - .offset:         238
        .size:           2
        .value_kind:     hidden_remainder_z
      - .offset:         256
        .size:           8
        .value_kind:     hidden_global_offset_x
      - .offset:         264
        .size:           8
        .value_kind:     hidden_global_offset_y
      - .offset:         272
        .size:           8
        .value_kind:     hidden_global_offset_z
      - .offset:         280
        .size:           2
        .value_kind:     hidden_grid_dims
    .group_segment_fixed_size: 0
    .kernarg_segment_align: 8
    .kernarg_segment_size: 472
    .language:       OpenCL C
    .language_version:
      - 2
      - 0
    .max_flat_workgroup_size: 1024
    .name:           _ZN2at6native12_GLOBAL__N_136reflection_pad3d_backward_out_kernelIN3c104HalfEEEvN5torch10headeronly6detail27GenericPackedTensorAccessorINS7_14TensorAccessorINS3_8ArrayRefIlEET_Lm4ENS6_16DefaultPtrTraitsElEENS_6detail16IndexBoundsCheckILm5ElEESC_Lm5ESD_lEENS8_INS9_ISB_KSC_Lm4ESD_lEESH_SJ_Lm5ESD_lEElllll
    .private_segment_fixed_size: 0
    .sgpr_count:     54
    .sgpr_spill_count: 0
    .symbol:         _ZN2at6native12_GLOBAL__N_136reflection_pad3d_backward_out_kernelIN3c104HalfEEEvN5torch10headeronly6detail27GenericPackedTensorAccessorINS7_14TensorAccessorINS3_8ArrayRefIlEET_Lm4ENS6_16DefaultPtrTraitsElEENS_6detail16IndexBoundsCheckILm5ElEESC_Lm5ESD_lEENS8_INS9_ISB_KSC_Lm4ESD_lEESH_SJ_Lm5ESD_lEElllll.kd
    .uniform_work_group_size: 1
    .uses_dynamic_stack: false
    .vgpr_count:     34
    .vgpr_spill_count: 0
    .wavefront_size: 32
  - .args:
      - .offset:         0
        .size:           88
        .value_kind:     by_value
      - .offset:         88
        .size:           88
        .value_kind:     by_value
      - .offset:         176
        .size:           8
        .value_kind:     by_value
      - .offset:         184
        .size:           8
        .value_kind:     by_value
      - .offset:         192
        .size:           8
        .value_kind:     by_value
      - .offset:         200
        .size:           8
        .value_kind:     by_value
      - .offset:         208
        .size:           8
        .value_kind:     by_value
      - .offset:         216
        .size:           4
        .value_kind:     hidden_block_count_x
      - .offset:         220
        .size:           4
        .value_kind:     hidden_block_count_y
      - .offset:         224
        .size:           4
        .value_kind:     hidden_block_count_z
      - .offset:         228
        .size:           2
        .value_kind:     hidden_group_size_x
      - .offset:         230
        .size:           2
        .value_kind:     hidden_group_size_y
      - .offset:         232
        .size:           2
        .value_kind:     hidden_group_size_z
      - .offset:         234
        .size:           2
        .value_kind:     hidden_remainder_x
      - .offset:         236
        .size:           2
        .value_kind:     hidden_remainder_y
      - .offset:         238
        .size:           2
        .value_kind:     hidden_remainder_z
      - .offset:         256
        .size:           8
        .value_kind:     hidden_global_offset_x
      - .offset:         264
        .size:           8
        .value_kind:     hidden_global_offset_y
      - .offset:         272
        .size:           8
        .value_kind:     hidden_global_offset_z
      - .offset:         280
        .size:           2
        .value_kind:     hidden_grid_dims
    .group_segment_fixed_size: 0
    .kernarg_segment_align: 8
    .kernarg_segment_size: 472
    .language:       OpenCL C
    .language_version:
      - 2
      - 0
    .max_flat_workgroup_size: 1024
    .name:           _ZN2at6native12_GLOBAL__N_136reflection_pad3d_backward_out_kernelIN3c108BFloat16EEEvN5torch10headeronly6detail27GenericPackedTensorAccessorINS7_14TensorAccessorINS3_8ArrayRefIlEET_Lm4ENS6_16DefaultPtrTraitsElEENS_6detail16IndexBoundsCheckILm5ElEESC_Lm5ESD_lEENS8_INS9_ISB_KSC_Lm4ESD_lEESH_SJ_Lm5ESD_lEElllll
    .private_segment_fixed_size: 0
    .sgpr_count:     54
    .sgpr_spill_count: 0
    .symbol:         _ZN2at6native12_GLOBAL__N_136reflection_pad3d_backward_out_kernelIN3c108BFloat16EEEvN5torch10headeronly6detail27GenericPackedTensorAccessorINS7_14TensorAccessorINS3_8ArrayRefIlEET_Lm4ENS6_16DefaultPtrTraitsElEENS_6detail16IndexBoundsCheckILm5ElEESC_Lm5ESD_lEENS8_INS9_ISB_KSC_Lm4ESD_lEESH_SJ_Lm5ESD_lEElllll.kd
    .uniform_work_group_size: 1
    .uses_dynamic_stack: false
    .vgpr_count:     34
    .vgpr_spill_count: 0
    .wavefront_size: 32
amdhsa.target:   amdgcn-amd-amdhsa--gfx1250
amdhsa.version:
  - 1
  - 2
...

	.end_amdgpu_metadata
